;; amdgpu-corpus repo=ROCm/rccl kind=compiled arch=gfx1250 opt=O3
	.amdgcn_target "amdgcn-amd-amdhsa--gfx1250"
	.amdhsa_code_object_version 6
	.text
	.p2align	2                               ; -- Begin function __ockl_fprintf_append_string_n
	.type	__ockl_fprintf_append_string_n,@function
__ockl_fprintf_append_string_n:         ; @__ockl_fprintf_append_string_n
; %bb.0:
	s_wait_loadcnt_dscnt 0x0
	s_wait_kmcnt 0x0
	v_or_b32_e32 v2, 2, v0
	v_cmp_eq_u32_e32 vcc_lo, 0, v6
	v_mbcnt_lo_u32_b32 v30, -1, 0
	s_get_pc_i64 s[0:1]
	s_add_nc_u64 s[0:1], s[0:1], .str.3@rel64+4
	s_mov_b32 s6, 0
	s_cmp_lg_u64 s[0:1], 0
	v_cndmask_b32_e32 v3, v2, v0, vcc_lo
	s_cbranch_scc0 .LBB0_113
; %bb.1:
	s_load_b64 s[2:3], s[8:9], 0x50
	s_delay_alu instid0(VALU_DEP_1) | instskip(SKIP_3) | instid1(VALU_DEP_4)
	v_dual_mov_b32 v7, 0 :: v_dual_bitop2_b32 v0, -3, v3 bitop3:0x40
	v_mov_b64_e32 v[8:9], 0x100000002
	v_mov_b64_e32 v[32:33], s[0:1]
	v_and_b32_e32 v2, 2, v3
	v_mov_b64_e32 v[10:11], v[0:1]
	s_mov_b32 s7, 0
	s_branch .LBB0_3
.LBB0_2:                                ;   in Loop: Header=BB0_3 Depth=1
	s_or_b32 exec_lo, exec_lo, s10
	v_sub_nc_u64_e32 v[4:5], v[4:5], v[34:35]
	v_add_nc_u64_e32 v[32:33], v[32:33], v[34:35]
	s_delay_alu instid0(VALU_DEP_2) | instskip(SKIP_1) | instid1(SALU_CYCLE_1)
	v_cmp_eq_u64_e32 vcc_lo, 0, v[4:5]
	s_or_b32 s7, vcc_lo, s7
	s_and_not1_b32 exec_lo, exec_lo, s7
	s_cbranch_execz .LBB0_85
.LBB0_3:                                ; =>This Loop Header: Depth=1
                                        ;     Child Loop BB0_6 Depth 2
                                        ;     Child Loop BB0_14 Depth 2
	;; [unrolled: 1-line block ×11, first 2 shown]
	v_min_u64 v[34:35], v[4:5], 56
	s_delay_alu instid0(VALU_DEP_3)
	v_add_nc_u64_e32 v[16:17], 8, v[32:33]
	s_mov_b32 s0, exec_lo
	v_cmpx_gt_u64_e32 8, v[4:5]
	s_xor_b32 s4, exec_lo, s0
	s_cbranch_execz .LBB0_9
; %bb.4:                                ;   in Loop: Header=BB0_3 Depth=1
	s_wait_loadcnt 0x0
	v_mov_b64_e32 v[12:13], 0
	s_mov_b32 s5, exec_lo
	v_cmpx_ne_u64_e32 0, v[4:5]
	s_cbranch_execz .LBB0_8
; %bb.5:                                ;   in Loop: Header=BB0_3 Depth=1
	v_mov_b64_e32 v[12:13], 0
	v_mov_b64_e32 v[14:15], v[32:33]
	v_lshlrev_b32_e32 v0, 3, v34
	s_mov_b64 s[0:1], 0
	s_mov_b32 s10, 0
.LBB0_6:                                ;   Parent Loop BB0_3 Depth=1
                                        ; =>  This Inner Loop Header: Depth=2
	global_load_u8 v6, v[14:15], off
	v_mov_b32_e32 v17, s6
	s_wait_xcnt 0x0
	v_add_nc_u64_e32 v[14:15], 1, v[14:15]
	s_wait_loadcnt 0x0
	v_and_b32_e32 v16, 0xffff, v6
	s_delay_alu instid0(VALU_DEP_1) | instskip(SKIP_1) | instid1(SALU_CYCLE_1)
	v_lshlrev_b64_e32 v[16:17], s0, v[16:17]
	s_add_nc_u64 s[0:1], s[0:1], 8
	v_cmp_eq_u32_e32 vcc_lo, s0, v0
	s_delay_alu instid0(VALU_DEP_2) | instskip(NEXT) | instid1(VALU_DEP_3)
	v_or_b32_e32 v13, v17, v13
	v_or_b32_e32 v12, v16, v12
	s_or_b32 s10, vcc_lo, s10
	s_delay_alu instid0(SALU_CYCLE_1)
	s_and_not1_b32 exec_lo, exec_lo, s10
	s_cbranch_execnz .LBB0_6
; %bb.7:                                ;   in Loop: Header=BB0_3 Depth=1
	s_or_b32 exec_lo, exec_lo, s10
.LBB0_8:                                ;   in Loop: Header=BB0_3 Depth=1
	s_delay_alu instid0(SALU_CYCLE_1)
	s_or_b32 exec_lo, exec_lo, s5
	v_mov_b64_e32 v[16:17], v[32:33]
.LBB0_9:                                ;   in Loop: Header=BB0_3 Depth=1
	s_or_saveexec_b32 s0, s4
	v_mov_b32_e32 v0, 0
	s_xor_b32 exec_lo, exec_lo, s0
	s_cbranch_execz .LBB0_11
; %bb.10:                               ;   in Loop: Header=BB0_3 Depth=1
	s_wait_loadcnt 0x0
	global_load_b64 v[12:13], v[32:33], off
	v_add_nc_u32_e32 v0, -8, v34
.LBB0_11:                               ;   in Loop: Header=BB0_3 Depth=1
	s_wait_xcnt 0x0
	s_or_b32 exec_lo, exec_lo, s0
	v_add_nc_u64_e32 v[18:19], 8, v[16:17]
                                        ; implicit-def: $vgpr14_vgpr15
	s_mov_b32 s0, exec_lo
	v_cmpx_gt_u32_e32 8, v0
	s_xor_b32 s10, exec_lo, s0
	s_cbranch_execz .LBB0_17
; %bb.12:                               ;   in Loop: Header=BB0_3 Depth=1
	v_mov_b64_e32 v[14:15], 0
	s_mov_b32 s11, exec_lo
	v_cmpx_ne_u32_e32 0, v0
	s_cbranch_execz .LBB0_16
; %bb.13:                               ;   in Loop: Header=BB0_3 Depth=1
	v_mov_b64_e32 v[14:15], 0
	s_mov_b64 s[0:1], 0
	s_mov_b32 s12, 0
	s_mov_b64 s[4:5], 0
.LBB0_14:                               ;   Parent Loop BB0_3 Depth=1
                                        ; =>  This Inner Loop Header: Depth=2
	s_delay_alu instid0(SALU_CYCLE_1) | instskip(SKIP_1) | instid1(SALU_CYCLE_1)
	v_add_nc_u64_e32 v[18:19], s[4:5], v[16:17]
	s_add_nc_u64 s[4:5], s[4:5], 1
	v_cmp_eq_u32_e32 vcc_lo, s4, v0
	global_load_u8 v6, v[18:19], off
	s_wait_xcnt 0x0
	v_mov_b32_e32 v19, s6
	s_or_b32 s12, vcc_lo, s12
	s_wait_loadcnt 0x0
	v_and_b32_e32 v18, 0xffff, v6
	s_delay_alu instid0(VALU_DEP_1) | instskip(SKIP_1) | instid1(VALU_DEP_1)
	v_lshlrev_b64_e32 v[18:19], s0, v[18:19]
	s_add_nc_u64 s[0:1], s[0:1], 8
	v_or_b32_e32 v15, v19, v15
	s_delay_alu instid0(VALU_DEP_2)
	v_or_b32_e32 v14, v18, v14
	s_and_not1_b32 exec_lo, exec_lo, s12
	s_cbranch_execnz .LBB0_14
; %bb.15:                               ;   in Loop: Header=BB0_3 Depth=1
	s_or_b32 exec_lo, exec_lo, s12
.LBB0_16:                               ;   in Loop: Header=BB0_3 Depth=1
	s_delay_alu instid0(SALU_CYCLE_1)
	s_or_b32 exec_lo, exec_lo, s11
	v_mov_b64_e32 v[18:19], v[16:17]
                                        ; implicit-def: $vgpr0
.LBB0_17:                               ;   in Loop: Header=BB0_3 Depth=1
	s_or_saveexec_b32 s0, s10
	v_mov_b32_e32 v6, 0
	s_xor_b32 exec_lo, exec_lo, s0
	s_cbranch_execz .LBB0_19
; %bb.18:                               ;   in Loop: Header=BB0_3 Depth=1
	global_load_b64 v[14:15], v[16:17], off
	v_add_nc_u32_e32 v6, -8, v0
.LBB0_19:                               ;   in Loop: Header=BB0_3 Depth=1
	s_wait_xcnt 0x0
	s_or_b32 exec_lo, exec_lo, s0
	v_add_nc_u64_e32 v[20:21], 8, v[18:19]
	s_mov_b32 s0, exec_lo
	v_cmpx_gt_u32_e32 8, v6
	s_xor_b32 s10, exec_lo, s0
	s_cbranch_execz .LBB0_25
; %bb.20:                               ;   in Loop: Header=BB0_3 Depth=1
	v_mov_b64_e32 v[16:17], 0
	s_mov_b32 s11, exec_lo
	v_cmpx_ne_u32_e32 0, v6
	s_cbranch_execz .LBB0_24
; %bb.21:                               ;   in Loop: Header=BB0_3 Depth=1
	v_mov_b64_e32 v[16:17], 0
	s_mov_b64 s[0:1], 0
	s_mov_b32 s12, 0
	s_mov_b64 s[4:5], 0
.LBB0_22:                               ;   Parent Loop BB0_3 Depth=1
                                        ; =>  This Inner Loop Header: Depth=2
	s_delay_alu instid0(SALU_CYCLE_1) | instskip(SKIP_1) | instid1(SALU_CYCLE_1)
	v_add_nc_u64_e32 v[20:21], s[4:5], v[18:19]
	s_add_nc_u64 s[4:5], s[4:5], 1
	v_cmp_eq_u32_e32 vcc_lo, s4, v6
	global_load_u8 v0, v[20:21], off
	s_wait_xcnt 0x0
	v_mov_b32_e32 v21, s6
	s_or_b32 s12, vcc_lo, s12
	s_wait_loadcnt 0x0
	v_and_b32_e32 v20, 0xffff, v0
	s_delay_alu instid0(VALU_DEP_1) | instskip(SKIP_1) | instid1(VALU_DEP_1)
	v_lshlrev_b64_e32 v[20:21], s0, v[20:21]
	s_add_nc_u64 s[0:1], s[0:1], 8
	v_or_b32_e32 v17, v21, v17
	s_delay_alu instid0(VALU_DEP_2)
	v_or_b32_e32 v16, v20, v16
	s_and_not1_b32 exec_lo, exec_lo, s12
	s_cbranch_execnz .LBB0_22
; %bb.23:                               ;   in Loop: Header=BB0_3 Depth=1
	s_or_b32 exec_lo, exec_lo, s12
.LBB0_24:                               ;   in Loop: Header=BB0_3 Depth=1
	s_delay_alu instid0(SALU_CYCLE_1)
	s_or_b32 exec_lo, exec_lo, s11
	v_mov_b64_e32 v[20:21], v[18:19]
                                        ; implicit-def: $vgpr6
.LBB0_25:                               ;   in Loop: Header=BB0_3 Depth=1
	s_or_saveexec_b32 s0, s10
	v_mov_b32_e32 v0, 0
	s_xor_b32 exec_lo, exec_lo, s0
	s_cbranch_execz .LBB0_27
; %bb.26:                               ;   in Loop: Header=BB0_3 Depth=1
	global_load_b64 v[16:17], v[18:19], off
	v_add_nc_u32_e32 v0, -8, v6
.LBB0_27:                               ;   in Loop: Header=BB0_3 Depth=1
	s_wait_xcnt 0x0
	s_or_b32 exec_lo, exec_lo, s0
	v_add_nc_u64_e32 v[22:23], 8, v[20:21]
                                        ; implicit-def: $vgpr18_vgpr19
	s_mov_b32 s0, exec_lo
	v_cmpx_gt_u32_e32 8, v0
	s_xor_b32 s10, exec_lo, s0
	s_cbranch_execz .LBB0_33
; %bb.28:                               ;   in Loop: Header=BB0_3 Depth=1
	v_mov_b64_e32 v[18:19], 0
	s_mov_b32 s11, exec_lo
	v_cmpx_ne_u32_e32 0, v0
	s_cbranch_execz .LBB0_32
; %bb.29:                               ;   in Loop: Header=BB0_3 Depth=1
	v_mov_b64_e32 v[18:19], 0
	s_mov_b64 s[0:1], 0
	s_mov_b32 s12, 0
	s_mov_b64 s[4:5], 0
.LBB0_30:                               ;   Parent Loop BB0_3 Depth=1
                                        ; =>  This Inner Loop Header: Depth=2
	s_delay_alu instid0(SALU_CYCLE_1) | instskip(SKIP_1) | instid1(SALU_CYCLE_1)
	v_add_nc_u64_e32 v[22:23], s[4:5], v[20:21]
	s_add_nc_u64 s[4:5], s[4:5], 1
	v_cmp_eq_u32_e32 vcc_lo, s4, v0
	global_load_u8 v6, v[22:23], off
	s_wait_xcnt 0x0
	v_mov_b32_e32 v23, s6
	s_or_b32 s12, vcc_lo, s12
	s_wait_loadcnt 0x0
	v_and_b32_e32 v22, 0xffff, v6
	s_delay_alu instid0(VALU_DEP_1) | instskip(SKIP_1) | instid1(VALU_DEP_1)
	v_lshlrev_b64_e32 v[22:23], s0, v[22:23]
	s_add_nc_u64 s[0:1], s[0:1], 8
	v_or_b32_e32 v19, v23, v19
	s_delay_alu instid0(VALU_DEP_2)
	v_or_b32_e32 v18, v22, v18
	s_and_not1_b32 exec_lo, exec_lo, s12
	s_cbranch_execnz .LBB0_30
; %bb.31:                               ;   in Loop: Header=BB0_3 Depth=1
	s_or_b32 exec_lo, exec_lo, s12
.LBB0_32:                               ;   in Loop: Header=BB0_3 Depth=1
	s_delay_alu instid0(SALU_CYCLE_1)
	s_or_b32 exec_lo, exec_lo, s11
	v_mov_b64_e32 v[22:23], v[20:21]
                                        ; implicit-def: $vgpr0
.LBB0_33:                               ;   in Loop: Header=BB0_3 Depth=1
	s_or_saveexec_b32 s0, s10
	v_mov_b32_e32 v6, 0
	s_xor_b32 exec_lo, exec_lo, s0
	s_cbranch_execz .LBB0_35
; %bb.34:                               ;   in Loop: Header=BB0_3 Depth=1
	global_load_b64 v[18:19], v[20:21], off
	v_add_nc_u32_e32 v6, -8, v0
.LBB0_35:                               ;   in Loop: Header=BB0_3 Depth=1
	s_wait_xcnt 0x0
	s_or_b32 exec_lo, exec_lo, s0
	v_add_nc_u64_e32 v[24:25], 8, v[22:23]
	s_mov_b32 s0, exec_lo
	v_cmpx_gt_u32_e32 8, v6
	s_xor_b32 s10, exec_lo, s0
	s_cbranch_execz .LBB0_41
; %bb.36:                               ;   in Loop: Header=BB0_3 Depth=1
	v_mov_b64_e32 v[20:21], 0
	s_mov_b32 s11, exec_lo
	v_cmpx_ne_u32_e32 0, v6
	s_cbranch_execz .LBB0_40
; %bb.37:                               ;   in Loop: Header=BB0_3 Depth=1
	v_mov_b64_e32 v[20:21], 0
	s_mov_b64 s[0:1], 0
	s_mov_b32 s12, 0
	s_mov_b64 s[4:5], 0
.LBB0_38:                               ;   Parent Loop BB0_3 Depth=1
                                        ; =>  This Inner Loop Header: Depth=2
	s_delay_alu instid0(SALU_CYCLE_1) | instskip(SKIP_1) | instid1(SALU_CYCLE_1)
	v_add_nc_u64_e32 v[24:25], s[4:5], v[22:23]
	s_add_nc_u64 s[4:5], s[4:5], 1
	v_cmp_eq_u32_e32 vcc_lo, s4, v6
	global_load_u8 v0, v[24:25], off
	s_wait_xcnt 0x0
	v_mov_b32_e32 v25, s6
	s_or_b32 s12, vcc_lo, s12
	s_wait_loadcnt 0x0
	v_and_b32_e32 v24, 0xffff, v0
	s_delay_alu instid0(VALU_DEP_1) | instskip(SKIP_1) | instid1(VALU_DEP_1)
	v_lshlrev_b64_e32 v[24:25], s0, v[24:25]
	s_add_nc_u64 s[0:1], s[0:1], 8
	v_or_b32_e32 v21, v25, v21
	s_delay_alu instid0(VALU_DEP_2)
	v_or_b32_e32 v20, v24, v20
	s_and_not1_b32 exec_lo, exec_lo, s12
	s_cbranch_execnz .LBB0_38
; %bb.39:                               ;   in Loop: Header=BB0_3 Depth=1
	s_or_b32 exec_lo, exec_lo, s12
.LBB0_40:                               ;   in Loop: Header=BB0_3 Depth=1
	s_delay_alu instid0(SALU_CYCLE_1)
	s_or_b32 exec_lo, exec_lo, s11
	v_mov_b64_e32 v[24:25], v[22:23]
                                        ; implicit-def: $vgpr6
.LBB0_41:                               ;   in Loop: Header=BB0_3 Depth=1
	s_or_saveexec_b32 s0, s10
	v_mov_b32_e32 v0, 0
	s_xor_b32 exec_lo, exec_lo, s0
	s_cbranch_execz .LBB0_43
; %bb.42:                               ;   in Loop: Header=BB0_3 Depth=1
	global_load_b64 v[20:21], v[22:23], off
	v_add_nc_u32_e32 v0, -8, v6
.LBB0_43:                               ;   in Loop: Header=BB0_3 Depth=1
	s_wait_xcnt 0x0
	s_or_b32 exec_lo, exec_lo, s0
	v_add_nc_u64_e32 v[26:27], 8, v[24:25]
                                        ; implicit-def: $vgpr22_vgpr23
	s_mov_b32 s0, exec_lo
	v_cmpx_gt_u32_e32 8, v0
	s_xor_b32 s10, exec_lo, s0
	s_cbranch_execz .LBB0_49
; %bb.44:                               ;   in Loop: Header=BB0_3 Depth=1
	v_mov_b64_e32 v[22:23], 0
	s_mov_b32 s11, exec_lo
	v_cmpx_ne_u32_e32 0, v0
	s_cbranch_execz .LBB0_48
; %bb.45:                               ;   in Loop: Header=BB0_3 Depth=1
	v_mov_b64_e32 v[22:23], 0
	s_mov_b64 s[0:1], 0
	s_mov_b32 s12, 0
	s_mov_b64 s[4:5], 0
.LBB0_46:                               ;   Parent Loop BB0_3 Depth=1
                                        ; =>  This Inner Loop Header: Depth=2
	s_delay_alu instid0(SALU_CYCLE_1) | instskip(SKIP_1) | instid1(SALU_CYCLE_1)
	v_add_nc_u64_e32 v[26:27], s[4:5], v[24:25]
	s_add_nc_u64 s[4:5], s[4:5], 1
	v_cmp_eq_u32_e32 vcc_lo, s4, v0
	global_load_u8 v6, v[26:27], off
	s_wait_xcnt 0x0
	v_mov_b32_e32 v27, s6
	s_or_b32 s12, vcc_lo, s12
	s_wait_loadcnt 0x0
	v_and_b32_e32 v26, 0xffff, v6
	s_delay_alu instid0(VALU_DEP_1) | instskip(SKIP_1) | instid1(VALU_DEP_1)
	v_lshlrev_b64_e32 v[26:27], s0, v[26:27]
	s_add_nc_u64 s[0:1], s[0:1], 8
	v_or_b32_e32 v23, v27, v23
	s_delay_alu instid0(VALU_DEP_2)
	v_or_b32_e32 v22, v26, v22
	s_and_not1_b32 exec_lo, exec_lo, s12
	s_cbranch_execnz .LBB0_46
; %bb.47:                               ;   in Loop: Header=BB0_3 Depth=1
	s_or_b32 exec_lo, exec_lo, s12
.LBB0_48:                               ;   in Loop: Header=BB0_3 Depth=1
	s_delay_alu instid0(SALU_CYCLE_1)
	s_or_b32 exec_lo, exec_lo, s11
	v_mov_b64_e32 v[26:27], v[24:25]
                                        ; implicit-def: $vgpr0
.LBB0_49:                               ;   in Loop: Header=BB0_3 Depth=1
	s_or_saveexec_b32 s0, s10
	v_mov_b32_e32 v6, 0
	s_xor_b32 exec_lo, exec_lo, s0
	s_cbranch_execz .LBB0_51
; %bb.50:                               ;   in Loop: Header=BB0_3 Depth=1
	global_load_b64 v[22:23], v[24:25], off
	v_add_nc_u32_e32 v6, -8, v0
.LBB0_51:                               ;   in Loop: Header=BB0_3 Depth=1
	s_wait_xcnt 0x0
	s_or_b32 exec_lo, exec_lo, s0
	s_delay_alu instid0(SALU_CYCLE_1) | instskip(NEXT) | instid1(VALU_DEP_1)
	s_mov_b32 s0, exec_lo
	v_cmpx_gt_u32_e32 8, v6
	s_xor_b32 s4, exec_lo, s0
	s_cbranch_execz .LBB0_57
; %bb.52:                               ;   in Loop: Header=BB0_3 Depth=1
	v_mov_b64_e32 v[24:25], 0
	s_mov_b32 s5, exec_lo
	v_cmpx_ne_u32_e32 0, v6
	s_cbranch_execz .LBB0_56
; %bb.53:                               ;   in Loop: Header=BB0_3 Depth=1
	v_mov_b64_e32 v[24:25], 0
	s_mov_b64 s[0:1], 0
	s_mov_b32 s10, 0
.LBB0_54:                               ;   Parent Loop BB0_3 Depth=1
                                        ; =>  This Inner Loop Header: Depth=2
	global_load_u8 v0, v[26:27], off
	v_dual_mov_b32 v29, s6 :: v_dual_add_nc_u32 v6, -1, v6
	s_wait_xcnt 0x0
	v_add_nc_u64_e32 v[26:27], 1, v[26:27]
	s_delay_alu instid0(VALU_DEP_2) | instskip(SKIP_3) | instid1(VALU_DEP_1)
	v_cmp_eq_u32_e32 vcc_lo, 0, v6
	s_or_b32 s10, vcc_lo, s10
	s_wait_loadcnt 0x0
	v_and_b32_e32 v28, 0xffff, v0
	v_lshlrev_b64_e32 v[28:29], s0, v[28:29]
	s_add_nc_u64 s[0:1], s[0:1], 8
	s_delay_alu instid0(VALU_DEP_1) | instskip(NEXT) | instid1(VALU_DEP_2)
	v_or_b32_e32 v25, v29, v25
	v_or_b32_e32 v24, v28, v24
	s_and_not1_b32 exec_lo, exec_lo, s10
	s_cbranch_execnz .LBB0_54
; %bb.55:                               ;   in Loop: Header=BB0_3 Depth=1
	s_or_b32 exec_lo, exec_lo, s10
.LBB0_56:                               ;   in Loop: Header=BB0_3 Depth=1
	s_delay_alu instid0(SALU_CYCLE_1)
	s_or_b32 exec_lo, exec_lo, s5
                                        ; implicit-def: $vgpr26_vgpr27
.LBB0_57:                               ;   in Loop: Header=BB0_3 Depth=1
	s_and_not1_saveexec_b32 s0, s4
	s_cbranch_execz .LBB0_59
; %bb.58:                               ;   in Loop: Header=BB0_3 Depth=1
	global_load_b64 v[24:25], v[26:27], off
.LBB0_59:                               ;   in Loop: Header=BB0_3 Depth=1
	s_wait_xcnt 0x0
	s_or_b32 exec_lo, exec_lo, s0
	v_readfirstlane_b32 s0, v30
	v_mov_b64_e32 v[36:37], 0
	s_delay_alu instid0(VALU_DEP_2)
	v_cmp_eq_u32_e64 s0, s0, v30
	s_and_saveexec_b32 s1, s0
	s_cbranch_execz .LBB0_65
; %bb.60:                               ;   in Loop: Header=BB0_3 Depth=1
	s_wait_kmcnt 0x0
	global_load_b64 v[28:29], v7, s[2:3] offset:24 scope:SCOPE_SYS
	s_wait_loadcnt 0x0
	global_inv scope:SCOPE_SYS
	s_clause 0x1
	global_load_b64 v[26:27], v7, s[2:3] offset:40
	global_load_b64 v[36:37], v7, s[2:3]
	s_mov_b32 s4, exec_lo
	s_wait_loadcnt 0x1
	v_and_b32_e32 v26, v26, v28
	v_and_b32_e32 v27, v27, v29
	s_delay_alu instid0(VALU_DEP_1) | instskip(SKIP_1) | instid1(VALU_DEP_1)
	v_mul_u64_e32 v[26:27], 24, v[26:27]
	s_wait_loadcnt 0x0
	v_add_nc_u64_e32 v[26:27], v[36:37], v[26:27]
	global_load_b64 v[26:27], v[26:27], off scope:SCOPE_SYS
	s_wait_xcnt 0x0
	s_wait_loadcnt 0x0
	global_atomic_cmpswap_b64 v[36:37], v7, v[26:29], s[2:3] offset:24 th:TH_ATOMIC_RETURN scope:SCOPE_SYS
	s_wait_loadcnt 0x0
	global_inv scope:SCOPE_SYS
	s_wait_xcnt 0x0
	v_cmpx_ne_u64_e64 v[36:37], v[28:29]
	s_cbranch_execz .LBB0_64
; %bb.61:                               ;   in Loop: Header=BB0_3 Depth=1
	s_mov_b32 s5, 0
.LBB0_62:                               ;   Parent Loop BB0_3 Depth=1
                                        ; =>  This Inner Loop Header: Depth=2
	s_sleep 1
	s_clause 0x1
	global_load_b64 v[26:27], v7, s[2:3] offset:40
	global_load_b64 v[38:39], v7, s[2:3]
	v_mov_b64_e32 v[28:29], v[36:37]
	s_wait_loadcnt 0x1
	s_delay_alu instid0(VALU_DEP_1) | instskip(SKIP_1) | instid1(VALU_DEP_1)
	v_and_b32_e32 v0, v26, v28
	s_wait_loadcnt 0x0
	v_mad_nc_u64_u32 v[36:37], v0, 24, v[38:39]
	s_delay_alu instid0(VALU_DEP_3) | instskip(NEXT) | instid1(VALU_DEP_1)
	v_and_b32_e32 v0, v27, v29
	v_mad_u32 v37, v0, 24, v37
	global_load_b64 v[26:27], v[36:37], off scope:SCOPE_SYS
	s_wait_xcnt 0x0
	s_wait_loadcnt 0x0
	global_atomic_cmpswap_b64 v[36:37], v7, v[26:29], s[2:3] offset:24 th:TH_ATOMIC_RETURN scope:SCOPE_SYS
	s_wait_loadcnt 0x0
	global_inv scope:SCOPE_SYS
	v_cmp_eq_u64_e32 vcc_lo, v[36:37], v[28:29]
	s_or_b32 s5, vcc_lo, s5
	s_wait_xcnt 0x0
	s_and_not1_b32 exec_lo, exec_lo, s5
	s_cbranch_execnz .LBB0_62
; %bb.63:                               ;   in Loop: Header=BB0_3 Depth=1
	s_or_b32 exec_lo, exec_lo, s5
.LBB0_64:                               ;   in Loop: Header=BB0_3 Depth=1
	s_delay_alu instid0(SALU_CYCLE_1)
	s_or_b32 exec_lo, exec_lo, s4
.LBB0_65:                               ;   in Loop: Header=BB0_3 Depth=1
	s_delay_alu instid0(SALU_CYCLE_1)
	s_or_b32 exec_lo, exec_lo, s1
	s_wait_kmcnt 0x0
	s_clause 0x1
	global_load_b64 v[38:39], v7, s[2:3] offset:40
	global_load_b128 v[26:29], v7, s[2:3]
	v_readfirstlane_b32 s4, v36
	v_readfirstlane_b32 s5, v37
	s_mov_b32 s1, exec_lo
	s_wait_loadcnt 0x1
	v_and_b32_e32 v38, s4, v38
	v_and_b32_e32 v39, s5, v39
	s_delay_alu instid0(VALU_DEP_1) | instskip(SKIP_1) | instid1(VALU_DEP_1)
	v_mul_u64_e32 v[36:37], 24, v[38:39]
	s_wait_loadcnt 0x0
	v_add_nc_u64_e32 v[36:37], v[26:27], v[36:37]
	s_wait_xcnt 0x0
	s_and_saveexec_b32 s10, s0
	s_cbranch_execz .LBB0_67
; %bb.66:                               ;   in Loop: Header=BB0_3 Depth=1
	v_mov_b32_e32 v6, s1
	global_store_b128 v[36:37], v[6:9], off offset:8
.LBB0_67:                               ;   in Loop: Header=BB0_3 Depth=1
	s_wait_xcnt 0x0
	s_or_b32 exec_lo, exec_lo, s10
	v_cmp_gt_u64_e32 vcc_lo, 57, v[4:5]
	v_lshlrev_b64_e32 v[38:39], 12, v[38:39]
	v_and_b32_e32 v6, 0xffffff1f, v10
	v_lshl_add_u32 v10, v34, 2, 28
	v_cndmask_b32_e32 v0, 0, v2, vcc_lo
	s_delay_alu instid0(VALU_DEP_4) | instskip(NEXT) | instid1(VALU_DEP_2)
	v_add_nc_u64_e32 v[28:29], v[28:29], v[38:39]
	v_dual_lshlrev_b32 v6, 6, v30 :: v_dual_bitop2_b32 v0, v6, v0 bitop3:0x54
	s_delay_alu instid0(VALU_DEP_2) | instskip(NEXT) | instid1(VALU_DEP_3)
	v_readfirstlane_b32 s10, v28
	v_readfirstlane_b32 s11, v29
	s_delay_alu instid0(VALU_DEP_3)
	v_and_or_b32 v10, 0x1e0, v10, v0
	s_clause 0x3
	global_store_b128 v6, v[10:13], s[10:11]
	global_store_b128 v6, v[14:17], s[10:11] offset:16
	global_store_b128 v6, v[18:21], s[10:11] offset:32
	;; [unrolled: 1-line block ×3, first 2 shown]
	s_wait_xcnt 0x0
	s_and_saveexec_b32 s1, s0
	s_cbranch_execz .LBB0_75
; %bb.68:                               ;   in Loop: Header=BB0_3 Depth=1
	s_clause 0x1
	global_load_b64 v[18:19], v7, s[2:3] offset:32 scope:SCOPE_SYS
	global_load_b64 v[10:11], v7, s[2:3] offset:40
	s_mov_b32 s10, exec_lo
	v_dual_mov_b32 v16, s4 :: v_dual_mov_b32 v17, s5
	s_wait_loadcnt 0x0
	v_and_b32_e32 v11, s5, v11
	v_and_b32_e32 v10, s4, v10
	s_delay_alu instid0(VALU_DEP_1) | instskip(NEXT) | instid1(VALU_DEP_1)
	v_mul_u64_e32 v[10:11], 24, v[10:11]
	v_add_nc_u64_e32 v[14:15], v[26:27], v[10:11]
	global_store_b64 v[14:15], v[18:19], off
	global_wb scope:SCOPE_SYS
	s_wait_storecnt 0x0
	s_wait_xcnt 0x0
	global_atomic_cmpswap_b64 v[12:13], v7, v[16:19], s[2:3] offset:32 th:TH_ATOMIC_RETURN scope:SCOPE_SYS
	s_wait_loadcnt 0x0
	v_cmpx_ne_u64_e64 v[12:13], v[18:19]
	s_cbranch_execz .LBB0_71
; %bb.69:                               ;   in Loop: Header=BB0_3 Depth=1
	s_mov_b32 s11, 0
.LBB0_70:                               ;   Parent Loop BB0_3 Depth=1
                                        ; =>  This Inner Loop Header: Depth=2
	v_dual_mov_b32 v10, s4 :: v_dual_mov_b32 v11, s5
	s_sleep 1
	global_store_b64 v[14:15], v[12:13], off
	global_wb scope:SCOPE_SYS
	s_wait_storecnt 0x0
	s_wait_xcnt 0x0
	global_atomic_cmpswap_b64 v[10:11], v7, v[10:13], s[2:3] offset:32 th:TH_ATOMIC_RETURN scope:SCOPE_SYS
	s_wait_loadcnt 0x0
	v_cmp_eq_u64_e32 vcc_lo, v[10:11], v[12:13]
	v_mov_b64_e32 v[12:13], v[10:11]
	s_or_b32 s11, vcc_lo, s11
	s_delay_alu instid0(SALU_CYCLE_1)
	s_and_not1_b32 exec_lo, exec_lo, s11
	s_cbranch_execnz .LBB0_70
.LBB0_71:                               ;   in Loop: Header=BB0_3 Depth=1
	s_or_b32 exec_lo, exec_lo, s10
	global_load_b64 v[10:11], v7, s[2:3] offset:16
	s_mov_b32 s11, exec_lo
	s_mov_b32 s10, exec_lo
	v_mbcnt_lo_u32_b32 v0, s11, 0
	s_wait_xcnt 0x0
	s_delay_alu instid0(VALU_DEP_1)
	v_cmpx_eq_u32_e32 0, v0
	s_cbranch_execz .LBB0_73
; %bb.72:                               ;   in Loop: Header=BB0_3 Depth=1
	s_bcnt1_i32_b32 s11, s11
	s_delay_alu instid0(SALU_CYCLE_1)
	v_dual_mov_b32 v13, v7 :: v_dual_mov_b32 v12, s11
	global_wb scope:SCOPE_SYS
	s_wait_loadcnt 0x0
	s_wait_storecnt 0x0
	global_atomic_add_u64 v[10:11], v[12:13], off offset:8 scope:SCOPE_SYS
.LBB0_73:                               ;   in Loop: Header=BB0_3 Depth=1
	s_wait_xcnt 0x0
	s_or_b32 exec_lo, exec_lo, s10
	s_wait_loadcnt 0x0
	global_load_b64 v[12:13], v[10:11], off offset:16
	s_wait_loadcnt 0x0
	v_cmp_eq_u64_e32 vcc_lo, 0, v[12:13]
	s_cbranch_vccnz .LBB0_75
; %bb.74:                               ;   in Loop: Header=BB0_3 Depth=1
	global_load_b32 v10, v[10:11], off offset:24
	s_wait_xcnt 0x0
	v_mov_b32_e32 v11, v7
	s_wait_loadcnt 0x0
	v_readfirstlane_b32 s10, v10
	global_wb scope:SCOPE_SYS
	s_wait_storecnt 0x0
	global_store_b64 v[12:13], v[10:11], off scope:SCOPE_SYS
	s_and_b32 m0, s10, 0xffffff
	s_sendmsg sendmsg(MSG_INTERRUPT)
.LBB0_75:                               ;   in Loop: Header=BB0_3 Depth=1
	s_wait_xcnt 0x0
	s_or_b32 exec_lo, exec_lo, s1
	v_add_nc_u64_e32 v[10:11], v[28:29], v[6:7]
	s_branch .LBB0_79
.LBB0_76:                               ;   in Loop: Header=BB0_79 Depth=2
	s_wait_xcnt 0x0
	s_or_b32 exec_lo, exec_lo, s1
	s_delay_alu instid0(VALU_DEP_1)
	v_readfirstlane_b32 s1, v0
	s_cmp_eq_u32 s1, 0
	s_cbranch_scc1 .LBB0_78
; %bb.77:                               ;   in Loop: Header=BB0_79 Depth=2
	s_sleep 1
	s_cbranch_execnz .LBB0_79
	s_branch .LBB0_81
.LBB0_78:                               ;   in Loop: Header=BB0_3 Depth=1
	s_branch .LBB0_81
.LBB0_79:                               ;   Parent Loop BB0_3 Depth=1
                                        ; =>  This Inner Loop Header: Depth=2
	v_mov_b32_e32 v0, 1
	s_and_saveexec_b32 s1, s0
	s_cbranch_execz .LBB0_76
; %bb.80:                               ;   in Loop: Header=BB0_79 Depth=2
	global_load_b32 v0, v[36:37], off offset:20 scope:SCOPE_SYS
	s_wait_loadcnt 0x0
	global_inv scope:SCOPE_SYS
	v_and_b32_e32 v0, 1, v0
	s_branch .LBB0_76
.LBB0_81:                               ;   in Loop: Header=BB0_3 Depth=1
	global_load_b128 v[10:13], v[10:11], off
	s_wait_xcnt 0x0
	s_and_saveexec_b32 s10, s0
	s_cbranch_execz .LBB0_2
; %bb.82:                               ;   in Loop: Header=BB0_3 Depth=1
	s_wait_loadcnt 0x0
	s_clause 0x2
	global_load_b64 v[12:13], v7, s[2:3] offset:40
	global_load_b64 v[20:21], v7, s[2:3] offset:24 scope:SCOPE_SYS
	global_load_b64 v[14:15], v7, s[2:3]
	s_wait_loadcnt 0x2
	v_readfirstlane_b32 s12, v12
	v_readfirstlane_b32 s13, v13
	s_add_nc_u64 s[0:1], s[12:13], 1
	s_delay_alu instid0(SALU_CYCLE_1) | instskip(NEXT) | instid1(SALU_CYCLE_1)
	s_add_nc_u64 s[4:5], s[0:1], s[4:5]
	s_cmp_eq_u64 s[4:5], 0
	s_cselect_b32 s1, s1, s5
	s_cselect_b32 s0, s0, s4
	s_delay_alu instid0(SALU_CYCLE_1) | instskip(SKIP_1) | instid1(SALU_CYCLE_1)
	v_dual_mov_b32 v19, s1 :: v_dual_mov_b32 v18, s0
	s_and_b64 s[4:5], s[0:1], s[12:13]
	s_mul_u64 s[4:5], s[4:5], 24
	s_wait_loadcnt 0x0
	v_add_nc_u64_e32 v[16:17], s[4:5], v[14:15]
	global_store_b64 v[16:17], v[20:21], off
	global_wb scope:SCOPE_SYS
	s_wait_storecnt 0x0
	s_wait_xcnt 0x0
	global_atomic_cmpswap_b64 v[14:15], v7, v[18:21], s[2:3] offset:24 th:TH_ATOMIC_RETURN scope:SCOPE_SYS
	s_wait_loadcnt 0x0
	v_cmp_ne_u64_e32 vcc_lo, v[14:15], v[20:21]
	s_and_b32 exec_lo, exec_lo, vcc_lo
	s_cbranch_execz .LBB0_2
; %bb.83:                               ;   in Loop: Header=BB0_3 Depth=1
	s_mov_b32 s4, 0
.LBB0_84:                               ;   Parent Loop BB0_3 Depth=1
                                        ; =>  This Inner Loop Header: Depth=2
	v_dual_mov_b32 v12, s0 :: v_dual_mov_b32 v13, s1
	s_sleep 1
	global_store_b64 v[16:17], v[14:15], off
	global_wb scope:SCOPE_SYS
	s_wait_storecnt 0x0
	s_wait_xcnt 0x0
	global_atomic_cmpswap_b64 v[12:13], v7, v[12:15], s[2:3] offset:24 th:TH_ATOMIC_RETURN scope:SCOPE_SYS
	s_wait_loadcnt 0x0
	v_cmp_eq_u64_e32 vcc_lo, v[12:13], v[14:15]
	v_mov_b64_e32 v[14:15], v[12:13]
	s_or_b32 s4, vcc_lo, s4
	s_delay_alu instid0(SALU_CYCLE_1)
	s_and_not1_b32 exec_lo, exec_lo, s4
	s_cbranch_execnz .LBB0_84
	s_branch .LBB0_2
.LBB0_85:
	s_or_b32 exec_lo, exec_lo, s7
	s_branch .LBB0_114
.LBB0_86:
	s_load_b64 s[2:3], s[8:9], 0x50
	v_readfirstlane_b32 s0, v30
	v_mov_b64_e32 v[8:9], 0
	s_delay_alu instid0(VALU_DEP_2)
	v_cmp_eq_u32_e64 s0, s0, v30
	s_and_saveexec_b32 s1, s0
	s_cbranch_execz .LBB0_92
; %bb.87:
	v_mov_b32_e32 v0, 0
	s_mov_b32 s4, exec_lo
	s_wait_kmcnt 0x0
	global_load_b64 v[6:7], v0, s[2:3] offset:24 scope:SCOPE_SYS
	s_wait_loadcnt 0x0
	global_inv scope:SCOPE_SYS
	s_clause 0x1
	global_load_b64 v[4:5], v0, s[2:3] offset:40
	global_load_b64 v[8:9], v0, s[2:3]
	s_wait_loadcnt 0x1
	v_and_b32_e32 v4, v4, v6
	v_and_b32_e32 v5, v5, v7
	s_delay_alu instid0(VALU_DEP_1) | instskip(SKIP_1) | instid1(VALU_DEP_1)
	v_mul_u64_e32 v[4:5], 24, v[4:5]
	s_wait_loadcnt 0x0
	v_add_nc_u64_e32 v[4:5], v[8:9], v[4:5]
	global_load_b64 v[4:5], v[4:5], off scope:SCOPE_SYS
	s_wait_xcnt 0x0
	s_wait_loadcnt 0x0
	global_atomic_cmpswap_b64 v[8:9], v0, v[4:7], s[2:3] offset:24 th:TH_ATOMIC_RETURN scope:SCOPE_SYS
	s_wait_loadcnt 0x0
	global_inv scope:SCOPE_SYS
	s_wait_xcnt 0x0
	v_cmpx_ne_u64_e64 v[8:9], v[6:7]
	s_cbranch_execz .LBB0_91
; %bb.88:
	s_mov_b32 s5, 0
.LBB0_89:                               ; =>This Inner Loop Header: Depth=1
	s_sleep 1
	s_clause 0x1
	global_load_b64 v[4:5], v0, s[2:3] offset:40
	global_load_b64 v[10:11], v0, s[2:3]
	v_mov_b64_e32 v[6:7], v[8:9]
	s_wait_loadcnt 0x1
	s_delay_alu instid0(VALU_DEP_1) | instskip(SKIP_1) | instid1(VALU_DEP_1)
	v_and_b32_e32 v2, v4, v6
	s_wait_loadcnt 0x0
	v_mad_nc_u64_u32 v[8:9], v2, 24, v[10:11]
	s_delay_alu instid0(VALU_DEP_3) | instskip(NEXT) | instid1(VALU_DEP_1)
	v_and_b32_e32 v2, v5, v7
	v_mad_u32 v9, v2, 24, v9
	global_load_b64 v[4:5], v[8:9], off scope:SCOPE_SYS
	s_wait_xcnt 0x0
	s_wait_loadcnt 0x0
	global_atomic_cmpswap_b64 v[8:9], v0, v[4:7], s[2:3] offset:24 th:TH_ATOMIC_RETURN scope:SCOPE_SYS
	s_wait_loadcnt 0x0
	global_inv scope:SCOPE_SYS
	v_cmp_eq_u64_e32 vcc_lo, v[8:9], v[6:7]
	s_or_b32 s5, vcc_lo, s5
	s_wait_xcnt 0x0
	s_and_not1_b32 exec_lo, exec_lo, s5
	s_cbranch_execnz .LBB0_89
; %bb.90:
	s_or_b32 exec_lo, exec_lo, s5
.LBB0_91:
	s_delay_alu instid0(SALU_CYCLE_1)
	s_or_b32 exec_lo, exec_lo, s4
.LBB0_92:
	s_delay_alu instid0(SALU_CYCLE_1)
	s_or_b32 exec_lo, exec_lo, s1
	v_readfirstlane_b32 s4, v8
	v_mov_b32_e32 v2, 0
	v_readfirstlane_b32 s5, v9
	s_mov_b32 s1, exec_lo
	s_wait_loadcnt 0x0
	s_wait_kmcnt 0x0
	s_clause 0x1
	global_load_b64 v[10:11], v2, s[2:3] offset:40
	global_load_b128 v[4:7], v2, s[2:3]
	s_wait_loadcnt 0x1
	v_and_b32_e32 v10, s4, v10
	v_and_b32_e32 v11, s5, v11
	s_delay_alu instid0(VALU_DEP_1) | instskip(SKIP_1) | instid1(VALU_DEP_1)
	v_mul_u64_e32 v[8:9], 24, v[10:11]
	s_wait_loadcnt 0x0
	v_add_nc_u64_e32 v[8:9], v[4:5], v[8:9]
	s_wait_xcnt 0x0
	s_and_saveexec_b32 s6, s0
	s_cbranch_execz .LBB0_94
; %bb.93:
	v_mov_b64_e32 v[14:15], 0x100000002
	v_dual_mov_b32 v12, s1 :: v_dual_mov_b32 v13, v2
	global_store_b128 v[8:9], v[12:15], off offset:8
.LBB0_94:
	s_wait_xcnt 0x0
	s_or_b32 exec_lo, exec_lo, s6
	v_lshlrev_b64_e32 v[10:11], 12, v[10:11]
	s_mov_b32 s8, 0
	v_and_or_b32 v0, 0xffffff1f, v3, 32
	s_mov_b32 s10, s8
	s_mov_b32 s11, s8
	;; [unrolled: 1-line block ×3, first 2 shown]
	v_dual_mov_b32 v3, v2 :: v_dual_lshlrev_b32 v14, 6, v30
	v_add_nc_u64_e32 v[6:7], v[6:7], v[10:11]
	v_mov_b64_e32 v[12:13], s[10:11]
	v_mov_b64_e32 v[10:11], s[8:9]
	s_delay_alu instid0(VALU_DEP_3) | instskip(NEXT) | instid1(VALU_DEP_4)
	v_readfirstlane_b32 s6, v6
	v_readfirstlane_b32 s7, v7
	s_clause 0x3
	global_store_b128 v14, v[0:3], s[6:7]
	global_store_b128 v14, v[10:13], s[6:7] offset:16
	global_store_b128 v14, v[10:13], s[6:7] offset:32
	;; [unrolled: 1-line block ×3, first 2 shown]
	s_wait_xcnt 0x0
	s_and_saveexec_b32 s1, s0
	s_cbranch_execz .LBB0_102
; %bb.95:
	v_dual_mov_b32 v6, 0 :: v_dual_mov_b32 v11, s5
	s_mov_b32 s6, exec_lo
	s_clause 0x1
	global_load_b64 v[12:13], v6, s[2:3] offset:32 scope:SCOPE_SYS
	global_load_b64 v[0:1], v6, s[2:3] offset:40
	s_wait_loadcnt 0x0
	v_dual_mov_b32 v10, s4 :: v_dual_bitop2_b32 v1, s5, v1 bitop3:0x40
	v_and_b32_e32 v0, s4, v0
	s_delay_alu instid0(VALU_DEP_1) | instskip(NEXT) | instid1(VALU_DEP_1)
	v_mul_u64_e32 v[0:1], 24, v[0:1]
	v_add_nc_u64_e32 v[4:5], v[4:5], v[0:1]
	global_store_b64 v[4:5], v[12:13], off
	global_wb scope:SCOPE_SYS
	s_wait_storecnt 0x0
	s_wait_xcnt 0x0
	global_atomic_cmpswap_b64 v[2:3], v6, v[10:13], s[2:3] offset:32 th:TH_ATOMIC_RETURN scope:SCOPE_SYS
	s_wait_loadcnt 0x0
	v_cmpx_ne_u64_e64 v[2:3], v[12:13]
	s_cbranch_execz .LBB0_98
; %bb.96:
	s_mov_b32 s7, 0
.LBB0_97:                               ; =>This Inner Loop Header: Depth=1
	v_dual_mov_b32 v0, s4 :: v_dual_mov_b32 v1, s5
	s_sleep 1
	global_store_b64 v[4:5], v[2:3], off
	global_wb scope:SCOPE_SYS
	s_wait_storecnt 0x0
	s_wait_xcnt 0x0
	global_atomic_cmpswap_b64 v[0:1], v6, v[0:3], s[2:3] offset:32 th:TH_ATOMIC_RETURN scope:SCOPE_SYS
	s_wait_loadcnt 0x0
	v_cmp_eq_u64_e32 vcc_lo, v[0:1], v[2:3]
	v_mov_b64_e32 v[2:3], v[0:1]
	s_or_b32 s7, vcc_lo, s7
	s_delay_alu instid0(SALU_CYCLE_1)
	s_and_not1_b32 exec_lo, exec_lo, s7
	s_cbranch_execnz .LBB0_97
.LBB0_98:
	s_or_b32 exec_lo, exec_lo, s6
	v_mov_b32_e32 v3, 0
	s_mov_b32 s7, exec_lo
	s_mov_b32 s6, exec_lo
	v_mbcnt_lo_u32_b32 v2, s7, 0
	global_load_b64 v[0:1], v3, s[2:3] offset:16
	s_wait_xcnt 0x0
	v_cmpx_eq_u32_e32 0, v2
	s_cbranch_execz .LBB0_100
; %bb.99:
	s_bcnt1_i32_b32 s7, s7
	s_delay_alu instid0(SALU_CYCLE_1)
	v_mov_b32_e32 v2, s7
	global_wb scope:SCOPE_SYS
	s_wait_loadcnt 0x0
	s_wait_storecnt 0x0
	global_atomic_add_u64 v[0:1], v[2:3], off offset:8 scope:SCOPE_SYS
.LBB0_100:
	s_wait_xcnt 0x0
	s_or_b32 exec_lo, exec_lo, s6
	s_wait_loadcnt 0x0
	global_load_b64 v[2:3], v[0:1], off offset:16
	s_wait_loadcnt 0x0
	v_cmp_eq_u64_e32 vcc_lo, 0, v[2:3]
	s_cbranch_vccnz .LBB0_102
; %bb.101:
	global_load_b32 v0, v[0:1], off offset:24
	s_wait_xcnt 0x0
	v_mov_b32_e32 v1, 0
	s_wait_loadcnt 0x0
	v_readfirstlane_b32 s6, v0
	global_wb scope:SCOPE_SYS
	s_wait_storecnt 0x0
	global_store_b64 v[2:3], v[0:1], off scope:SCOPE_SYS
	s_and_b32 m0, s6, 0xffffff
	s_sendmsg sendmsg(MSG_INTERRUPT)
.LBB0_102:
	s_wait_xcnt 0x0
	s_or_b32 exec_lo, exec_lo, s1
	s_branch .LBB0_106
.LBB0_103:                              ;   in Loop: Header=BB0_106 Depth=1
	s_wait_xcnt 0x0
	s_or_b32 exec_lo, exec_lo, s1
	s_delay_alu instid0(VALU_DEP_1)
	v_readfirstlane_b32 s1, v0
	s_cmp_eq_u32 s1, 0
	s_cbranch_scc1 .LBB0_105
; %bb.104:                              ;   in Loop: Header=BB0_106 Depth=1
	s_sleep 1
	s_cbranch_execnz .LBB0_106
	s_branch .LBB0_108
.LBB0_105:
	s_branch .LBB0_108
.LBB0_106:                              ; =>This Inner Loop Header: Depth=1
	v_mov_b32_e32 v0, 1
	s_and_saveexec_b32 s1, s0
	s_cbranch_execz .LBB0_103
; %bb.107:                              ;   in Loop: Header=BB0_106 Depth=1
	global_load_b32 v0, v[8:9], off offset:20 scope:SCOPE_SYS
	s_wait_loadcnt 0x0
	global_inv scope:SCOPE_SYS
	v_and_b32_e32 v0, 1, v0
	s_branch .LBB0_103
.LBB0_108:
	s_and_saveexec_b32 s6, s0
	s_cbranch_execz .LBB0_112
; %bb.109:
	v_mov_b32_e32 v6, 0
	s_clause 0x2
	global_load_b64 v[0:1], v6, s[2:3] offset:40
	global_load_b64 v[10:11], v6, s[2:3] offset:24 scope:SCOPE_SYS
	global_load_b64 v[2:3], v6, s[2:3]
	s_wait_loadcnt 0x2
	v_readfirstlane_b32 s8, v0
	v_readfirstlane_b32 s9, v1
	s_add_nc_u64 s[0:1], s[8:9], 1
	s_delay_alu instid0(SALU_CYCLE_1) | instskip(NEXT) | instid1(SALU_CYCLE_1)
	s_add_nc_u64 s[4:5], s[0:1], s[4:5]
	s_cmp_eq_u64 s[4:5], 0
	s_cselect_b32 s1, s1, s5
	s_cselect_b32 s0, s0, s4
	v_mov_b32_e32 v9, s1
	s_and_b64 s[4:5], s[0:1], s[8:9]
	v_mov_b32_e32 v8, s0
	s_mul_u64 s[4:5], s[4:5], 24
	s_wait_loadcnt 0x0
	v_add_nc_u64_e32 v[4:5], s[4:5], v[2:3]
	global_store_b64 v[4:5], v[10:11], off
	global_wb scope:SCOPE_SYS
	s_wait_storecnt 0x0
	s_wait_xcnt 0x0
	global_atomic_cmpswap_b64 v[2:3], v6, v[8:11], s[2:3] offset:24 th:TH_ATOMIC_RETURN scope:SCOPE_SYS
	s_wait_loadcnt 0x0
	v_cmp_ne_u64_e32 vcc_lo, v[2:3], v[10:11]
	s_and_b32 exec_lo, exec_lo, vcc_lo
	s_cbranch_execz .LBB0_112
; %bb.110:
	s_mov_b32 s4, 0
.LBB0_111:                              ; =>This Inner Loop Header: Depth=1
	v_dual_mov_b32 v0, s0 :: v_dual_mov_b32 v1, s1
	s_sleep 1
	global_store_b64 v[4:5], v[2:3], off
	global_wb scope:SCOPE_SYS
	s_wait_storecnt 0x0
	s_wait_xcnt 0x0
	global_atomic_cmpswap_b64 v[0:1], v6, v[0:3], s[2:3] offset:24 th:TH_ATOMIC_RETURN scope:SCOPE_SYS
	s_wait_loadcnt 0x0
	v_cmp_eq_u64_e32 vcc_lo, v[0:1], v[2:3]
	v_mov_b64_e32 v[2:3], v[0:1]
	s_or_b32 s4, vcc_lo, s4
	s_delay_alu instid0(SALU_CYCLE_1)
	s_and_not1_b32 exec_lo, exec_lo, s4
	s_cbranch_execnz .LBB0_111
.LBB0_112:
	s_or_b32 exec_lo, exec_lo, s6
	s_wait_loadcnt 0x0
	s_wait_kmcnt 0x0
	s_set_pc_i64 s[30:31]
.LBB0_113:
	s_cbranch_execnz .LBB0_86
.LBB0_114:
	s_wait_loadcnt 0x0
	s_wait_kmcnt 0x0
	s_set_pc_i64 s[30:31]
.Lfunc_end0:
	.size	__ockl_fprintf_append_string_n, .Lfunc_end0-__ockl_fprintf_append_string_n
                                        ; -- End function
	.set .L__ockl_fprintf_append_string_n.num_vgpr, 40
	.set .L__ockl_fprintf_append_string_n.num_agpr, 0
	.set .L__ockl_fprintf_append_string_n.numbered_sgpr, 32
	.set .L__ockl_fprintf_append_string_n.num_named_barrier, 0
	.set .L__ockl_fprintf_append_string_n.private_seg_size, 0
	.set .L__ockl_fprintf_append_string_n.uses_vcc, 1
	.set .L__ockl_fprintf_append_string_n.uses_flat_scratch, 0
	.set .L__ockl_fprintf_append_string_n.has_dyn_sized_stack, 0
	.set .L__ockl_fprintf_append_string_n.has_recursion, 0
	.set .L__ockl_fprintf_append_string_n.has_indirect_call, 0
	.section	.AMDGPU.csdata,"",@progbits
; Function info:
; codeLenInByte = 4324
; TotalNumSgprs: 34
; NumVgprs: 40
; ScratchSize: 0
; MemoryBound: 0
	.text
	.p2align	2                               ; -- Begin function __assert_fail
	.type	__assert_fail,@function
__assert_fail:                          ; @__assert_fail
; %bb.0:
	s_wait_loadcnt_dscnt 0x0
	s_wait_kmcnt 0x0
	s_mov_b32 s20, s33
	s_mov_b32 s33, s32
	s_or_saveexec_b32 s0, -1
	scratch_store_b32 off, v40, s33 offset:48 ; 4-byte Folded Spill
	s_wait_xcnt 0x0
	s_mov_b32 exec_lo, s0
	v_writelane_b32 v40, s30, 0
	s_add_co_i32 s32, s32, 64
	v_writelane_b32 v40, s31, 1
	v_mov_b32_e32 v8, 0
	s_get_pc_i64 s[0:1]
	s_add_nc_u64 s[0:1], s[0:1], __const.__assert_fail.fmt@rel64+35
	v_dual_mov_b32 v5, v1 :: v_dual_mov_b32 v4, v0
	s_get_pc_i64 s[10:11]
	s_add_nc_u64 s[10:11], s[10:11], __const.__assert_fail.fmt@rel64+20
	global_load_b128 v[0:3], v8, s[0:1]
	s_wait_xcnt 0x0
	s_get_pc_i64 s[0:1]
	s_add_nc_u64 s[0:1], s[0:1], __const.__assert_fail.fmt@rel64+4
	s_clause 0x1
	s_load_b128 s[4:7], s[0:1], 0x0
	s_load_b128 s[12:15], s[10:11], 0x0
	s_load_b64 s[2:3], s[8:9], 0x50
	v_mbcnt_lo_u32_b32 v48, -1, 0
	v_mov_b64_e32 v[6:7], 0
	s_wait_xcnt 0x0
	s_delay_alu instid0(VALU_DEP_2) | instskip(NEXT) | instid1(VALU_DEP_1)
	v_readfirstlane_b32 s0, v48
	v_cmp_eq_u32_e64 s0, s0, v48
	s_wait_kmcnt 0x0
	v_mov_b64_e32 v[12:13], s[6:7]
	v_mov_b64_e32 v[10:11], s[4:5]
	;; [unrolled: 1-line block ×4, first 2 shown]
	s_clause 0x1
	scratch_store_b128 off, v[10:13], s33
	scratch_store_b128 off, v[14:17], s33 offset:16
	s_wait_loadcnt 0x0
	scratch_store_b128 off, v[0:3], s33 offset:31
	s_wait_xcnt 0x0
	s_and_saveexec_b32 s1, s0
	s_cbranch_execz .LBB1_6
; %bb.1:
	global_load_b64 v[2:3], v8, s[2:3] offset:24 scope:SCOPE_SYS
	s_wait_loadcnt 0x0
	global_inv scope:SCOPE_SYS
	s_clause 0x1
	global_load_b64 v[0:1], v8, s[2:3] offset:40
	global_load_b64 v[6:7], v8, s[2:3]
	s_mov_b32 s4, exec_lo
	s_wait_loadcnt 0x1
	v_and_b32_e32 v0, v0, v2
	v_and_b32_e32 v1, v1, v3
	s_delay_alu instid0(VALU_DEP_1) | instskip(SKIP_1) | instid1(VALU_DEP_1)
	v_mul_u64_e32 v[0:1], 24, v[0:1]
	s_wait_loadcnt 0x0
	v_add_nc_u64_e32 v[0:1], v[6:7], v[0:1]
	global_load_b64 v[0:1], v[0:1], off scope:SCOPE_SYS
	s_wait_xcnt 0x0
	s_wait_loadcnt 0x0
	global_atomic_cmpswap_b64 v[6:7], v8, v[0:3], s[2:3] offset:24 th:TH_ATOMIC_RETURN scope:SCOPE_SYS
	s_wait_loadcnt 0x0
	global_inv scope:SCOPE_SYS
	s_wait_xcnt 0x0
	v_cmpx_ne_u64_e64 v[6:7], v[2:3]
	s_cbranch_execz .LBB1_5
; %bb.2:
	v_mov_b32_e32 v0, 0
	s_mov_b32 s5, 0
.LBB1_3:                                ; =>This Inner Loop Header: Depth=1
	s_sleep 1
	s_clause 0x1
	global_load_b64 v[2:3], v0, s[2:3] offset:40
	global_load_b64 v[10:11], v0, s[2:3]
	v_mov_b64_e32 v[12:13], v[6:7]
	s_wait_loadcnt 0x1
	s_delay_alu instid0(VALU_DEP_1) | instskip(SKIP_1) | instid1(VALU_DEP_1)
	v_and_b32_e32 v1, v2, v12
	s_wait_loadcnt 0x0
	v_mad_nc_u64_u32 v[6:7], v1, 24, v[10:11]
	s_delay_alu instid0(VALU_DEP_3) | instskip(NEXT) | instid1(VALU_DEP_1)
	v_and_b32_e32 v1, v3, v13
	v_mad_u32 v7, v1, 24, v7
	global_load_b64 v[10:11], v[6:7], off scope:SCOPE_SYS
	s_wait_xcnt 0x0
	s_wait_loadcnt 0x0
	global_atomic_cmpswap_b64 v[6:7], v0, v[10:13], s[2:3] offset:24 th:TH_ATOMIC_RETURN scope:SCOPE_SYS
	s_wait_loadcnt 0x0
	global_inv scope:SCOPE_SYS
	v_cmp_eq_u64_e32 vcc_lo, v[6:7], v[12:13]
	s_or_b32 s5, vcc_lo, s5
	s_wait_xcnt 0x0
	s_and_not1_b32 exec_lo, exec_lo, s5
	s_cbranch_execnz .LBB1_3
; %bb.4:
	s_or_b32 exec_lo, exec_lo, s5
.LBB1_5:
	s_delay_alu instid0(SALU_CYCLE_1)
	s_or_b32 exec_lo, exec_lo, s4
.LBB1_6:
	s_delay_alu instid0(SALU_CYCLE_1)
	s_or_b32 exec_lo, exec_lo, s1
	s_clause 0x1
	global_load_b64 v[10:11], v8, s[2:3] offset:40
	global_load_b128 v[0:3], v8, s[2:3]
	v_readfirstlane_b32 s4, v6
	v_readfirstlane_b32 s5, v7
	s_mov_b32 s1, exec_lo
	s_wait_loadcnt 0x1
	s_wait_xcnt 0x0
	v_and_b32_e32 v8, s4, v10
	v_and_b32_e32 v9, s5, v11
	s_delay_alu instid0(VALU_DEP_1) | instskip(SKIP_1) | instid1(VALU_DEP_1)
	v_mul_u64_e32 v[6:7], 24, v[8:9]
	s_wait_loadcnt 0x0
	v_add_nc_u64_e32 v[6:7], v[0:1], v[6:7]
	s_and_saveexec_b32 s6, s0
	s_cbranch_execz .LBB1_8
; %bb.7:
	v_mov_b64_e32 v[12:13], 0x100000002
	v_dual_mov_b32 v10, s1 :: v_dual_mov_b32 v11, 0
	global_store_b128 v[6:7], v[10:13], off offset:8
.LBB1_8:
	s_wait_xcnt 0x0
	s_or_b32 exec_lo, exec_lo, s6
	v_lshlrev_b64_e32 v[8:9], 12, v[8:9]
	s_mov_b32 s12, 0
	v_dual_mov_b32 v31, 0 :: v_dual_lshlrev_b32 v30, 6, v48
	s_mov_b32 s14, s12
	s_mov_b32 s15, s12
	;; [unrolled: 1-line block ×3, first 2 shown]
	s_delay_alu instid0(VALU_DEP_2)
	v_add_nc_u64_e32 v[8:9], v[2:3], v[8:9]
	v_mov_b64_e32 v[16:17], s[14:15]
	v_mov_b64_e32 v[14:15], s[12:13]
	v_dual_mov_b32 v10, 33 :: v_dual_mov_b32 v12, 1
	v_dual_mov_b32 v11, v31 :: v_dual_mov_b32 v13, v31
	v_readfirstlane_b32 s6, v8
	v_readfirstlane_b32 s7, v9
	s_clause 0x3
	global_store_b128 v30, v[10:13], s[6:7]
	global_store_b128 v30, v[14:17], s[6:7] offset:16
	global_store_b128 v30, v[14:17], s[6:7] offset:32
	;; [unrolled: 1-line block ×3, first 2 shown]
	s_wait_xcnt 0x0
	s_and_saveexec_b32 s1, s0
	s_cbranch_execz .LBB1_16
; %bb.9:
	s_clause 0x1
	global_load_b64 v[14:15], v31, s[2:3] offset:32 scope:SCOPE_SYS
	global_load_b64 v[2:3], v31, s[2:3] offset:40
	s_mov_b32 s6, exec_lo
	v_dual_mov_b32 v12, s4 :: v_dual_mov_b32 v13, s5
	s_wait_loadcnt 0x0
	v_and_b32_e32 v3, s5, v3
	v_and_b32_e32 v2, s4, v2
	s_delay_alu instid0(VALU_DEP_1) | instskip(NEXT) | instid1(VALU_DEP_1)
	v_mul_u64_e32 v[2:3], 24, v[2:3]
	v_add_nc_u64_e32 v[10:11], v[0:1], v[2:3]
	global_store_b64 v[10:11], v[14:15], off
	global_wb scope:SCOPE_SYS
	s_wait_storecnt 0x0
	s_wait_xcnt 0x0
	global_atomic_cmpswap_b64 v[2:3], v31, v[12:15], s[2:3] offset:32 th:TH_ATOMIC_RETURN scope:SCOPE_SYS
	s_wait_loadcnt 0x0
	v_cmpx_ne_u64_e64 v[2:3], v[14:15]
	s_cbranch_execz .LBB1_12
; %bb.10:
	v_mov_b32_e32 v12, 0
	s_mov_b32 s7, 0
.LBB1_11:                               ; =>This Inner Loop Header: Depth=1
	v_dual_mov_b32 v0, s4 :: v_dual_mov_b32 v1, s5
	s_sleep 1
	global_store_b64 v[10:11], v[2:3], off
	global_wb scope:SCOPE_SYS
	s_wait_storecnt 0x0
	s_wait_xcnt 0x0
	global_atomic_cmpswap_b64 v[0:1], v12, v[0:3], s[2:3] offset:32 th:TH_ATOMIC_RETURN scope:SCOPE_SYS
	s_wait_loadcnt 0x0
	v_cmp_eq_u64_e32 vcc_lo, v[0:1], v[2:3]
	v_mov_b64_e32 v[2:3], v[0:1]
	s_or_b32 s7, vcc_lo, s7
	s_delay_alu instid0(SALU_CYCLE_1)
	s_and_not1_b32 exec_lo, exec_lo, s7
	s_cbranch_execnz .LBB1_11
.LBB1_12:
	s_or_b32 exec_lo, exec_lo, s6
	v_mov_b32_e32 v3, 0
	s_mov_b32 s7, exec_lo
	s_mov_b32 s6, exec_lo
	v_mbcnt_lo_u32_b32 v2, s7, 0
	global_load_b64 v[0:1], v3, s[2:3] offset:16
	s_wait_xcnt 0x0
	v_cmpx_eq_u32_e32 0, v2
	s_cbranch_execz .LBB1_14
; %bb.13:
	s_bcnt1_i32_b32 s7, s7
	s_delay_alu instid0(SALU_CYCLE_1)
	v_mov_b32_e32 v2, s7
	global_wb scope:SCOPE_SYS
	s_wait_loadcnt 0x0
	s_wait_storecnt 0x0
	global_atomic_add_u64 v[0:1], v[2:3], off offset:8 scope:SCOPE_SYS
.LBB1_14:
	s_wait_xcnt 0x0
	s_or_b32 exec_lo, exec_lo, s6
	s_wait_loadcnt 0x0
	global_load_b64 v[2:3], v[0:1], off offset:16
	s_wait_loadcnt 0x0
	v_cmp_eq_u64_e32 vcc_lo, 0, v[2:3]
	s_cbranch_vccnz .LBB1_16
; %bb.15:
	global_load_b32 v0, v[0:1], off offset:24
	s_wait_xcnt 0x0
	v_mov_b32_e32 v1, 0
	s_wait_loadcnt 0x0
	v_readfirstlane_b32 s6, v0
	global_wb scope:SCOPE_SYS
	s_wait_storecnt 0x0
	global_store_b64 v[2:3], v[0:1], off scope:SCOPE_SYS
	s_and_b32 m0, s6, 0xffffff
	s_sendmsg sendmsg(MSG_INTERRUPT)
.LBB1_16:
	s_wait_xcnt 0x0
	s_or_b32 exec_lo, exec_lo, s1
	v_add_nc_u64_e32 v[0:1], v[8:9], v[30:31]
	s_branch .LBB1_20
.LBB1_17:                               ;   in Loop: Header=BB1_20 Depth=1
	s_wait_xcnt 0x0
	s_or_b32 exec_lo, exec_lo, s1
	s_delay_alu instid0(VALU_DEP_1)
	v_readfirstlane_b32 s1, v2
	s_cmp_eq_u32 s1, 0
	s_cbranch_scc1 .LBB1_19
; %bb.18:                               ;   in Loop: Header=BB1_20 Depth=1
	s_sleep 1
	s_cbranch_execnz .LBB1_20
	s_branch .LBB1_22
.LBB1_19:
	s_branch .LBB1_22
.LBB1_20:                               ; =>This Inner Loop Header: Depth=1
	v_mov_b32_e32 v2, 1
	s_and_saveexec_b32 s1, s0
	s_cbranch_execz .LBB1_17
; %bb.21:                               ;   in Loop: Header=BB1_20 Depth=1
	global_load_b32 v2, v[6:7], off offset:20 scope:SCOPE_SYS
	s_wait_loadcnt 0x0
	global_inv scope:SCOPE_SYS
	v_and_b32_e32 v2, 1, v2
	s_branch .LBB1_17
.LBB1_22:
	global_load_b64 v[6:7], v[0:1], off
	s_wait_xcnt 0x0
	s_and_saveexec_b32 s6, s0
	s_cbranch_execz .LBB1_26
; %bb.23:
	v_mov_b32_e32 v10, 0
	s_clause 0x2
	global_load_b64 v[0:1], v10, s[2:3] offset:40
	global_load_b64 v[14:15], v10, s[2:3] offset:24 scope:SCOPE_SYS
	global_load_b64 v[2:3], v10, s[2:3]
	s_wait_loadcnt 0x2
	v_readfirstlane_b32 s10, v0
	v_readfirstlane_b32 s11, v1
	s_add_nc_u64 s[0:1], s[10:11], 1
	s_delay_alu instid0(SALU_CYCLE_1) | instskip(NEXT) | instid1(SALU_CYCLE_1)
	s_add_nc_u64 s[4:5], s[0:1], s[4:5]
	s_cmp_eq_u64 s[4:5], 0
	s_cselect_b32 s1, s1, s5
	s_cselect_b32 s0, s0, s4
	v_mov_b32_e32 v13, s1
	s_and_b64 s[4:5], s[0:1], s[10:11]
	v_mov_b32_e32 v12, s0
	s_mul_u64 s[4:5], s[4:5], 24
	s_wait_loadcnt 0x0
	v_add_nc_u64_e32 v[8:9], s[4:5], v[2:3]
	global_store_b64 v[8:9], v[14:15], off
	global_wb scope:SCOPE_SYS
	s_wait_storecnt 0x0
	s_wait_xcnt 0x0
	global_atomic_cmpswap_b64 v[2:3], v10, v[12:15], s[2:3] offset:24 th:TH_ATOMIC_RETURN scope:SCOPE_SYS
	s_wait_loadcnt 0x0
	v_cmp_ne_u64_e32 vcc_lo, v[2:3], v[14:15]
	s_and_b32 exec_lo, exec_lo, vcc_lo
	s_cbranch_execz .LBB1_26
; %bb.24:
	s_mov_b32 s4, 0
.LBB1_25:                               ; =>This Inner Loop Header: Depth=1
	v_dual_mov_b32 v0, s0 :: v_dual_mov_b32 v1, s1
	s_sleep 1
	global_store_b64 v[8:9], v[2:3], off
	global_wb scope:SCOPE_SYS
	s_wait_storecnt 0x0
	s_wait_xcnt 0x0
	global_atomic_cmpswap_b64 v[0:1], v10, v[0:3], s[2:3] offset:24 th:TH_ATOMIC_RETURN scope:SCOPE_SYS
	s_wait_loadcnt 0x0
	v_cmp_eq_u64_e32 vcc_lo, v[0:1], v[2:3]
	v_mov_b64_e32 v[2:3], v[0:1]
	s_or_b32 s4, vcc_lo, s4
	s_delay_alu instid0(SALU_CYCLE_1)
	s_and_not1_b32 exec_lo, exec_lo, s4
	s_cbranch_execnz .LBB1_25
.LBB1_26:
	s_or_b32 exec_lo, exec_lo, s6
	s_mov_b32 s1, s33
	s_mov_b32 s0, 0
.LBB1_27:                               ; =>This Inner Loop Header: Depth=1
	scratch_load_u8 v0, off, s1
	s_wait_xcnt 0x0
	s_add_co_i32 s1, s1, 1
	s_wait_loadcnt 0x0
	v_cmp_eq_u16_e32 vcc_lo, 0, v0
	v_mov_b32_e32 v0, s1
	s_or_b32 s0, vcc_lo, s0
	s_delay_alu instid0(SALU_CYCLE_1)
	s_and_not1_b32 exec_lo, exec_lo, s0
	s_cbranch_execnz .LBB1_27
; %bb.28:
	s_or_b32 exec_lo, exec_lo, s0
	s_cmp_lg_u32 s33, -1
	s_cbranch_scc0 .LBB1_113
; %bb.29:
	s_mov_b64 s[0:1], src_flat_scratch_base_lo
	v_mov_b64_e32 v[10:11], 0x100000002
	v_dual_add_nc_u32 v0, s0, v0 :: v_dual_bitop2_b32 v28, 2, v6 bitop3:0x40
	s_add_co_i32 s0, s33, s0
	v_dual_mov_b32 v31, 0 :: v_dual_mov_b32 v29, s33
	s_delay_alu instid0(VALU_DEP_2) | instskip(SKIP_3) | instid1(VALU_DEP_2)
	v_subrev_nc_u32_e32 v32, s0, v0
	v_dual_mov_b32 v1, v7 :: v_dual_bitop2_b32 v0, -3, v6 bitop3:0x40
	s_mov_b32 s7, 0
	s_mov_b32 s6, 0
	v_ashrrev_i32_e32 v33, 31, v32
	s_branch .LBB1_31
.LBB1_30:                               ;   in Loop: Header=BB1_31 Depth=1
	s_or_b32 exec_lo, exec_lo, s10
	v_sub_nc_u64_e32 v[32:33], v[32:33], v[34:35]
	v_add_nc_u32_e32 v29, v29, v34
	s_delay_alu instid0(VALU_DEP_2) | instskip(SKIP_1) | instid1(SALU_CYCLE_1)
	v_cmp_eq_u64_e32 vcc_lo, 0, v[32:33]
	s_or_b32 s6, vcc_lo, s6
	s_and_not1_b32 exec_lo, exec_lo, s6
	s_cbranch_execz .LBB1_192
.LBB1_31:                               ; =>This Loop Header: Depth=1
                                        ;     Child Loop BB1_34 Depth 2
                                        ;     Child Loop BB1_42 Depth 2
	;; [unrolled: 1-line block ×11, first 2 shown]
	s_delay_alu instid0(VALU_DEP_1)
	v_min_u64 v[34:35], v[32:33], 56
	v_add_nc_u32_e32 v9, 8, v29
	s_mov_b32 s0, exec_lo
	v_cmpx_gt_u64_e32 8, v[32:33]
	s_xor_b32 s4, exec_lo, s0
	s_cbranch_execz .LBB1_37
; %bb.32:                               ;   in Loop: Header=BB1_31 Depth=1
	v_mov_b64_e32 v[2:3], 0
	s_mov_b32 s5, exec_lo
	v_cmpx_ne_u64_e32 0, v[32:33]
	s_cbranch_execz .LBB1_36
; %bb.33:                               ;   in Loop: Header=BB1_31 Depth=1
	v_mov_b64_e32 v[2:3], 0
	v_dual_mov_b32 v9, v29 :: v_dual_lshlrev_b32 v8, 3, v34
	s_mov_b64 s[0:1], 0
	s_mov_b32 s10, 0
.LBB1_34:                               ;   Parent Loop BB1_31 Depth=1
                                        ; =>  This Inner Loop Header: Depth=2
	scratch_load_u8 v12, v9, off
	s_wait_xcnt 0x0
	v_dual_mov_b32 v13, s7 :: v_dual_add_nc_u32 v9, 1, v9
	s_wait_loadcnt 0x0
	v_and_b32_e32 v12, 0xffff, v12
	s_delay_alu instid0(VALU_DEP_1) | instskip(SKIP_1) | instid1(SALU_CYCLE_1)
	v_lshlrev_b64_e32 v[12:13], s0, v[12:13]
	s_add_nc_u64 s[0:1], s[0:1], 8
	v_cmp_eq_u32_e32 vcc_lo, s0, v8
	s_delay_alu instid0(VALU_DEP_2) | instskip(NEXT) | instid1(VALU_DEP_3)
	v_or_b32_e32 v3, v13, v3
	v_or_b32_e32 v2, v12, v2
	s_or_b32 s10, vcc_lo, s10
	s_delay_alu instid0(SALU_CYCLE_1)
	s_and_not1_b32 exec_lo, exec_lo, s10
	s_cbranch_execnz .LBB1_34
; %bb.35:                               ;   in Loop: Header=BB1_31 Depth=1
	s_or_b32 exec_lo, exec_lo, s10
.LBB1_36:                               ;   in Loop: Header=BB1_31 Depth=1
	s_delay_alu instid0(SALU_CYCLE_1)
	s_or_b32 exec_lo, exec_lo, s5
	v_mov_b32_e32 v9, v29
.LBB1_37:                               ;   in Loop: Header=BB1_31 Depth=1
	s_or_saveexec_b32 s0, s4
	v_mov_b32_e32 v14, 0
	s_xor_b32 exec_lo, exec_lo, s0
	s_cbranch_execz .LBB1_39
; %bb.38:                               ;   in Loop: Header=BB1_31 Depth=1
	scratch_load_b64 v[2:3], v29, off
	v_add_nc_u32_e32 v14, -8, v34
.LBB1_39:                               ;   in Loop: Header=BB1_31 Depth=1
	s_wait_xcnt 0x0
	s_or_b32 exec_lo, exec_lo, s0
	v_add_nc_u32_e32 v8, 8, v9
                                        ; implicit-def: $vgpr12_vgpr13
	s_mov_b32 s0, exec_lo
	v_cmpx_gt_u32_e32 8, v14
	s_xor_b32 s4, exec_lo, s0
	s_cbranch_execz .LBB1_45
; %bb.40:                               ;   in Loop: Header=BB1_31 Depth=1
	v_mov_b64_e32 v[12:13], 0
	s_mov_b32 s5, exec_lo
	v_cmpx_ne_u32_e32 0, v14
	s_cbranch_execz .LBB1_44
; %bb.41:                               ;   in Loop: Header=BB1_31 Depth=1
	v_mov_b64_e32 v[12:13], 0
	s_mov_b64 s[0:1], 0
	s_mov_b32 s10, 0
	s_mov_b32 s11, 0
.LBB1_42:                               ;   Parent Loop BB1_31 Depth=1
                                        ; =>  This Inner Loop Header: Depth=2
	scratch_load_u8 v8, v9, s11
	v_mov_b32_e32 v17, s7
	s_wait_xcnt 0x0
	s_add_co_i32 s11, s11, 1
	s_delay_alu instid0(SALU_CYCLE_1) | instskip(SKIP_3) | instid1(VALU_DEP_1)
	v_cmp_eq_u32_e32 vcc_lo, s11, v14
	s_or_b32 s10, vcc_lo, s10
	s_wait_loadcnt 0x0
	v_and_b32_e32 v16, 0xffff, v8
	v_lshlrev_b64_e32 v[16:17], s0, v[16:17]
	s_add_nc_u64 s[0:1], s[0:1], 8
	s_delay_alu instid0(VALU_DEP_1) | instskip(NEXT) | instid1(VALU_DEP_2)
	v_or_b32_e32 v13, v17, v13
	v_or_b32_e32 v12, v16, v12
	s_and_not1_b32 exec_lo, exec_lo, s10
	s_cbranch_execnz .LBB1_42
; %bb.43:                               ;   in Loop: Header=BB1_31 Depth=1
	s_or_b32 exec_lo, exec_lo, s10
.LBB1_44:                               ;   in Loop: Header=BB1_31 Depth=1
	s_delay_alu instid0(SALU_CYCLE_1)
	s_or_b32 exec_lo, exec_lo, s5
	v_mov_b32_e32 v8, v9
                                        ; implicit-def: $vgpr14
.LBB1_45:                               ;   in Loop: Header=BB1_31 Depth=1
	s_or_saveexec_b32 s0, s4
	v_mov_b32_e32 v16, 0
	s_xor_b32 exec_lo, exec_lo, s0
	s_cbranch_execz .LBB1_47
; %bb.46:                               ;   in Loop: Header=BB1_31 Depth=1
	scratch_load_b64 v[12:13], v9, off
	v_add_nc_u32_e32 v16, -8, v14
.LBB1_47:                               ;   in Loop: Header=BB1_31 Depth=1
	s_wait_xcnt 0x0
	s_or_b32 exec_lo, exec_lo, s0
	v_add_nc_u32_e32 v9, 8, v8
	s_mov_b32 s0, exec_lo
	v_cmpx_gt_u32_e32 8, v16
	s_xor_b32 s4, exec_lo, s0
	s_cbranch_execz .LBB1_53
; %bb.48:                               ;   in Loop: Header=BB1_31 Depth=1
	v_mov_b64_e32 v[14:15], 0
	s_mov_b32 s5, exec_lo
	v_cmpx_ne_u32_e32 0, v16
	s_cbranch_execz .LBB1_52
; %bb.49:                               ;   in Loop: Header=BB1_31 Depth=1
	v_mov_b64_e32 v[14:15], 0
	s_mov_b64 s[0:1], 0
	s_mov_b32 s10, 0
	s_mov_b32 s11, 0
.LBB1_50:                               ;   Parent Loop BB1_31 Depth=1
                                        ; =>  This Inner Loop Header: Depth=2
	scratch_load_u8 v9, v8, s11
	v_mov_b32_e32 v19, s7
	s_wait_xcnt 0x0
	s_add_co_i32 s11, s11, 1
	s_delay_alu instid0(SALU_CYCLE_1) | instskip(SKIP_3) | instid1(VALU_DEP_1)
	v_cmp_eq_u32_e32 vcc_lo, s11, v16
	s_or_b32 s10, vcc_lo, s10
	s_wait_loadcnt 0x0
	v_and_b32_e32 v18, 0xffff, v9
	v_lshlrev_b64_e32 v[18:19], s0, v[18:19]
	s_add_nc_u64 s[0:1], s[0:1], 8
	s_delay_alu instid0(VALU_DEP_1) | instskip(NEXT) | instid1(VALU_DEP_2)
	v_or_b32_e32 v15, v19, v15
	v_or_b32_e32 v14, v18, v14
	s_and_not1_b32 exec_lo, exec_lo, s10
	s_cbranch_execnz .LBB1_50
; %bb.51:                               ;   in Loop: Header=BB1_31 Depth=1
	s_or_b32 exec_lo, exec_lo, s10
.LBB1_52:                               ;   in Loop: Header=BB1_31 Depth=1
	s_delay_alu instid0(SALU_CYCLE_1)
	s_or_b32 exec_lo, exec_lo, s5
	v_mov_b32_e32 v9, v8
                                        ; implicit-def: $vgpr16
.LBB1_53:                               ;   in Loop: Header=BB1_31 Depth=1
	s_or_saveexec_b32 s0, s4
	v_mov_b32_e32 v18, 0
	s_xor_b32 exec_lo, exec_lo, s0
	s_cbranch_execz .LBB1_55
; %bb.54:                               ;   in Loop: Header=BB1_31 Depth=1
	scratch_load_b64 v[14:15], v8, off
	v_add_nc_u32_e32 v18, -8, v16
.LBB1_55:                               ;   in Loop: Header=BB1_31 Depth=1
	s_wait_xcnt 0x0
	s_or_b32 exec_lo, exec_lo, s0
	v_add_nc_u32_e32 v8, 8, v9
                                        ; implicit-def: $vgpr16_vgpr17
	s_mov_b32 s0, exec_lo
	v_cmpx_gt_u32_e32 8, v18
	s_xor_b32 s4, exec_lo, s0
	s_cbranch_execz .LBB1_61
; %bb.56:                               ;   in Loop: Header=BB1_31 Depth=1
	v_mov_b64_e32 v[16:17], 0
	s_mov_b32 s5, exec_lo
	v_cmpx_ne_u32_e32 0, v18
	s_cbranch_execz .LBB1_60
; %bb.57:                               ;   in Loop: Header=BB1_31 Depth=1
	v_mov_b64_e32 v[16:17], 0
	s_mov_b64 s[0:1], 0
	s_mov_b32 s10, 0
	s_mov_b32 s11, 0
.LBB1_58:                               ;   Parent Loop BB1_31 Depth=1
                                        ; =>  This Inner Loop Header: Depth=2
	scratch_load_u8 v8, v9, s11
	v_mov_b32_e32 v21, s7
	s_wait_xcnt 0x0
	s_add_co_i32 s11, s11, 1
	s_delay_alu instid0(SALU_CYCLE_1) | instskip(SKIP_3) | instid1(VALU_DEP_1)
	v_cmp_eq_u32_e32 vcc_lo, s11, v18
	s_or_b32 s10, vcc_lo, s10
	s_wait_loadcnt 0x0
	v_and_b32_e32 v20, 0xffff, v8
	v_lshlrev_b64_e32 v[20:21], s0, v[20:21]
	s_add_nc_u64 s[0:1], s[0:1], 8
	s_delay_alu instid0(VALU_DEP_1) | instskip(NEXT) | instid1(VALU_DEP_2)
	v_or_b32_e32 v17, v21, v17
	v_or_b32_e32 v16, v20, v16
	s_and_not1_b32 exec_lo, exec_lo, s10
	s_cbranch_execnz .LBB1_58
; %bb.59:                               ;   in Loop: Header=BB1_31 Depth=1
	s_or_b32 exec_lo, exec_lo, s10
.LBB1_60:                               ;   in Loop: Header=BB1_31 Depth=1
	s_delay_alu instid0(SALU_CYCLE_1)
	s_or_b32 exec_lo, exec_lo, s5
	v_mov_b32_e32 v8, v9
                                        ; implicit-def: $vgpr18
.LBB1_61:                               ;   in Loop: Header=BB1_31 Depth=1
	s_or_saveexec_b32 s0, s4
	v_mov_b32_e32 v20, 0
	s_xor_b32 exec_lo, exec_lo, s0
	s_cbranch_execz .LBB1_63
; %bb.62:                               ;   in Loop: Header=BB1_31 Depth=1
	scratch_load_b64 v[16:17], v9, off
	v_add_nc_u32_e32 v20, -8, v18
.LBB1_63:                               ;   in Loop: Header=BB1_31 Depth=1
	s_wait_xcnt 0x0
	s_or_b32 exec_lo, exec_lo, s0
	v_add_nc_u32_e32 v9, 8, v8
	s_mov_b32 s0, exec_lo
	v_cmpx_gt_u32_e32 8, v20
	s_xor_b32 s4, exec_lo, s0
	s_cbranch_execz .LBB1_69
; %bb.64:                               ;   in Loop: Header=BB1_31 Depth=1
	v_mov_b64_e32 v[18:19], 0
	s_mov_b32 s5, exec_lo
	v_cmpx_ne_u32_e32 0, v20
	s_cbranch_execz .LBB1_68
; %bb.65:                               ;   in Loop: Header=BB1_31 Depth=1
	v_mov_b64_e32 v[18:19], 0
	s_mov_b64 s[0:1], 0
	s_mov_b32 s10, 0
	s_mov_b32 s11, 0
.LBB1_66:                               ;   Parent Loop BB1_31 Depth=1
                                        ; =>  This Inner Loop Header: Depth=2
	scratch_load_u8 v9, v8, s11
	v_mov_b32_e32 v23, s7
	s_wait_xcnt 0x0
	s_add_co_i32 s11, s11, 1
	s_delay_alu instid0(SALU_CYCLE_1) | instskip(SKIP_3) | instid1(VALU_DEP_1)
	v_cmp_eq_u32_e32 vcc_lo, s11, v20
	s_or_b32 s10, vcc_lo, s10
	s_wait_loadcnt 0x0
	v_and_b32_e32 v22, 0xffff, v9
	v_lshlrev_b64_e32 v[22:23], s0, v[22:23]
	s_add_nc_u64 s[0:1], s[0:1], 8
	s_delay_alu instid0(VALU_DEP_1) | instskip(NEXT) | instid1(VALU_DEP_2)
	v_or_b32_e32 v19, v23, v19
	v_or_b32_e32 v18, v22, v18
	s_and_not1_b32 exec_lo, exec_lo, s10
	s_cbranch_execnz .LBB1_66
; %bb.67:                               ;   in Loop: Header=BB1_31 Depth=1
	s_or_b32 exec_lo, exec_lo, s10
.LBB1_68:                               ;   in Loop: Header=BB1_31 Depth=1
	s_delay_alu instid0(SALU_CYCLE_1)
	s_or_b32 exec_lo, exec_lo, s5
	v_mov_b32_e32 v9, v8
                                        ; implicit-def: $vgpr20
.LBB1_69:                               ;   in Loop: Header=BB1_31 Depth=1
	s_or_saveexec_b32 s0, s4
	v_mov_b32_e32 v22, 0
	s_xor_b32 exec_lo, exec_lo, s0
	s_cbranch_execz .LBB1_71
; %bb.70:                               ;   in Loop: Header=BB1_31 Depth=1
	scratch_load_b64 v[18:19], v8, off
	v_add_nc_u32_e32 v22, -8, v20
.LBB1_71:                               ;   in Loop: Header=BB1_31 Depth=1
	s_wait_xcnt 0x0
	s_or_b32 exec_lo, exec_lo, s0
	v_add_nc_u32_e32 v8, 8, v9
                                        ; implicit-def: $vgpr20_vgpr21
	s_mov_b32 s0, exec_lo
	v_cmpx_gt_u32_e32 8, v22
	s_xor_b32 s4, exec_lo, s0
	s_cbranch_execz .LBB1_77
; %bb.72:                               ;   in Loop: Header=BB1_31 Depth=1
	v_mov_b64_e32 v[20:21], 0
	s_mov_b32 s5, exec_lo
	v_cmpx_ne_u32_e32 0, v22
	s_cbranch_execz .LBB1_76
; %bb.73:                               ;   in Loop: Header=BB1_31 Depth=1
	v_mov_b64_e32 v[20:21], 0
	s_mov_b64 s[0:1], 0
	s_mov_b32 s10, 0
	s_mov_b32 s11, 0
.LBB1_74:                               ;   Parent Loop BB1_31 Depth=1
                                        ; =>  This Inner Loop Header: Depth=2
	scratch_load_u8 v8, v9, s11
	v_mov_b32_e32 v25, s7
	s_wait_xcnt 0x0
	s_add_co_i32 s11, s11, 1
	s_delay_alu instid0(SALU_CYCLE_1) | instskip(SKIP_3) | instid1(VALU_DEP_1)
	v_cmp_eq_u32_e32 vcc_lo, s11, v22
	s_or_b32 s10, vcc_lo, s10
	s_wait_loadcnt 0x0
	v_and_b32_e32 v24, 0xffff, v8
	v_lshlrev_b64_e32 v[24:25], s0, v[24:25]
	s_add_nc_u64 s[0:1], s[0:1], 8
	s_delay_alu instid0(VALU_DEP_1) | instskip(NEXT) | instid1(VALU_DEP_2)
	v_or_b32_e32 v21, v25, v21
	v_or_b32_e32 v20, v24, v20
	s_and_not1_b32 exec_lo, exec_lo, s10
	s_cbranch_execnz .LBB1_74
; %bb.75:                               ;   in Loop: Header=BB1_31 Depth=1
	s_or_b32 exec_lo, exec_lo, s10
.LBB1_76:                               ;   in Loop: Header=BB1_31 Depth=1
	s_delay_alu instid0(SALU_CYCLE_1)
	s_or_b32 exec_lo, exec_lo, s5
	v_mov_b32_e32 v8, v9
                                        ; implicit-def: $vgpr22
.LBB1_77:                               ;   in Loop: Header=BB1_31 Depth=1
	s_or_saveexec_b32 s0, s4
	v_mov_b32_e32 v24, 0
	s_xor_b32 exec_lo, exec_lo, s0
	s_cbranch_execz .LBB1_79
; %bb.78:                               ;   in Loop: Header=BB1_31 Depth=1
	scratch_load_b64 v[20:21], v9, off
	v_add_nc_u32_e32 v24, -8, v22
.LBB1_79:                               ;   in Loop: Header=BB1_31 Depth=1
	s_wait_xcnt 0x0
	s_or_b32 exec_lo, exec_lo, s0
	s_delay_alu instid0(SALU_CYCLE_1) | instskip(NEXT) | instid1(VALU_DEP_1)
	s_mov_b32 s0, exec_lo
	v_cmpx_gt_u32_e32 8, v24
	s_xor_b32 s4, exec_lo, s0
	s_cbranch_execz .LBB1_85
; %bb.80:                               ;   in Loop: Header=BB1_31 Depth=1
	v_mov_b64_e32 v[22:23], 0
	s_mov_b32 s5, exec_lo
	v_cmpx_ne_u32_e32 0, v24
	s_cbranch_execz .LBB1_84
; %bb.81:                               ;   in Loop: Header=BB1_31 Depth=1
	v_mov_b64_e32 v[22:23], 0
	s_mov_b64 s[0:1], 0
	s_mov_b32 s10, 0
.LBB1_82:                               ;   Parent Loop BB1_31 Depth=1
                                        ; =>  This Inner Loop Header: Depth=2
	scratch_load_u8 v9, v8, off
	v_dual_mov_b32 v27, s7 :: v_dual_add_nc_u32 v24, -1, v24
	s_delay_alu instid0(VALU_DEP_1) | instskip(SKIP_3) | instid1(VALU_DEP_1)
	v_cmp_eq_u32_e32 vcc_lo, 0, v24
	s_or_b32 s10, vcc_lo, s10
	s_wait_loadcnt 0x0
	v_and_b32_e32 v26, 0xffff, v9
	v_lshlrev_b64_e32 v[26:27], s0, v[26:27]
	s_wait_xcnt 0x0
	v_add_nc_u32_e32 v8, 1, v8
	s_add_nc_u64 s[0:1], s[0:1], 8
	s_delay_alu instid0(VALU_DEP_2) | instskip(NEXT) | instid1(VALU_DEP_3)
	v_or_b32_e32 v23, v27, v23
	v_or_b32_e32 v22, v26, v22
	s_and_not1_b32 exec_lo, exec_lo, s10
	s_cbranch_execnz .LBB1_82
; %bb.83:                               ;   in Loop: Header=BB1_31 Depth=1
	s_or_b32 exec_lo, exec_lo, s10
.LBB1_84:                               ;   in Loop: Header=BB1_31 Depth=1
	s_delay_alu instid0(SALU_CYCLE_1)
	s_or_b32 exec_lo, exec_lo, s5
                                        ; implicit-def: $vgpr8
.LBB1_85:                               ;   in Loop: Header=BB1_31 Depth=1
	s_and_not1_saveexec_b32 s0, s4
	s_cbranch_execz .LBB1_87
; %bb.86:                               ;   in Loop: Header=BB1_31 Depth=1
	scratch_load_b64 v[22:23], v8, off
.LBB1_87:                               ;   in Loop: Header=BB1_31 Depth=1
	s_wait_xcnt 0x0
	s_or_b32 exec_lo, exec_lo, s0
	v_readfirstlane_b32 s0, v48
	v_mov_b64_e32 v[8:9], 0
	s_delay_alu instid0(VALU_DEP_2)
	v_cmp_eq_u32_e64 s0, s0, v48
	s_and_saveexec_b32 s1, s0
	s_cbranch_execz .LBB1_93
; %bb.88:                               ;   in Loop: Header=BB1_31 Depth=1
	global_load_b64 v[26:27], v31, s[2:3] offset:24 scope:SCOPE_SYS
	s_wait_loadcnt 0x0
	global_inv scope:SCOPE_SYS
	s_clause 0x1
	global_load_b64 v[8:9], v31, s[2:3] offset:40
	global_load_b64 v[24:25], v31, s[2:3]
	s_mov_b32 s4, exec_lo
	s_wait_loadcnt 0x1
	v_and_b32_e32 v8, v8, v26
	v_and_b32_e32 v9, v9, v27
	s_delay_alu instid0(VALU_DEP_1) | instskip(SKIP_1) | instid1(VALU_DEP_1)
	v_mul_u64_e32 v[8:9], 24, v[8:9]
	s_wait_loadcnt 0x0
	v_add_nc_u64_e32 v[8:9], v[24:25], v[8:9]
	global_load_b64 v[24:25], v[8:9], off scope:SCOPE_SYS
	s_wait_xcnt 0x0
	s_wait_loadcnt 0x0
	global_atomic_cmpswap_b64 v[8:9], v31, v[24:27], s[2:3] offset:24 th:TH_ATOMIC_RETURN scope:SCOPE_SYS
	s_wait_loadcnt 0x0
	global_inv scope:SCOPE_SYS
	s_wait_xcnt 0x0
	v_cmpx_ne_u64_e64 v[8:9], v[26:27]
	s_cbranch_execz .LBB1_92
; %bb.89:                               ;   in Loop: Header=BB1_31 Depth=1
	s_mov_b32 s5, 0
.LBB1_90:                               ;   Parent Loop BB1_31 Depth=1
                                        ; =>  This Inner Loop Header: Depth=2
	s_sleep 1
	s_clause 0x1
	global_load_b64 v[24:25], v31, s[2:3] offset:40
	global_load_b64 v[36:37], v31, s[2:3]
	v_mov_b64_e32 v[26:27], v[8:9]
	s_wait_loadcnt 0x1
	s_delay_alu instid0(VALU_DEP_1) | instskip(NEXT) | instid1(VALU_DEP_2)
	v_and_b32_e32 v8, v24, v26
	v_and_b32_e32 v24, v25, v27
	s_wait_loadcnt 0x0
	s_delay_alu instid0(VALU_DEP_2) | instskip(NEXT) | instid1(VALU_DEP_1)
	v_mad_nc_u64_u32 v[8:9], v8, 24, v[36:37]
	v_mad_u32 v9, v24, 24, v9
	global_load_b64 v[24:25], v[8:9], off scope:SCOPE_SYS
	s_wait_xcnt 0x0
	s_wait_loadcnt 0x0
	global_atomic_cmpswap_b64 v[8:9], v31, v[24:27], s[2:3] offset:24 th:TH_ATOMIC_RETURN scope:SCOPE_SYS
	s_wait_loadcnt 0x0
	global_inv scope:SCOPE_SYS
	v_cmp_eq_u64_e32 vcc_lo, v[8:9], v[26:27]
	s_or_b32 s5, vcc_lo, s5
	s_wait_xcnt 0x0
	s_and_not1_b32 exec_lo, exec_lo, s5
	s_cbranch_execnz .LBB1_90
; %bb.91:                               ;   in Loop: Header=BB1_31 Depth=1
	s_or_b32 exec_lo, exec_lo, s5
.LBB1_92:                               ;   in Loop: Header=BB1_31 Depth=1
	s_delay_alu instid0(SALU_CYCLE_1)
	s_or_b32 exec_lo, exec_lo, s4
.LBB1_93:                               ;   in Loop: Header=BB1_31 Depth=1
	s_delay_alu instid0(SALU_CYCLE_1)
	s_or_b32 exec_lo, exec_lo, s1
	s_clause 0x1
	global_load_b64 v[36:37], v31, s[2:3] offset:40
	global_load_b128 v[24:27], v31, s[2:3]
	v_readfirstlane_b32 s4, v8
	v_readfirstlane_b32 s5, v9
	s_mov_b32 s1, exec_lo
	s_wait_loadcnt 0x1
	v_and_b32_e32 v38, s4, v36
	v_and_b32_e32 v39, s5, v37
	s_delay_alu instid0(VALU_DEP_1) | instskip(SKIP_1) | instid1(VALU_DEP_1)
	v_mul_u64_e32 v[8:9], 24, v[38:39]
	s_wait_loadcnt 0x0
	v_add_nc_u64_e32 v[36:37], v[24:25], v[8:9]
	s_wait_xcnt 0x0
	s_and_saveexec_b32 s10, s0
	s_cbranch_execz .LBB1_95
; %bb.94:                               ;   in Loop: Header=BB1_31 Depth=1
	v_dual_mov_b32 v8, s1 :: v_dual_mov_b32 v9, v31
	global_store_b128 v[36:37], v[8:11], off offset:8
.LBB1_95:                               ;   in Loop: Header=BB1_31 Depth=1
	s_wait_xcnt 0x0
	s_or_b32 exec_lo, exec_lo, s10
	v_cmp_gt_u64_e32 vcc_lo, 57, v[32:33]
	v_lshlrev_b64_e32 v[8:9], 12, v[38:39]
	v_and_b32_e32 v0, 0xffffff1f, v0
	v_lshl_add_u32 v39, v34, 2, 28
	v_cndmask_b32_e32 v38, 0, v28, vcc_lo
	s_delay_alu instid0(VALU_DEP_4) | instskip(NEXT) | instid1(VALU_DEP_2)
	v_add_nc_u64_e32 v[8:9], v[26:27], v[8:9]
	v_or_b32_e32 v0, v0, v38
	s_delay_alu instid0(VALU_DEP_2) | instskip(NEXT) | instid1(VALU_DEP_3)
	v_readfirstlane_b32 s10, v8
	v_readfirstlane_b32 s11, v9
	s_delay_alu instid0(VALU_DEP_3)
	v_and_or_b32 v0, 0x1e0, v39, v0
	s_clause 0x3
	global_store_b128 v30, v[0:3], s[10:11]
	global_store_b128 v30, v[12:15], s[10:11] offset:16
	global_store_b128 v30, v[16:19], s[10:11] offset:32
	;; [unrolled: 1-line block ×3, first 2 shown]
	s_wait_xcnt 0x0
	s_and_saveexec_b32 s1, s0
	s_cbranch_execz .LBB1_103
; %bb.96:                               ;   in Loop: Header=BB1_31 Depth=1
	s_clause 0x1
	global_load_b64 v[16:17], v31, s[2:3] offset:32 scope:SCOPE_SYS
	global_load_b64 v[0:1], v31, s[2:3] offset:40
	s_mov_b32 s10, exec_lo
	v_dual_mov_b32 v14, s4 :: v_dual_mov_b32 v15, s5
	s_wait_loadcnt 0x0
	v_and_b32_e32 v1, s5, v1
	v_and_b32_e32 v0, s4, v0
	s_delay_alu instid0(VALU_DEP_1) | instskip(NEXT) | instid1(VALU_DEP_1)
	v_mul_u64_e32 v[0:1], 24, v[0:1]
	v_add_nc_u64_e32 v[12:13], v[24:25], v[0:1]
	global_store_b64 v[12:13], v[16:17], off
	global_wb scope:SCOPE_SYS
	s_wait_storecnt 0x0
	s_wait_xcnt 0x0
	global_atomic_cmpswap_b64 v[2:3], v31, v[14:17], s[2:3] offset:32 th:TH_ATOMIC_RETURN scope:SCOPE_SYS
	s_wait_loadcnt 0x0
	v_cmpx_ne_u64_e64 v[2:3], v[16:17]
	s_cbranch_execz .LBB1_99
; %bb.97:                               ;   in Loop: Header=BB1_31 Depth=1
	s_mov_b32 s11, 0
.LBB1_98:                               ;   Parent Loop BB1_31 Depth=1
                                        ; =>  This Inner Loop Header: Depth=2
	v_dual_mov_b32 v0, s4 :: v_dual_mov_b32 v1, s5
	s_sleep 1
	global_store_b64 v[12:13], v[2:3], off
	global_wb scope:SCOPE_SYS
	s_wait_storecnt 0x0
	s_wait_xcnt 0x0
	global_atomic_cmpswap_b64 v[0:1], v31, v[0:3], s[2:3] offset:32 th:TH_ATOMIC_RETURN scope:SCOPE_SYS
	s_wait_loadcnt 0x0
	v_cmp_eq_u64_e32 vcc_lo, v[0:1], v[2:3]
	v_mov_b64_e32 v[2:3], v[0:1]
	s_or_b32 s11, vcc_lo, s11
	s_delay_alu instid0(SALU_CYCLE_1)
	s_and_not1_b32 exec_lo, exec_lo, s11
	s_cbranch_execnz .LBB1_98
.LBB1_99:                               ;   in Loop: Header=BB1_31 Depth=1
	s_or_b32 exec_lo, exec_lo, s10
	global_load_b64 v[0:1], v31, s[2:3] offset:16
	s_mov_b32 s11, exec_lo
	s_mov_b32 s10, exec_lo
	v_mbcnt_lo_u32_b32 v2, s11, 0
	s_wait_xcnt 0x0
	s_delay_alu instid0(VALU_DEP_1)
	v_cmpx_eq_u32_e32 0, v2
	s_cbranch_execz .LBB1_101
; %bb.100:                              ;   in Loop: Header=BB1_31 Depth=1
	s_bcnt1_i32_b32 s11, s11
	s_delay_alu instid0(SALU_CYCLE_1)
	v_dual_mov_b32 v3, v31 :: v_dual_mov_b32 v2, s11
	global_wb scope:SCOPE_SYS
	s_wait_loadcnt 0x0
	s_wait_storecnt 0x0
	global_atomic_add_u64 v[0:1], v[2:3], off offset:8 scope:SCOPE_SYS
.LBB1_101:                              ;   in Loop: Header=BB1_31 Depth=1
	s_wait_xcnt 0x0
	s_or_b32 exec_lo, exec_lo, s10
	s_wait_loadcnt 0x0
	global_load_b64 v[2:3], v[0:1], off offset:16
	s_wait_loadcnt 0x0
	v_cmp_eq_u64_e32 vcc_lo, 0, v[2:3]
	s_cbranch_vccnz .LBB1_103
; %bb.102:                              ;   in Loop: Header=BB1_31 Depth=1
	global_load_b32 v0, v[0:1], off offset:24
	s_wait_xcnt 0x0
	v_mov_b32_e32 v1, v31
	s_wait_loadcnt 0x0
	v_readfirstlane_b32 s10, v0
	global_wb scope:SCOPE_SYS
	s_wait_storecnt 0x0
	global_store_b64 v[2:3], v[0:1], off scope:SCOPE_SYS
	s_and_b32 m0, s10, 0xffffff
	s_sendmsg sendmsg(MSG_INTERRUPT)
.LBB1_103:                              ;   in Loop: Header=BB1_31 Depth=1
	s_wait_xcnt 0x0
	s_or_b32 exec_lo, exec_lo, s1
	v_add_nc_u64_e32 v[0:1], v[8:9], v[30:31]
	s_branch .LBB1_107
.LBB1_104:                              ;   in Loop: Header=BB1_107 Depth=2
	s_wait_xcnt 0x0
	s_or_b32 exec_lo, exec_lo, s1
	s_delay_alu instid0(VALU_DEP_1)
	v_readfirstlane_b32 s1, v2
	s_cmp_eq_u32 s1, 0
	s_cbranch_scc1 .LBB1_106
; %bb.105:                              ;   in Loop: Header=BB1_107 Depth=2
	s_sleep 1
	s_cbranch_execnz .LBB1_107
	s_branch .LBB1_109
.LBB1_106:                              ;   in Loop: Header=BB1_31 Depth=1
	s_branch .LBB1_109
.LBB1_107:                              ;   Parent Loop BB1_31 Depth=1
                                        ; =>  This Inner Loop Header: Depth=2
	v_mov_b32_e32 v2, 1
	s_and_saveexec_b32 s1, s0
	s_cbranch_execz .LBB1_104
; %bb.108:                              ;   in Loop: Header=BB1_107 Depth=2
	global_load_b32 v2, v[36:37], off offset:20 scope:SCOPE_SYS
	s_wait_loadcnt 0x0
	global_inv scope:SCOPE_SYS
	v_and_b32_e32 v2, 1, v2
	s_branch .LBB1_104
.LBB1_109:                              ;   in Loop: Header=BB1_31 Depth=1
	global_load_b64 v[0:1], v[0:1], off
	s_wait_xcnt 0x0
	s_and_saveexec_b32 s10, s0
	s_cbranch_execz .LBB1_30
; %bb.110:                              ;   in Loop: Header=BB1_31 Depth=1
	s_clause 0x2
	global_load_b64 v[2:3], v31, s[2:3] offset:40
	global_load_b64 v[16:17], v31, s[2:3] offset:24 scope:SCOPE_SYS
	global_load_b64 v[8:9], v31, s[2:3]
	s_wait_loadcnt 0x2
	v_readfirstlane_b32 s12, v2
	v_readfirstlane_b32 s13, v3
	s_add_nc_u64 s[0:1], s[12:13], 1
	s_delay_alu instid0(SALU_CYCLE_1) | instskip(NEXT) | instid1(SALU_CYCLE_1)
	s_add_nc_u64 s[4:5], s[0:1], s[4:5]
	s_cmp_eq_u64 s[4:5], 0
	s_cselect_b32 s1, s1, s5
	s_cselect_b32 s0, s0, s4
	s_delay_alu instid0(SALU_CYCLE_1) | instskip(SKIP_1) | instid1(SALU_CYCLE_1)
	v_dual_mov_b32 v15, s1 :: v_dual_mov_b32 v14, s0
	s_and_b64 s[4:5], s[0:1], s[12:13]
	s_mul_u64 s[4:5], s[4:5], 24
	s_wait_loadcnt 0x0
	v_add_nc_u64_e32 v[2:3], s[4:5], v[8:9]
	global_store_b64 v[2:3], v[16:17], off
	global_wb scope:SCOPE_SYS
	s_wait_storecnt 0x0
	s_wait_xcnt 0x0
	global_atomic_cmpswap_b64 v[14:15], v31, v[14:17], s[2:3] offset:24 th:TH_ATOMIC_RETURN scope:SCOPE_SYS
	s_wait_loadcnt 0x0
	v_cmp_ne_u64_e32 vcc_lo, v[14:15], v[16:17]
	s_and_b32 exec_lo, exec_lo, vcc_lo
	s_cbranch_execz .LBB1_30
; %bb.111:                              ;   in Loop: Header=BB1_31 Depth=1
	s_mov_b32 s4, 0
.LBB1_112:                              ;   Parent Loop BB1_31 Depth=1
                                        ; =>  This Inner Loop Header: Depth=2
	v_dual_mov_b32 v12, s0 :: v_dual_mov_b32 v13, s1
	s_sleep 1
	global_store_b64 v[2:3], v[14:15], off
	global_wb scope:SCOPE_SYS
	s_wait_storecnt 0x0
	s_wait_xcnt 0x0
	global_atomic_cmpswap_b64 v[8:9], v31, v[12:15], s[2:3] offset:24 th:TH_ATOMIC_RETURN scope:SCOPE_SYS
	s_wait_loadcnt 0x0
	v_cmp_eq_u64_e32 vcc_lo, v[8:9], v[14:15]
	v_mov_b64_e32 v[14:15], v[8:9]
	s_or_b32 s4, vcc_lo, s4
	s_delay_alu instid0(SALU_CYCLE_1)
	s_and_not1_b32 exec_lo, exec_lo, s4
	s_cbranch_execnz .LBB1_112
	s_branch .LBB1_30
.LBB1_113:
                                        ; implicit-def: $vgpr0_vgpr1
	s_cbranch_execnz .LBB1_193
.LBB1_114:
	s_get_pc_i64 s[4:5]
	s_add_nc_u64 s[4:5], s[4:5], .str.4@rel64+4
	s_delay_alu instid0(SALU_CYCLE_1)
	s_cmp_lg_u64 s[4:5], 0
	s_cbranch_scc0 .LBB1_221
.LBB1_115:
	v_mov_b64_e32 v[12:13], 0x100000002
	s_get_pc_i64 s[0:1]
	s_add_nc_u64 s[0:1], s[0:1], .str.4@rel64+80
	s_wait_loadcnt 0x0
	v_dual_mov_b32 v11, 0 :: v_dual_bitop2_b32 v2, 2, v0 bitop3:0x40
	v_dual_mov_b32 v7, v1 :: v_dual_bitop2_b32 v6, -3, v0 bitop3:0x40
	s_sub_co_i32 s6, s0, s4
	s_delay_alu instid0(SALU_CYCLE_1)
	s_ashr_i32 s7, s6, 31
	s_branch .LBB1_117
.LBB1_116:                              ;   in Loop: Header=BB1_117 Depth=1
	s_or_b32 exec_lo, exec_lo, s14
	s_sub_nc_u64 s[6:7], s[6:7], s[10:11]
	s_add_nc_u64 s[4:5], s[4:5], s[10:11]
	s_cmp_lg_u64 s[6:7], 0
	s_cbranch_scc0 .LBB1_215
.LBB1_117:                              ; =>This Loop Header: Depth=1
                                        ;     Child Loop BB1_120 Depth 2
                                        ;     Child Loop BB1_127 Depth 2
	;; [unrolled: 1-line block ×11, first 2 shown]
	v_min_u64 v[8:9], s[6:7], 56
	v_cmp_gt_u64_e64 s0, s[6:7], 7
	s_and_b32 vcc_lo, exec_lo, s0
	v_readfirstlane_b32 s10, v8
	v_readfirstlane_b32 s11, v9
	s_cbranch_vccnz .LBB1_122
; %bb.118:                              ;   in Loop: Header=BB1_117 Depth=1
	v_mov_b64_e32 v[8:9], 0
	s_cmp_eq_u64 s[6:7], 0
	s_cbranch_scc1 .LBB1_121
; %bb.119:                              ;   in Loop: Header=BB1_117 Depth=1
	s_mov_b64 s[0:1], 0
	s_mov_b64 s[12:13], 0
.LBB1_120:                              ;   Parent Loop BB1_117 Depth=1
                                        ; =>  This Inner Loop Header: Depth=2
	s_wait_xcnt 0x0
	s_add_nc_u64 s[14:15], s[4:5], s[12:13]
	s_add_nc_u64 s[12:13], s[12:13], 1
	global_load_u8 v3, v11, s[14:15]
	s_cmp_lg_u32 s10, s12
	s_wait_loadcnt 0x0
	v_and_b32_e32 v10, 0xffff, v3
	s_delay_alu instid0(VALU_DEP_1) | instskip(SKIP_1) | instid1(VALU_DEP_1)
	v_lshlrev_b64_e32 v[14:15], s0, v[10:11]
	s_add_nc_u64 s[0:1], s[0:1], 8
	v_or_b32_e32 v8, v14, v8
	s_delay_alu instid0(VALU_DEP_2)
	v_or_b32_e32 v9, v15, v9
	s_cbranch_scc1 .LBB1_120
.LBB1_121:                              ;   in Loop: Header=BB1_117 Depth=1
	s_mov_b64 s[12:13], s[4:5]
	s_mov_b32 s16, 0
	s_cbranch_execz .LBB1_123
	s_branch .LBB1_124
.LBB1_122:                              ;   in Loop: Header=BB1_117 Depth=1
	s_add_nc_u64 s[12:13], s[4:5], 8
	s_mov_b32 s16, 0
.LBB1_123:                              ;   in Loop: Header=BB1_117 Depth=1
	global_load_b64 v[8:9], v11, s[4:5]
	s_add_co_i32 s16, s10, -8
.LBB1_124:                              ;   in Loop: Header=BB1_117 Depth=1
	s_delay_alu instid0(SALU_CYCLE_1)
	s_cmp_gt_u32 s16, 7
	s_cbranch_scc1 .LBB1_129
; %bb.125:                              ;   in Loop: Header=BB1_117 Depth=1
	v_mov_b64_e32 v[14:15], 0
	s_cmp_eq_u32 s16, 0
	s_cbranch_scc1 .LBB1_128
; %bb.126:                              ;   in Loop: Header=BB1_117 Depth=1
	s_mov_b64 s[0:1], 0
	s_wait_xcnt 0x0
	s_mov_b64 s[14:15], 0
.LBB1_127:                              ;   Parent Loop BB1_117 Depth=1
                                        ; =>  This Inner Loop Header: Depth=2
	s_wait_xcnt 0x0
	s_add_nc_u64 s[18:19], s[12:13], s[14:15]
	s_add_nc_u64 s[14:15], s[14:15], 1
	global_load_u8 v3, v11, s[18:19]
	s_cmp_lg_u32 s16, s14
	s_wait_loadcnt 0x0
	v_and_b32_e32 v10, 0xffff, v3
	s_delay_alu instid0(VALU_DEP_1) | instskip(SKIP_1) | instid1(VALU_DEP_1)
	v_lshlrev_b64_e32 v[16:17], s0, v[10:11]
	s_add_nc_u64 s[0:1], s[0:1], 8
	v_or_b32_e32 v14, v16, v14
	s_delay_alu instid0(VALU_DEP_2)
	v_or_b32_e32 v15, v17, v15
	s_cbranch_scc1 .LBB1_127
.LBB1_128:                              ;   in Loop: Header=BB1_117 Depth=1
	s_wait_xcnt 0x0
	s_mov_b64 s[0:1], s[12:13]
	s_mov_b32 s17, 0
	s_cbranch_execz .LBB1_130
	s_branch .LBB1_131
.LBB1_129:                              ;   in Loop: Header=BB1_117 Depth=1
	s_add_nc_u64 s[0:1], s[12:13], 8
	s_wait_xcnt 0x0
                                        ; implicit-def: $vgpr14_vgpr15
	s_mov_b32 s17, 0
.LBB1_130:                              ;   in Loop: Header=BB1_117 Depth=1
	global_load_b64 v[14:15], v11, s[12:13]
	s_add_co_i32 s17, s16, -8
.LBB1_131:                              ;   in Loop: Header=BB1_117 Depth=1
	s_delay_alu instid0(SALU_CYCLE_1)
	s_cmp_gt_u32 s17, 7
	s_cbranch_scc1 .LBB1_136
; %bb.132:                              ;   in Loop: Header=BB1_117 Depth=1
	v_mov_b64_e32 v[16:17], 0
	s_cmp_eq_u32 s17, 0
	s_cbranch_scc1 .LBB1_135
; %bb.133:                              ;   in Loop: Header=BB1_117 Depth=1
	s_wait_xcnt 0x0
	s_mov_b64 s[12:13], 0
	s_mov_b64 s[14:15], 0
.LBB1_134:                              ;   Parent Loop BB1_117 Depth=1
                                        ; =>  This Inner Loop Header: Depth=2
	s_wait_xcnt 0x0
	s_add_nc_u64 s[18:19], s[0:1], s[14:15]
	s_add_nc_u64 s[14:15], s[14:15], 1
	global_load_u8 v3, v11, s[18:19]
	s_cmp_lg_u32 s17, s14
	s_wait_loadcnt 0x0
	v_and_b32_e32 v10, 0xffff, v3
	s_delay_alu instid0(VALU_DEP_1) | instskip(SKIP_1) | instid1(VALU_DEP_1)
	v_lshlrev_b64_e32 v[18:19], s12, v[10:11]
	s_add_nc_u64 s[12:13], s[12:13], 8
	v_or_b32_e32 v16, v18, v16
	s_delay_alu instid0(VALU_DEP_2)
	v_or_b32_e32 v17, v19, v17
	s_cbranch_scc1 .LBB1_134
.LBB1_135:                              ;   in Loop: Header=BB1_117 Depth=1
	s_wait_xcnt 0x0
	s_mov_b64 s[12:13], s[0:1]
	s_mov_b32 s16, 0
	s_cbranch_execz .LBB1_137
	s_branch .LBB1_138
.LBB1_136:                              ;   in Loop: Header=BB1_117 Depth=1
	s_wait_xcnt 0x0
	s_add_nc_u64 s[12:13], s[0:1], 8
	s_mov_b32 s16, 0
.LBB1_137:                              ;   in Loop: Header=BB1_117 Depth=1
	global_load_b64 v[16:17], v11, s[0:1]
	s_add_co_i32 s16, s17, -8
.LBB1_138:                              ;   in Loop: Header=BB1_117 Depth=1
	s_delay_alu instid0(SALU_CYCLE_1)
	s_cmp_gt_u32 s16, 7
	s_cbranch_scc1 .LBB1_143
; %bb.139:                              ;   in Loop: Header=BB1_117 Depth=1
	v_mov_b64_e32 v[18:19], 0
	s_cmp_eq_u32 s16, 0
	s_cbranch_scc1 .LBB1_142
; %bb.140:                              ;   in Loop: Header=BB1_117 Depth=1
	s_wait_xcnt 0x0
	s_mov_b64 s[0:1], 0
	s_mov_b64 s[14:15], 0
.LBB1_141:                              ;   Parent Loop BB1_117 Depth=1
                                        ; =>  This Inner Loop Header: Depth=2
	s_wait_xcnt 0x0
	s_add_nc_u64 s[18:19], s[12:13], s[14:15]
	s_add_nc_u64 s[14:15], s[14:15], 1
	global_load_u8 v3, v11, s[18:19]
	s_cmp_lg_u32 s16, s14
	s_wait_loadcnt 0x0
	v_and_b32_e32 v10, 0xffff, v3
	s_delay_alu instid0(VALU_DEP_1) | instskip(SKIP_1) | instid1(VALU_DEP_1)
	v_lshlrev_b64_e32 v[20:21], s0, v[10:11]
	s_add_nc_u64 s[0:1], s[0:1], 8
	v_or_b32_e32 v18, v20, v18
	s_delay_alu instid0(VALU_DEP_2)
	v_or_b32_e32 v19, v21, v19
	s_cbranch_scc1 .LBB1_141
.LBB1_142:                              ;   in Loop: Header=BB1_117 Depth=1
	s_wait_xcnt 0x0
	s_mov_b64 s[0:1], s[12:13]
	s_mov_b32 s17, 0
	s_cbranch_execz .LBB1_144
	s_branch .LBB1_145
.LBB1_143:                              ;   in Loop: Header=BB1_117 Depth=1
	s_wait_xcnt 0x0
	s_add_nc_u64 s[0:1], s[12:13], 8
                                        ; implicit-def: $vgpr18_vgpr19
	s_mov_b32 s17, 0
.LBB1_144:                              ;   in Loop: Header=BB1_117 Depth=1
	global_load_b64 v[18:19], v11, s[12:13]
	s_add_co_i32 s17, s16, -8
.LBB1_145:                              ;   in Loop: Header=BB1_117 Depth=1
	s_delay_alu instid0(SALU_CYCLE_1)
	s_cmp_gt_u32 s17, 7
	s_cbranch_scc1 .LBB1_150
; %bb.146:                              ;   in Loop: Header=BB1_117 Depth=1
	v_mov_b64_e32 v[20:21], 0
	s_cmp_eq_u32 s17, 0
	s_cbranch_scc1 .LBB1_149
; %bb.147:                              ;   in Loop: Header=BB1_117 Depth=1
	s_wait_xcnt 0x0
	s_mov_b64 s[12:13], 0
	s_mov_b64 s[14:15], 0
.LBB1_148:                              ;   Parent Loop BB1_117 Depth=1
                                        ; =>  This Inner Loop Header: Depth=2
	s_wait_xcnt 0x0
	s_add_nc_u64 s[18:19], s[0:1], s[14:15]
	s_add_nc_u64 s[14:15], s[14:15], 1
	global_load_u8 v3, v11, s[18:19]
	s_cmp_lg_u32 s17, s14
	s_wait_loadcnt 0x0
	v_and_b32_e32 v10, 0xffff, v3
	s_delay_alu instid0(VALU_DEP_1) | instskip(SKIP_1) | instid1(VALU_DEP_1)
	v_lshlrev_b64_e32 v[22:23], s12, v[10:11]
	s_add_nc_u64 s[12:13], s[12:13], 8
	v_or_b32_e32 v20, v22, v20
	s_delay_alu instid0(VALU_DEP_2)
	v_or_b32_e32 v21, v23, v21
	s_cbranch_scc1 .LBB1_148
.LBB1_149:                              ;   in Loop: Header=BB1_117 Depth=1
	s_wait_xcnt 0x0
	s_mov_b64 s[12:13], s[0:1]
	s_mov_b32 s16, 0
	s_cbranch_execz .LBB1_151
	s_branch .LBB1_152
.LBB1_150:                              ;   in Loop: Header=BB1_117 Depth=1
	s_wait_xcnt 0x0
	s_add_nc_u64 s[12:13], s[0:1], 8
	s_mov_b32 s16, 0
.LBB1_151:                              ;   in Loop: Header=BB1_117 Depth=1
	global_load_b64 v[20:21], v11, s[0:1]
	s_add_co_i32 s16, s17, -8
.LBB1_152:                              ;   in Loop: Header=BB1_117 Depth=1
	s_delay_alu instid0(SALU_CYCLE_1)
	s_cmp_gt_u32 s16, 7
	s_cbranch_scc1 .LBB1_157
; %bb.153:                              ;   in Loop: Header=BB1_117 Depth=1
	v_mov_b64_e32 v[22:23], 0
	s_cmp_eq_u32 s16, 0
	s_cbranch_scc1 .LBB1_156
; %bb.154:                              ;   in Loop: Header=BB1_117 Depth=1
	s_wait_xcnt 0x0
	s_mov_b64 s[0:1], 0
	s_mov_b64 s[14:15], 0
.LBB1_155:                              ;   Parent Loop BB1_117 Depth=1
                                        ; =>  This Inner Loop Header: Depth=2
	s_wait_xcnt 0x0
	s_add_nc_u64 s[18:19], s[12:13], s[14:15]
	s_add_nc_u64 s[14:15], s[14:15], 1
	global_load_u8 v3, v11, s[18:19]
	s_cmp_lg_u32 s16, s14
	s_wait_loadcnt 0x0
	v_and_b32_e32 v10, 0xffff, v3
	s_delay_alu instid0(VALU_DEP_1) | instskip(SKIP_1) | instid1(VALU_DEP_1)
	v_lshlrev_b64_e32 v[24:25], s0, v[10:11]
	s_add_nc_u64 s[0:1], s[0:1], 8
	v_or_b32_e32 v22, v24, v22
	s_delay_alu instid0(VALU_DEP_2)
	v_or_b32_e32 v23, v25, v23
	s_cbranch_scc1 .LBB1_155
.LBB1_156:                              ;   in Loop: Header=BB1_117 Depth=1
	s_wait_xcnt 0x0
	s_mov_b64 s[0:1], s[12:13]
	s_mov_b32 s17, 0
	s_cbranch_execz .LBB1_158
	s_branch .LBB1_159
.LBB1_157:                              ;   in Loop: Header=BB1_117 Depth=1
	s_wait_xcnt 0x0
	s_add_nc_u64 s[0:1], s[12:13], 8
                                        ; implicit-def: $vgpr22_vgpr23
	s_mov_b32 s17, 0
.LBB1_158:                              ;   in Loop: Header=BB1_117 Depth=1
	global_load_b64 v[22:23], v11, s[12:13]
	s_add_co_i32 s17, s16, -8
.LBB1_159:                              ;   in Loop: Header=BB1_117 Depth=1
	s_delay_alu instid0(SALU_CYCLE_1)
	s_cmp_gt_u32 s17, 7
	s_cbranch_scc1 .LBB1_164
; %bb.160:                              ;   in Loop: Header=BB1_117 Depth=1
	v_mov_b64_e32 v[24:25], 0
	s_cmp_eq_u32 s17, 0
	s_cbranch_scc1 .LBB1_163
; %bb.161:                              ;   in Loop: Header=BB1_117 Depth=1
	s_wait_xcnt 0x0
	s_mov_b64 s[12:13], 0
	s_mov_b64 s[14:15], s[0:1]
.LBB1_162:                              ;   Parent Loop BB1_117 Depth=1
                                        ; =>  This Inner Loop Header: Depth=2
	global_load_u8 v3, v11, s[14:15]
	s_add_co_i32 s17, s17, -1
	s_wait_xcnt 0x0
	s_add_nc_u64 s[14:15], s[14:15], 1
	s_cmp_lg_u32 s17, 0
	s_wait_loadcnt 0x0
	v_and_b32_e32 v10, 0xffff, v3
	s_delay_alu instid0(VALU_DEP_1) | instskip(SKIP_1) | instid1(VALU_DEP_1)
	v_lshlrev_b64_e32 v[26:27], s12, v[10:11]
	s_add_nc_u64 s[12:13], s[12:13], 8
	v_or_b32_e32 v24, v26, v24
	s_delay_alu instid0(VALU_DEP_2)
	v_or_b32_e32 v25, v27, v25
	s_cbranch_scc1 .LBB1_162
.LBB1_163:                              ;   in Loop: Header=BB1_117 Depth=1
	s_wait_xcnt 0x0
	s_cbranch_execz .LBB1_165
	s_branch .LBB1_166
.LBB1_164:                              ;   in Loop: Header=BB1_117 Depth=1
	s_wait_xcnt 0x0
.LBB1_165:                              ;   in Loop: Header=BB1_117 Depth=1
	global_load_b64 v[24:25], v11, s[0:1]
.LBB1_166:                              ;   in Loop: Header=BB1_117 Depth=1
	s_wait_xcnt 0x0
	v_readfirstlane_b32 s0, v48
	v_mov_b64_e32 v[32:33], 0
	s_delay_alu instid0(VALU_DEP_2)
	v_cmp_eq_u32_e64 s0, s0, v48
	s_and_saveexec_b32 s1, s0
	s_cbranch_execz .LBB1_172
; %bb.167:                              ;   in Loop: Header=BB1_117 Depth=1
	global_load_b64 v[28:29], v11, s[2:3] offset:24 scope:SCOPE_SYS
	s_wait_loadcnt 0x0
	global_inv scope:SCOPE_SYS
	s_clause 0x1
	global_load_b64 v[26:27], v11, s[2:3] offset:40
	global_load_b64 v[32:33], v11, s[2:3]
	s_mov_b32 s12, exec_lo
	s_wait_loadcnt 0x1
	v_and_b32_e32 v26, v26, v28
	v_and_b32_e32 v27, v27, v29
	s_delay_alu instid0(VALU_DEP_1) | instskip(SKIP_1) | instid1(VALU_DEP_1)
	v_mul_u64_e32 v[26:27], 24, v[26:27]
	s_wait_loadcnt 0x0
	v_add_nc_u64_e32 v[26:27], v[32:33], v[26:27]
	global_load_b64 v[26:27], v[26:27], off scope:SCOPE_SYS
	s_wait_xcnt 0x0
	s_wait_loadcnt 0x0
	global_atomic_cmpswap_b64 v[32:33], v11, v[26:29], s[2:3] offset:24 th:TH_ATOMIC_RETURN scope:SCOPE_SYS
	s_wait_loadcnt 0x0
	global_inv scope:SCOPE_SYS
	s_wait_xcnt 0x0
	v_cmpx_ne_u64_e64 v[32:33], v[28:29]
	s_cbranch_execz .LBB1_171
; %bb.168:                              ;   in Loop: Header=BB1_117 Depth=1
	s_mov_b32 s13, 0
.LBB1_169:                              ;   Parent Loop BB1_117 Depth=1
                                        ; =>  This Inner Loop Header: Depth=2
	s_sleep 1
	s_clause 0x1
	global_load_b64 v[26:27], v11, s[2:3] offset:40
	global_load_b64 v[34:35], v11, s[2:3]
	v_mov_b64_e32 v[28:29], v[32:33]
	s_wait_loadcnt 0x1
	s_delay_alu instid0(VALU_DEP_1) | instskip(SKIP_1) | instid1(VALU_DEP_1)
	v_and_b32_e32 v3, v26, v28
	s_wait_loadcnt 0x0
	v_mad_nc_u64_u32 v[32:33], v3, 24, v[34:35]
	s_delay_alu instid0(VALU_DEP_3) | instskip(NEXT) | instid1(VALU_DEP_1)
	v_and_b32_e32 v3, v27, v29
	v_mad_u32 v33, v3, 24, v33
	global_load_b64 v[26:27], v[32:33], off scope:SCOPE_SYS
	s_wait_xcnt 0x0
	s_wait_loadcnt 0x0
	global_atomic_cmpswap_b64 v[32:33], v11, v[26:29], s[2:3] offset:24 th:TH_ATOMIC_RETURN scope:SCOPE_SYS
	s_wait_loadcnt 0x0
	global_inv scope:SCOPE_SYS
	v_cmp_eq_u64_e32 vcc_lo, v[32:33], v[28:29]
	s_or_b32 s13, vcc_lo, s13
	s_wait_xcnt 0x0
	s_and_not1_b32 exec_lo, exec_lo, s13
	s_cbranch_execnz .LBB1_169
; %bb.170:                              ;   in Loop: Header=BB1_117 Depth=1
	s_or_b32 exec_lo, exec_lo, s13
.LBB1_171:                              ;   in Loop: Header=BB1_117 Depth=1
	s_delay_alu instid0(SALU_CYCLE_1)
	s_or_b32 exec_lo, exec_lo, s12
.LBB1_172:                              ;   in Loop: Header=BB1_117 Depth=1
	s_delay_alu instid0(SALU_CYCLE_1)
	s_or_b32 exec_lo, exec_lo, s1
	s_clause 0x1
	global_load_b64 v[34:35], v11, s[2:3] offset:40
	global_load_b128 v[26:29], v11, s[2:3]
	v_readfirstlane_b32 s12, v32
	v_readfirstlane_b32 s13, v33
	s_mov_b32 s1, exec_lo
	s_wait_loadcnt 0x1
	v_and_b32_e32 v34, s12, v34
	v_and_b32_e32 v35, s13, v35
	s_delay_alu instid0(VALU_DEP_1) | instskip(SKIP_1) | instid1(VALU_DEP_1)
	v_mul_u64_e32 v[32:33], 24, v[34:35]
	s_wait_loadcnt 0x0
	v_add_nc_u64_e32 v[32:33], v[26:27], v[32:33]
	s_wait_xcnt 0x0
	s_and_saveexec_b32 s14, s0
	s_cbranch_execz .LBB1_174
; %bb.173:                              ;   in Loop: Header=BB1_117 Depth=1
	v_mov_b32_e32 v10, s1
	global_store_b128 v[32:33], v[10:13], off offset:8
.LBB1_174:                              ;   in Loop: Header=BB1_117 Depth=1
	s_wait_xcnt 0x0
	s_or_b32 exec_lo, exec_lo, s14
	v_cmp_lt_u64_e64 vcc_lo, s[6:7], 57
	v_lshlrev_b64_e32 v[34:35], 12, v[34:35]
	v_and_b32_e32 v6, 0xffffff1f, v6
	s_lshl_b32 s1, s10, 2
	s_delay_alu instid0(SALU_CYCLE_1) | instskip(SKIP_1) | instid1(VALU_DEP_3)
	s_add_co_i32 s1, s1, 28
	v_cndmask_b32_e32 v3, 0, v2, vcc_lo
	v_add_nc_u64_e32 v[28:29], v[28:29], v[34:35]
	s_delay_alu instid0(VALU_DEP_2) | instskip(NEXT) | instid1(VALU_DEP_2)
	v_or_b32_e32 v3, v6, v3
	v_readfirstlane_b32 s14, v28
	s_delay_alu instid0(VALU_DEP_3) | instskip(NEXT) | instid1(VALU_DEP_3)
	v_readfirstlane_b32 s15, v29
	v_and_or_b32 v6, 0x1e0, s1, v3
	s_clause 0x3
	global_store_b128 v30, v[6:9], s[14:15]
	global_store_b128 v30, v[14:17], s[14:15] offset:16
	global_store_b128 v30, v[18:21], s[14:15] offset:32
	;; [unrolled: 1-line block ×3, first 2 shown]
	s_wait_xcnt 0x0
	s_and_saveexec_b32 s1, s0
	s_cbranch_execz .LBB1_182
; %bb.175:                              ;   in Loop: Header=BB1_117 Depth=1
	s_clause 0x1
	global_load_b64 v[18:19], v11, s[2:3] offset:32 scope:SCOPE_SYS
	global_load_b64 v[6:7], v11, s[2:3] offset:40
	s_mov_b32 s14, exec_lo
	v_dual_mov_b32 v16, s12 :: v_dual_mov_b32 v17, s13
	s_wait_loadcnt 0x0
	v_and_b32_e32 v7, s13, v7
	v_and_b32_e32 v6, s12, v6
	s_delay_alu instid0(VALU_DEP_1) | instskip(NEXT) | instid1(VALU_DEP_1)
	v_mul_u64_e32 v[6:7], 24, v[6:7]
	v_add_nc_u64_e32 v[14:15], v[26:27], v[6:7]
	global_store_b64 v[14:15], v[18:19], off
	global_wb scope:SCOPE_SYS
	s_wait_storecnt 0x0
	s_wait_xcnt 0x0
	global_atomic_cmpswap_b64 v[8:9], v11, v[16:19], s[2:3] offset:32 th:TH_ATOMIC_RETURN scope:SCOPE_SYS
	s_wait_loadcnt 0x0
	v_cmpx_ne_u64_e64 v[8:9], v[18:19]
	s_cbranch_execz .LBB1_178
; %bb.176:                              ;   in Loop: Header=BB1_117 Depth=1
	s_mov_b32 s15, 0
.LBB1_177:                              ;   Parent Loop BB1_117 Depth=1
                                        ; =>  This Inner Loop Header: Depth=2
	v_dual_mov_b32 v6, s12 :: v_dual_mov_b32 v7, s13
	s_sleep 1
	global_store_b64 v[14:15], v[8:9], off
	global_wb scope:SCOPE_SYS
	s_wait_storecnt 0x0
	s_wait_xcnt 0x0
	global_atomic_cmpswap_b64 v[6:7], v11, v[6:9], s[2:3] offset:32 th:TH_ATOMIC_RETURN scope:SCOPE_SYS
	s_wait_loadcnt 0x0
	v_cmp_eq_u64_e32 vcc_lo, v[6:7], v[8:9]
	v_mov_b64_e32 v[8:9], v[6:7]
	s_or_b32 s15, vcc_lo, s15
	s_delay_alu instid0(SALU_CYCLE_1)
	s_and_not1_b32 exec_lo, exec_lo, s15
	s_cbranch_execnz .LBB1_177
.LBB1_178:                              ;   in Loop: Header=BB1_117 Depth=1
	s_or_b32 exec_lo, exec_lo, s14
	global_load_b64 v[6:7], v11, s[2:3] offset:16
	s_mov_b32 s15, exec_lo
	s_mov_b32 s14, exec_lo
	v_mbcnt_lo_u32_b32 v3, s15, 0
	s_wait_xcnt 0x0
	s_delay_alu instid0(VALU_DEP_1)
	v_cmpx_eq_u32_e32 0, v3
	s_cbranch_execz .LBB1_180
; %bb.179:                              ;   in Loop: Header=BB1_117 Depth=1
	s_bcnt1_i32_b32 s15, s15
	s_delay_alu instid0(SALU_CYCLE_1)
	v_mov_b32_e32 v10, s15
	global_wb scope:SCOPE_SYS
	s_wait_loadcnt 0x0
	s_wait_storecnt 0x0
	global_atomic_add_u64 v[6:7], v[10:11], off offset:8 scope:SCOPE_SYS
.LBB1_180:                              ;   in Loop: Header=BB1_117 Depth=1
	s_wait_xcnt 0x0
	s_or_b32 exec_lo, exec_lo, s14
	s_wait_loadcnt 0x0
	global_load_b64 v[8:9], v[6:7], off offset:16
	s_wait_loadcnt 0x0
	v_cmp_eq_u64_e32 vcc_lo, 0, v[8:9]
	s_cbranch_vccnz .LBB1_182
; %bb.181:                              ;   in Loop: Header=BB1_117 Depth=1
	global_load_b32 v10, v[6:7], off offset:24
	s_wait_loadcnt 0x0
	v_readfirstlane_b32 s14, v10
	global_wb scope:SCOPE_SYS
	s_wait_storecnt 0x0
	s_wait_xcnt 0x0
	global_store_b64 v[8:9], v[10:11], off scope:SCOPE_SYS
	s_and_b32 m0, s14, 0xffffff
	s_sendmsg sendmsg(MSG_INTERRUPT)
.LBB1_182:                              ;   in Loop: Header=BB1_117 Depth=1
	s_wait_xcnt 0x0
	s_or_b32 exec_lo, exec_lo, s1
	v_mov_b32_e32 v31, v11
	s_delay_alu instid0(VALU_DEP_1)
	v_add_nc_u64_e32 v[6:7], v[28:29], v[30:31]
	s_branch .LBB1_186
.LBB1_183:                              ;   in Loop: Header=BB1_186 Depth=2
	s_wait_xcnt 0x0
	s_or_b32 exec_lo, exec_lo, s1
	s_delay_alu instid0(VALU_DEP_1)
	v_readfirstlane_b32 s1, v3
	s_cmp_eq_u32 s1, 0
	s_cbranch_scc1 .LBB1_185
; %bb.184:                              ;   in Loop: Header=BB1_186 Depth=2
	s_sleep 1
	s_cbranch_execnz .LBB1_186
	s_branch .LBB1_188
.LBB1_185:                              ;   in Loop: Header=BB1_117 Depth=1
	s_branch .LBB1_188
.LBB1_186:                              ;   Parent Loop BB1_117 Depth=1
                                        ; =>  This Inner Loop Header: Depth=2
	v_mov_b32_e32 v3, 1
	s_and_saveexec_b32 s1, s0
	s_cbranch_execz .LBB1_183
; %bb.187:                              ;   in Loop: Header=BB1_186 Depth=2
	global_load_b32 v3, v[32:33], off offset:20 scope:SCOPE_SYS
	s_wait_loadcnt 0x0
	global_inv scope:SCOPE_SYS
	v_and_b32_e32 v3, 1, v3
	s_branch .LBB1_183
.LBB1_188:                              ;   in Loop: Header=BB1_117 Depth=1
	global_load_b64 v[6:7], v[6:7], off
	s_wait_xcnt 0x0
	s_and_saveexec_b32 s14, s0
	s_cbranch_execz .LBB1_116
; %bb.189:                              ;   in Loop: Header=BB1_117 Depth=1
	s_clause 0x2
	global_load_b64 v[8:9], v11, s[2:3] offset:40
	global_load_b64 v[18:19], v11, s[2:3] offset:24 scope:SCOPE_SYS
	global_load_b64 v[14:15], v11, s[2:3]
	s_wait_loadcnt 0x2
	v_readfirstlane_b32 s16, v8
	v_readfirstlane_b32 s17, v9
	s_add_nc_u64 s[0:1], s[16:17], 1
	s_delay_alu instid0(SALU_CYCLE_1) | instskip(NEXT) | instid1(SALU_CYCLE_1)
	s_add_nc_u64 s[12:13], s[0:1], s[12:13]
	s_cmp_eq_u64 s[12:13], 0
	s_cselect_b32 s1, s1, s13
	s_cselect_b32 s0, s0, s12
	s_delay_alu instid0(SALU_CYCLE_1) | instskip(SKIP_1) | instid1(SALU_CYCLE_1)
	v_dual_mov_b32 v17, s1 :: v_dual_mov_b32 v16, s0
	s_and_b64 s[12:13], s[0:1], s[16:17]
	s_mul_u64 s[12:13], s[12:13], 24
	s_wait_loadcnt 0x0
	v_add_nc_u64_e32 v[8:9], s[12:13], v[14:15]
	global_store_b64 v[8:9], v[18:19], off
	global_wb scope:SCOPE_SYS
	s_wait_storecnt 0x0
	s_wait_xcnt 0x0
	global_atomic_cmpswap_b64 v[16:17], v11, v[16:19], s[2:3] offset:24 th:TH_ATOMIC_RETURN scope:SCOPE_SYS
	s_wait_loadcnt 0x0
	v_cmp_ne_u64_e32 vcc_lo, v[16:17], v[18:19]
	s_and_b32 exec_lo, exec_lo, vcc_lo
	s_cbranch_execz .LBB1_116
; %bb.190:                              ;   in Loop: Header=BB1_117 Depth=1
	s_mov_b32 s12, 0
.LBB1_191:                              ;   Parent Loop BB1_117 Depth=1
                                        ; =>  This Inner Loop Header: Depth=2
	v_dual_mov_b32 v14, s0 :: v_dual_mov_b32 v15, s1
	s_sleep 1
	global_store_b64 v[8:9], v[16:17], off
	global_wb scope:SCOPE_SYS
	s_wait_storecnt 0x0
	s_wait_xcnt 0x0
	global_atomic_cmpswap_b64 v[14:15], v11, v[14:17], s[2:3] offset:24 th:TH_ATOMIC_RETURN scope:SCOPE_SYS
	s_wait_loadcnt 0x0
	v_cmp_eq_u64_e32 vcc_lo, v[14:15], v[16:17]
	v_mov_b64_e32 v[16:17], v[14:15]
	s_or_b32 s12, vcc_lo, s12
	s_delay_alu instid0(SALU_CYCLE_1)
	s_and_not1_b32 exec_lo, exec_lo, s12
	s_cbranch_execnz .LBB1_191
	s_branch .LBB1_116
.LBB1_192:
	s_or_b32 exec_lo, exec_lo, s6
	s_branch .LBB1_114
.LBB1_193:
	v_readfirstlane_b32 s0, v48
	v_mov_b64_e32 v[8:9], 0
	s_delay_alu instid0(VALU_DEP_2)
	v_cmp_eq_u32_e64 s0, s0, v48
	s_and_saveexec_b32 s1, s0
	s_cbranch_execz .LBB1_199
; %bb.194:
	s_wait_loadcnt 0x0
	v_mov_b32_e32 v0, 0
	s_mov_b32 s4, exec_lo
	global_load_b64 v[10:11], v0, s[2:3] offset:24 scope:SCOPE_SYS
	s_wait_loadcnt 0x0
	global_inv scope:SCOPE_SYS
	s_clause 0x1
	global_load_b64 v[2:3], v0, s[2:3] offset:40
	global_load_b64 v[8:9], v0, s[2:3]
	s_wait_loadcnt 0x1
	v_and_b32_e32 v2, v2, v10
	v_and_b32_e32 v3, v3, v11
	s_delay_alu instid0(VALU_DEP_1) | instskip(SKIP_1) | instid1(VALU_DEP_1)
	v_mul_u64_e32 v[2:3], 24, v[2:3]
	s_wait_loadcnt 0x0
	v_add_nc_u64_e32 v[2:3], v[8:9], v[2:3]
	global_load_b64 v[8:9], v[2:3], off scope:SCOPE_SYS
	s_wait_xcnt 0x0
	s_wait_loadcnt 0x0
	global_atomic_cmpswap_b64 v[8:9], v0, v[8:11], s[2:3] offset:24 th:TH_ATOMIC_RETURN scope:SCOPE_SYS
	s_wait_loadcnt 0x0
	global_inv scope:SCOPE_SYS
	s_wait_xcnt 0x0
	v_cmpx_ne_u64_e64 v[8:9], v[10:11]
	s_cbranch_execz .LBB1_198
; %bb.195:
	s_mov_b32 s5, 0
.LBB1_196:                              ; =>This Inner Loop Header: Depth=1
	s_sleep 1
	s_clause 0x1
	global_load_b64 v[2:3], v0, s[2:3] offset:40
	global_load_b64 v[12:13], v0, s[2:3]
	v_mov_b64_e32 v[10:11], v[8:9]
	s_wait_loadcnt 0x1
	s_delay_alu instid0(VALU_DEP_1) | instskip(SKIP_1) | instid1(VALU_DEP_1)
	v_and_b32_e32 v1, v2, v10
	s_wait_loadcnt 0x0
	v_mad_nc_u64_u32 v[8:9], v1, 24, v[12:13]
	s_delay_alu instid0(VALU_DEP_3) | instskip(NEXT) | instid1(VALU_DEP_1)
	v_and_b32_e32 v1, v3, v11
	v_mad_u32 v9, v1, 24, v9
	global_load_b64 v[8:9], v[8:9], off scope:SCOPE_SYS
	s_wait_xcnt 0x0
	s_wait_loadcnt 0x0
	global_atomic_cmpswap_b64 v[8:9], v0, v[8:11], s[2:3] offset:24 th:TH_ATOMIC_RETURN scope:SCOPE_SYS
	s_wait_loadcnt 0x0
	global_inv scope:SCOPE_SYS
	v_cmp_eq_u64_e32 vcc_lo, v[8:9], v[10:11]
	s_or_b32 s5, vcc_lo, s5
	s_wait_xcnt 0x0
	s_and_not1_b32 exec_lo, exec_lo, s5
	s_cbranch_execnz .LBB1_196
; %bb.197:
	s_or_b32 exec_lo, exec_lo, s5
.LBB1_198:
	s_delay_alu instid0(SALU_CYCLE_1)
	s_or_b32 exec_lo, exec_lo, s4
.LBB1_199:
	s_delay_alu instid0(SALU_CYCLE_1)
	s_or_b32 exec_lo, exec_lo, s1
	v_readfirstlane_b32 s4, v8
	v_mov_b32_e32 v31, 0
	v_readfirstlane_b32 s5, v9
	s_mov_b32 s1, exec_lo
	global_load_b64 v[10:11], v31, s[2:3] offset:40
	s_wait_loadcnt 0x1
	global_load_b128 v[0:3], v31, s[2:3]
	s_wait_loadcnt 0x1
	v_and_b32_e32 v8, s4, v10
	v_and_b32_e32 v9, s5, v11
	s_delay_alu instid0(VALU_DEP_1) | instskip(SKIP_1) | instid1(VALU_DEP_1)
	v_mul_u64_e32 v[10:11], 24, v[8:9]
	s_wait_loadcnt 0x0
	v_add_nc_u64_e32 v[10:11], v[0:1], v[10:11]
	s_wait_xcnt 0x0
	s_and_saveexec_b32 s6, s0
	s_cbranch_execz .LBB1_201
; %bb.200:
	v_mov_b64_e32 v[14:15], 0x100000002
	v_dual_mov_b32 v12, s1 :: v_dual_mov_b32 v13, v31
	global_store_b128 v[10:11], v[12:15], off offset:8
.LBB1_201:
	s_wait_xcnt 0x0
	s_or_b32 exec_lo, exec_lo, s6
	v_lshlrev_b64_e32 v[8:9], 12, v[8:9]
	s_mov_b32 s12, 0
	v_and_or_b32 v6, 0xffffff1f, v6, 32
	s_mov_b32 s14, s12
	s_mov_b32 s15, s12
	;; [unrolled: 1-line block ×3, first 2 shown]
	v_mov_b64_e32 v[16:17], s[14:15]
	v_add_nc_u64_e32 v[12:13], v[2:3], v[8:9]
	v_mov_b64_e32 v[14:15], s[12:13]
	v_dual_mov_b32 v8, v31 :: v_dual_mov_b32 v9, v31
	s_delay_alu instid0(VALU_DEP_3) | instskip(NEXT) | instid1(VALU_DEP_4)
	v_readfirstlane_b32 s6, v12
	v_readfirstlane_b32 s7, v13
	s_clause 0x3
	global_store_b128 v30, v[6:9], s[6:7]
	global_store_b128 v30, v[14:17], s[6:7] offset:16
	global_store_b128 v30, v[14:17], s[6:7] offset:32
	;; [unrolled: 1-line block ×3, first 2 shown]
	s_wait_xcnt 0x0
	s_and_saveexec_b32 s1, s0
	s_cbranch_execz .LBB1_209
; %bb.202:
	v_dual_mov_b32 v8, 0 :: v_dual_mov_b32 v15, s5
	s_mov_b32 s6, exec_lo
	s_clause 0x1
	global_load_b64 v[16:17], v8, s[2:3] offset:32 scope:SCOPE_SYS
	global_load_b64 v[2:3], v8, s[2:3] offset:40
	s_wait_loadcnt 0x0
	v_dual_mov_b32 v14, s4 :: v_dual_bitop2_b32 v3, s5, v3 bitop3:0x40
	v_and_b32_e32 v2, s4, v2
	s_delay_alu instid0(VALU_DEP_1) | instskip(NEXT) | instid1(VALU_DEP_1)
	v_mul_u64_e32 v[2:3], 24, v[2:3]
	v_add_nc_u64_e32 v[6:7], v[0:1], v[2:3]
	global_store_b64 v[6:7], v[16:17], off
	global_wb scope:SCOPE_SYS
	s_wait_storecnt 0x0
	s_wait_xcnt 0x0
	global_atomic_cmpswap_b64 v[2:3], v8, v[14:17], s[2:3] offset:32 th:TH_ATOMIC_RETURN scope:SCOPE_SYS
	s_wait_loadcnt 0x0
	v_cmpx_ne_u64_e64 v[2:3], v[16:17]
	s_cbranch_execz .LBB1_205
; %bb.203:
	s_mov_b32 s7, 0
.LBB1_204:                              ; =>This Inner Loop Header: Depth=1
	v_dual_mov_b32 v0, s4 :: v_dual_mov_b32 v1, s5
	s_sleep 1
	global_store_b64 v[6:7], v[2:3], off
	global_wb scope:SCOPE_SYS
	s_wait_storecnt 0x0
	s_wait_xcnt 0x0
	global_atomic_cmpswap_b64 v[0:1], v8, v[0:3], s[2:3] offset:32 th:TH_ATOMIC_RETURN scope:SCOPE_SYS
	s_wait_loadcnt 0x0
	v_cmp_eq_u64_e32 vcc_lo, v[0:1], v[2:3]
	v_mov_b64_e32 v[2:3], v[0:1]
	s_or_b32 s7, vcc_lo, s7
	s_delay_alu instid0(SALU_CYCLE_1)
	s_and_not1_b32 exec_lo, exec_lo, s7
	s_cbranch_execnz .LBB1_204
.LBB1_205:
	s_or_b32 exec_lo, exec_lo, s6
	v_mov_b32_e32 v3, 0
	s_mov_b32 s7, exec_lo
	s_mov_b32 s6, exec_lo
	v_mbcnt_lo_u32_b32 v2, s7, 0
	global_load_b64 v[0:1], v3, s[2:3] offset:16
	s_wait_xcnt 0x0
	v_cmpx_eq_u32_e32 0, v2
	s_cbranch_execz .LBB1_207
; %bb.206:
	s_bcnt1_i32_b32 s7, s7
	s_delay_alu instid0(SALU_CYCLE_1)
	v_mov_b32_e32 v2, s7
	global_wb scope:SCOPE_SYS
	s_wait_loadcnt 0x0
	s_wait_storecnt 0x0
	global_atomic_add_u64 v[0:1], v[2:3], off offset:8 scope:SCOPE_SYS
.LBB1_207:
	s_wait_xcnt 0x0
	s_or_b32 exec_lo, exec_lo, s6
	s_wait_loadcnt 0x0
	global_load_b64 v[2:3], v[0:1], off offset:16
	s_wait_loadcnt 0x0
	v_cmp_eq_u64_e32 vcc_lo, 0, v[2:3]
	s_cbranch_vccnz .LBB1_209
; %bb.208:
	global_load_b32 v0, v[0:1], off offset:24
	s_wait_xcnt 0x0
	v_mov_b32_e32 v1, 0
	s_wait_loadcnt 0x0
	v_readfirstlane_b32 s6, v0
	global_wb scope:SCOPE_SYS
	s_wait_storecnt 0x0
	global_store_b64 v[2:3], v[0:1], off scope:SCOPE_SYS
	s_and_b32 m0, s6, 0xffffff
	s_sendmsg sendmsg(MSG_INTERRUPT)
.LBB1_209:
	s_wait_xcnt 0x0
	s_or_b32 exec_lo, exec_lo, s1
	v_add_nc_u64_e32 v[0:1], v[12:13], v[30:31]
	s_branch .LBB1_213
.LBB1_210:                              ;   in Loop: Header=BB1_213 Depth=1
	s_wait_xcnt 0x0
	s_or_b32 exec_lo, exec_lo, s1
	s_delay_alu instid0(VALU_DEP_1)
	v_readfirstlane_b32 s1, v2
	s_cmp_eq_u32 s1, 0
	s_cbranch_scc1 .LBB1_212
; %bb.211:                              ;   in Loop: Header=BB1_213 Depth=1
	s_sleep 1
	s_cbranch_execnz .LBB1_213
	s_branch .LBB1_216
.LBB1_212:
	s_branch .LBB1_216
.LBB1_213:                              ; =>This Inner Loop Header: Depth=1
	v_mov_b32_e32 v2, 1
	s_and_saveexec_b32 s1, s0
	s_cbranch_execz .LBB1_210
; %bb.214:                              ;   in Loop: Header=BB1_213 Depth=1
	global_load_b32 v2, v[10:11], off offset:20 scope:SCOPE_SYS
	s_wait_loadcnt 0x0
	global_inv scope:SCOPE_SYS
	v_and_b32_e32 v2, 1, v2
	s_branch .LBB1_210
.LBB1_215:
	s_branch .LBB1_249
.LBB1_216:
	global_load_b64 v[0:1], v[0:1], off
	s_wait_xcnt 0x0
	s_and_saveexec_b32 s6, s0
	s_cbranch_execz .LBB1_220
; %bb.217:
	v_mov_b32_e32 v10, 0
	s_clause 0x2
	global_load_b64 v[2:3], v10, s[2:3] offset:40
	global_load_b64 v[14:15], v10, s[2:3] offset:24 scope:SCOPE_SYS
	global_load_b64 v[6:7], v10, s[2:3]
	s_wait_loadcnt 0x2
	v_readfirstlane_b32 s10, v2
	v_readfirstlane_b32 s11, v3
	s_add_nc_u64 s[0:1], s[10:11], 1
	s_delay_alu instid0(SALU_CYCLE_1) | instskip(NEXT) | instid1(SALU_CYCLE_1)
	s_add_nc_u64 s[4:5], s[0:1], s[4:5]
	s_cmp_eq_u64 s[4:5], 0
	s_cselect_b32 s1, s1, s5
	s_cselect_b32 s0, s0, s4
	v_mov_b32_e32 v13, s1
	s_and_b64 s[4:5], s[0:1], s[10:11]
	v_mov_b32_e32 v12, s0
	s_mul_u64 s[4:5], s[4:5], 24
	s_wait_loadcnt 0x0
	v_add_nc_u64_e32 v[2:3], s[4:5], v[6:7]
	global_store_b64 v[2:3], v[14:15], off
	global_wb scope:SCOPE_SYS
	s_wait_storecnt 0x0
	s_wait_xcnt 0x0
	global_atomic_cmpswap_b64 v[8:9], v10, v[12:15], s[2:3] offset:24 th:TH_ATOMIC_RETURN scope:SCOPE_SYS
	s_wait_loadcnt 0x0
	v_cmp_ne_u64_e32 vcc_lo, v[8:9], v[14:15]
	s_and_b32 exec_lo, exec_lo, vcc_lo
	s_cbranch_execz .LBB1_220
; %bb.218:
	s_mov_b32 s4, 0
.LBB1_219:                              ; =>This Inner Loop Header: Depth=1
	v_dual_mov_b32 v6, s0 :: v_dual_mov_b32 v7, s1
	s_sleep 1
	global_store_b64 v[2:3], v[8:9], off
	global_wb scope:SCOPE_SYS
	s_wait_storecnt 0x0
	s_wait_xcnt 0x0
	global_atomic_cmpswap_b64 v[6:7], v10, v[6:9], s[2:3] offset:24 th:TH_ATOMIC_RETURN scope:SCOPE_SYS
	s_wait_loadcnt 0x0
	v_cmp_eq_u64_e32 vcc_lo, v[6:7], v[8:9]
	v_mov_b64_e32 v[8:9], v[6:7]
	s_or_b32 s4, vcc_lo, s4
	s_delay_alu instid0(SALU_CYCLE_1)
	s_and_not1_b32 exec_lo, exec_lo, s4
	s_cbranch_execnz .LBB1_219
.LBB1_220:
	s_or_b32 exec_lo, exec_lo, s6
	s_get_pc_i64 s[4:5]
	s_add_nc_u64 s[4:5], s[4:5], .str.4@rel64+4
	s_delay_alu instid0(SALU_CYCLE_1)
	s_cmp_lg_u64 s[4:5], 0
	s_cbranch_scc1 .LBB1_115
.LBB1_221:
                                        ; implicit-def: $vgpr6_vgpr7
	s_cbranch_execz .LBB1_249
; %bb.222:
	v_readfirstlane_b32 s0, v48
	v_mov_b64_e32 v[2:3], 0
	s_delay_alu instid0(VALU_DEP_2)
	v_cmp_eq_u32_e64 s0, s0, v48
	s_and_saveexec_b32 s1, s0
	s_cbranch_execz .LBB1_228
; %bb.223:
	s_wait_loadcnt 0x0
	v_mov_b32_e32 v6, 0
	s_mov_b32 s4, exec_lo
	global_load_b64 v[10:11], v6, s[2:3] offset:24 scope:SCOPE_SYS
	s_wait_loadcnt 0x0
	global_inv scope:SCOPE_SYS
	s_clause 0x1
	global_load_b64 v[2:3], v6, s[2:3] offset:40
	global_load_b64 v[8:9], v6, s[2:3]
	s_wait_loadcnt 0x1
	v_and_b32_e32 v2, v2, v10
	v_and_b32_e32 v3, v3, v11
	s_delay_alu instid0(VALU_DEP_1) | instskip(SKIP_1) | instid1(VALU_DEP_1)
	v_mul_u64_e32 v[2:3], 24, v[2:3]
	s_wait_loadcnt 0x0
	v_add_nc_u64_e32 v[2:3], v[8:9], v[2:3]
	global_load_b64 v[8:9], v[2:3], off scope:SCOPE_SYS
	s_wait_xcnt 0x0
	s_wait_loadcnt 0x0
	global_atomic_cmpswap_b64 v[2:3], v6, v[8:11], s[2:3] offset:24 th:TH_ATOMIC_RETURN scope:SCOPE_SYS
	s_wait_loadcnt 0x0
	global_inv scope:SCOPE_SYS
	s_wait_xcnt 0x0
	v_cmpx_ne_u64_e64 v[2:3], v[10:11]
	s_cbranch_execz .LBB1_227
; %bb.224:
	s_mov_b32 s5, 0
.LBB1_225:                              ; =>This Inner Loop Header: Depth=1
	s_sleep 1
	s_clause 0x1
	global_load_b64 v[8:9], v6, s[2:3] offset:40
	global_load_b64 v[12:13], v6, s[2:3]
	v_mov_b64_e32 v[10:11], v[2:3]
	s_wait_loadcnt 0x1
	s_delay_alu instid0(VALU_DEP_1) | instskip(NEXT) | instid1(VALU_DEP_2)
	v_and_b32_e32 v2, v8, v10
	v_and_b32_e32 v7, v9, v11
	s_wait_loadcnt 0x0
	s_delay_alu instid0(VALU_DEP_2) | instskip(NEXT) | instid1(VALU_DEP_1)
	v_mad_nc_u64_u32 v[2:3], v2, 24, v[12:13]
	v_mad_u32 v3, v7, 24, v3
	global_load_b64 v[8:9], v[2:3], off scope:SCOPE_SYS
	s_wait_xcnt 0x0
	s_wait_loadcnt 0x0
	global_atomic_cmpswap_b64 v[2:3], v6, v[8:11], s[2:3] offset:24 th:TH_ATOMIC_RETURN scope:SCOPE_SYS
	s_wait_loadcnt 0x0
	global_inv scope:SCOPE_SYS
	v_cmp_eq_u64_e32 vcc_lo, v[2:3], v[10:11]
	s_or_b32 s5, vcc_lo, s5
	s_wait_xcnt 0x0
	s_and_not1_b32 exec_lo, exec_lo, s5
	s_cbranch_execnz .LBB1_225
; %bb.226:
	s_or_b32 exec_lo, exec_lo, s5
.LBB1_227:
	s_delay_alu instid0(SALU_CYCLE_1)
	s_or_b32 exec_lo, exec_lo, s4
.LBB1_228:
	s_delay_alu instid0(SALU_CYCLE_1)
	s_or_b32 exec_lo, exec_lo, s1
	v_readfirstlane_b32 s4, v2
	v_mov_b32_e32 v31, 0
	v_readfirstlane_b32 s5, v3
	s_mov_b32 s1, exec_lo
	global_load_b64 v[10:11], v31, s[2:3] offset:40
	s_wait_loadcnt 0x1
	global_load_b128 v[6:9], v31, s[2:3]
	s_wait_loadcnt 0x1
	v_and_b32_e32 v2, s4, v10
	v_and_b32_e32 v3, s5, v11
	s_delay_alu instid0(VALU_DEP_1) | instskip(SKIP_1) | instid1(VALU_DEP_1)
	v_mul_u64_e32 v[10:11], 24, v[2:3]
	s_wait_loadcnt 0x0
	v_add_nc_u64_e32 v[10:11], v[6:7], v[10:11]
	s_wait_xcnt 0x0
	s_and_saveexec_b32 s6, s0
	s_cbranch_execz .LBB1_230
; %bb.229:
	v_mov_b64_e32 v[14:15], 0x100000002
	v_dual_mov_b32 v12, s1 :: v_dual_mov_b32 v13, v31
	global_store_b128 v[10:11], v[12:15], off offset:8
.LBB1_230:
	s_wait_xcnt 0x0
	s_or_b32 exec_lo, exec_lo, s6
	v_lshlrev_b64_e32 v[2:3], 12, v[2:3]
	s_mov_b32 s12, 0
	v_and_or_b32 v0, 0xffffff1f, v0, 32
	s_mov_b32 s13, s12
	s_mov_b32 s14, s12
	;; [unrolled: 1-line block ×3, first 2 shown]
	v_mov_b64_e32 v[12:13], s[12:13]
	v_add_nc_u64_e32 v[8:9], v[8:9], v[2:3]
	v_mov_b64_e32 v[14:15], s[14:15]
	v_dual_mov_b32 v2, v31 :: v_dual_mov_b32 v3, v31
	s_delay_alu instid0(VALU_DEP_3) | instskip(NEXT) | instid1(VALU_DEP_4)
	v_readfirstlane_b32 s6, v8
	v_readfirstlane_b32 s7, v9
	s_clause 0x3
	global_store_b128 v30, v[0:3], s[6:7]
	global_store_b128 v30, v[12:15], s[6:7] offset:16
	global_store_b128 v30, v[12:15], s[6:7] offset:32
	;; [unrolled: 1-line block ×3, first 2 shown]
	s_wait_xcnt 0x0
	s_and_saveexec_b32 s1, s0
	s_cbranch_execz .LBB1_238
; %bb.231:
	v_dual_mov_b32 v12, 0 :: v_dual_mov_b32 v15, s5
	s_mov_b32 s6, exec_lo
	s_clause 0x1
	global_load_b64 v[16:17], v12, s[2:3] offset:32 scope:SCOPE_SYS
	global_load_b64 v[0:1], v12, s[2:3] offset:40
	s_wait_loadcnt 0x0
	v_dual_mov_b32 v14, s4 :: v_dual_bitop2_b32 v1, s5, v1 bitop3:0x40
	v_and_b32_e32 v0, s4, v0
	s_delay_alu instid0(VALU_DEP_1) | instskip(NEXT) | instid1(VALU_DEP_1)
	v_mul_u64_e32 v[0:1], 24, v[0:1]
	v_add_nc_u64_e32 v[6:7], v[6:7], v[0:1]
	global_store_b64 v[6:7], v[16:17], off
	global_wb scope:SCOPE_SYS
	s_wait_storecnt 0x0
	s_wait_xcnt 0x0
	global_atomic_cmpswap_b64 v[2:3], v12, v[14:17], s[2:3] offset:32 th:TH_ATOMIC_RETURN scope:SCOPE_SYS
	s_wait_loadcnt 0x0
	v_cmpx_ne_u64_e64 v[2:3], v[16:17]
	s_cbranch_execz .LBB1_234
; %bb.232:
	s_mov_b32 s7, 0
.LBB1_233:                              ; =>This Inner Loop Header: Depth=1
	v_dual_mov_b32 v0, s4 :: v_dual_mov_b32 v1, s5
	s_sleep 1
	global_store_b64 v[6:7], v[2:3], off
	global_wb scope:SCOPE_SYS
	s_wait_storecnt 0x0
	s_wait_xcnt 0x0
	global_atomic_cmpswap_b64 v[0:1], v12, v[0:3], s[2:3] offset:32 th:TH_ATOMIC_RETURN scope:SCOPE_SYS
	s_wait_loadcnt 0x0
	v_cmp_eq_u64_e32 vcc_lo, v[0:1], v[2:3]
	v_mov_b64_e32 v[2:3], v[0:1]
	s_or_b32 s7, vcc_lo, s7
	s_delay_alu instid0(SALU_CYCLE_1)
	s_and_not1_b32 exec_lo, exec_lo, s7
	s_cbranch_execnz .LBB1_233
.LBB1_234:
	s_or_b32 exec_lo, exec_lo, s6
	v_mov_b32_e32 v3, 0
	s_mov_b32 s7, exec_lo
	s_mov_b32 s6, exec_lo
	v_mbcnt_lo_u32_b32 v2, s7, 0
	global_load_b64 v[0:1], v3, s[2:3] offset:16
	s_wait_xcnt 0x0
	v_cmpx_eq_u32_e32 0, v2
	s_cbranch_execz .LBB1_236
; %bb.235:
	s_bcnt1_i32_b32 s7, s7
	s_delay_alu instid0(SALU_CYCLE_1)
	v_mov_b32_e32 v2, s7
	global_wb scope:SCOPE_SYS
	s_wait_loadcnt 0x0
	s_wait_storecnt 0x0
	global_atomic_add_u64 v[0:1], v[2:3], off offset:8 scope:SCOPE_SYS
.LBB1_236:
	s_wait_xcnt 0x0
	s_or_b32 exec_lo, exec_lo, s6
	s_wait_loadcnt 0x0
	global_load_b64 v[2:3], v[0:1], off offset:16
	s_wait_loadcnt 0x0
	v_cmp_eq_u64_e32 vcc_lo, 0, v[2:3]
	s_cbranch_vccnz .LBB1_238
; %bb.237:
	global_load_b32 v0, v[0:1], off offset:24
	s_wait_xcnt 0x0
	v_mov_b32_e32 v1, 0
	s_wait_loadcnt 0x0
	v_readfirstlane_b32 s6, v0
	global_wb scope:SCOPE_SYS
	s_wait_storecnt 0x0
	global_store_b64 v[2:3], v[0:1], off scope:SCOPE_SYS
	s_and_b32 m0, s6, 0xffffff
	s_sendmsg sendmsg(MSG_INTERRUPT)
.LBB1_238:
	s_wait_xcnt 0x0
	s_or_b32 exec_lo, exec_lo, s1
	v_add_nc_u64_e32 v[0:1], v[8:9], v[30:31]
	s_branch .LBB1_242
.LBB1_239:                              ;   in Loop: Header=BB1_242 Depth=1
	s_wait_xcnt 0x0
	s_or_b32 exec_lo, exec_lo, s1
	s_delay_alu instid0(VALU_DEP_1)
	v_readfirstlane_b32 s1, v2
	s_cmp_eq_u32 s1, 0
	s_cbranch_scc1 .LBB1_241
; %bb.240:                              ;   in Loop: Header=BB1_242 Depth=1
	s_sleep 1
	s_cbranch_execnz .LBB1_242
	s_branch .LBB1_244
.LBB1_241:
	s_branch .LBB1_244
.LBB1_242:                              ; =>This Inner Loop Header: Depth=1
	v_mov_b32_e32 v2, 1
	s_and_saveexec_b32 s1, s0
	s_cbranch_execz .LBB1_239
; %bb.243:                              ;   in Loop: Header=BB1_242 Depth=1
	global_load_b32 v2, v[10:11], off offset:20 scope:SCOPE_SYS
	s_wait_loadcnt 0x0
	global_inv scope:SCOPE_SYS
	v_and_b32_e32 v2, 1, v2
	s_branch .LBB1_239
.LBB1_244:
	global_load_b64 v[6:7], v[0:1], off
	s_wait_xcnt 0x0
	s_and_saveexec_b32 s6, s0
	s_cbranch_execz .LBB1_248
; %bb.245:
	v_mov_b32_e32 v10, 0
	s_clause 0x2
	global_load_b64 v[0:1], v10, s[2:3] offset:40
	global_load_b64 v[14:15], v10, s[2:3] offset:24 scope:SCOPE_SYS
	global_load_b64 v[2:3], v10, s[2:3]
	s_wait_loadcnt 0x2
	v_readfirstlane_b32 s10, v0
	v_readfirstlane_b32 s11, v1
	s_add_nc_u64 s[0:1], s[10:11], 1
	s_delay_alu instid0(SALU_CYCLE_1) | instskip(NEXT) | instid1(SALU_CYCLE_1)
	s_add_nc_u64 s[4:5], s[0:1], s[4:5]
	s_cmp_eq_u64 s[4:5], 0
	s_cselect_b32 s1, s1, s5
	s_cselect_b32 s0, s0, s4
	v_mov_b32_e32 v13, s1
	s_and_b64 s[4:5], s[0:1], s[10:11]
	v_mov_b32_e32 v12, s0
	s_mul_u64 s[4:5], s[4:5], 24
	s_wait_loadcnt 0x0
	v_add_nc_u64_e32 v[8:9], s[4:5], v[2:3]
	global_store_b64 v[8:9], v[14:15], off
	global_wb scope:SCOPE_SYS
	s_wait_storecnt 0x0
	s_wait_xcnt 0x0
	global_atomic_cmpswap_b64 v[2:3], v10, v[12:15], s[2:3] offset:24 th:TH_ATOMIC_RETURN scope:SCOPE_SYS
	s_wait_loadcnt 0x0
	v_cmp_ne_u64_e32 vcc_lo, v[2:3], v[14:15]
	s_and_b32 exec_lo, exec_lo, vcc_lo
	s_cbranch_execz .LBB1_248
; %bb.246:
	s_mov_b32 s4, 0
.LBB1_247:                              ; =>This Inner Loop Header: Depth=1
	v_dual_mov_b32 v0, s0 :: v_dual_mov_b32 v1, s1
	s_sleep 1
	global_store_b64 v[8:9], v[2:3], off
	global_wb scope:SCOPE_SYS
	s_wait_storecnt 0x0
	s_wait_xcnt 0x0
	global_atomic_cmpswap_b64 v[0:1], v10, v[0:3], s[2:3] offset:24 th:TH_ATOMIC_RETURN scope:SCOPE_SYS
	s_wait_loadcnt 0x0
	v_cmp_eq_u64_e32 vcc_lo, v[0:1], v[2:3]
	v_mov_b64_e32 v[2:3], v[0:1]
	s_or_b32 s4, vcc_lo, s4
	s_delay_alu instid0(SALU_CYCLE_1)
	s_and_not1_b32 exec_lo, exec_lo, s4
	s_cbranch_execnz .LBB1_247
.LBB1_248:
	s_or_b32 exec_lo, exec_lo, s6
.LBB1_249:
	v_readfirstlane_b32 s0, v48
	v_mov_b64_e32 v[8:9], 0
	s_delay_alu instid0(VALU_DEP_2)
	v_cmp_eq_u32_e64 s0, s0, v48
	s_and_saveexec_b32 s1, s0
	s_cbranch_execz .LBB1_255
; %bb.250:
	s_wait_loadcnt 0x0
	v_mov_b32_e32 v0, 0
	s_mov_b32 s4, exec_lo
	global_load_b64 v[10:11], v0, s[2:3] offset:24 scope:SCOPE_SYS
	s_wait_loadcnt 0x0
	global_inv scope:SCOPE_SYS
	s_clause 0x1
	global_load_b64 v[2:3], v0, s[2:3] offset:40
	global_load_b64 v[8:9], v0, s[2:3]
	s_wait_loadcnt 0x1
	v_and_b32_e32 v2, v2, v10
	v_and_b32_e32 v3, v3, v11
	s_delay_alu instid0(VALU_DEP_1) | instskip(SKIP_1) | instid1(VALU_DEP_1)
	v_mul_u64_e32 v[2:3], 24, v[2:3]
	s_wait_loadcnt 0x0
	v_add_nc_u64_e32 v[2:3], v[8:9], v[2:3]
	global_load_b64 v[8:9], v[2:3], off scope:SCOPE_SYS
	s_wait_xcnt 0x0
	s_wait_loadcnt 0x0
	global_atomic_cmpswap_b64 v[8:9], v0, v[8:11], s[2:3] offset:24 th:TH_ATOMIC_RETURN scope:SCOPE_SYS
	s_wait_loadcnt 0x0
	global_inv scope:SCOPE_SYS
	s_wait_xcnt 0x0
	v_cmpx_ne_u64_e64 v[8:9], v[10:11]
	s_cbranch_execz .LBB1_254
; %bb.251:
	s_mov_b32 s5, 0
.LBB1_252:                              ; =>This Inner Loop Header: Depth=1
	s_sleep 1
	s_clause 0x1
	global_load_b64 v[2:3], v0, s[2:3] offset:40
	global_load_b64 v[12:13], v0, s[2:3]
	v_mov_b64_e32 v[10:11], v[8:9]
	s_wait_loadcnt 0x1
	s_delay_alu instid0(VALU_DEP_1) | instskip(SKIP_1) | instid1(VALU_DEP_1)
	v_and_b32_e32 v1, v2, v10
	s_wait_loadcnt 0x0
	v_mad_nc_u64_u32 v[8:9], v1, 24, v[12:13]
	s_delay_alu instid0(VALU_DEP_3) | instskip(NEXT) | instid1(VALU_DEP_1)
	v_and_b32_e32 v1, v3, v11
	v_mad_u32 v9, v1, 24, v9
	global_load_b64 v[8:9], v[8:9], off scope:SCOPE_SYS
	s_wait_xcnt 0x0
	s_wait_loadcnt 0x0
	global_atomic_cmpswap_b64 v[8:9], v0, v[8:11], s[2:3] offset:24 th:TH_ATOMIC_RETURN scope:SCOPE_SYS
	s_wait_loadcnt 0x0
	global_inv scope:SCOPE_SYS
	v_cmp_eq_u64_e32 vcc_lo, v[8:9], v[10:11]
	s_or_b32 s5, vcc_lo, s5
	s_wait_xcnt 0x0
	s_and_not1_b32 exec_lo, exec_lo, s5
	s_cbranch_execnz .LBB1_252
; %bb.253:
	s_or_b32 exec_lo, exec_lo, s5
.LBB1_254:
	s_delay_alu instid0(SALU_CYCLE_1)
	s_or_b32 exec_lo, exec_lo, s4
.LBB1_255:
	s_delay_alu instid0(SALU_CYCLE_1)
	s_or_b32 exec_lo, exec_lo, s1
	v_readfirstlane_b32 s4, v8
	v_mov_b32_e32 v31, 0
	v_readfirstlane_b32 s5, v9
	s_mov_b32 s1, exec_lo
	global_load_b64 v[10:11], v31, s[2:3] offset:40
	s_wait_loadcnt 0x1
	global_load_b128 v[0:3], v31, s[2:3]
	s_wait_loadcnt 0x1
	v_and_b32_e32 v8, s4, v10
	v_and_b32_e32 v9, s5, v11
	s_delay_alu instid0(VALU_DEP_1) | instskip(SKIP_1) | instid1(VALU_DEP_1)
	v_mul_u64_e32 v[10:11], 24, v[8:9]
	s_wait_loadcnt 0x0
	v_add_nc_u64_e32 v[10:11], v[0:1], v[10:11]
	s_wait_xcnt 0x0
	s_and_saveexec_b32 s6, s0
	s_cbranch_execz .LBB1_257
; %bb.256:
	v_mov_b64_e32 v[14:15], 0x100000002
	v_dual_mov_b32 v12, s1 :: v_dual_mov_b32 v13, v31
	global_store_b128 v[10:11], v[12:15], off offset:8
.LBB1_257:
	s_wait_xcnt 0x0
	s_or_b32 exec_lo, exec_lo, s6
	v_lshlrev_b64_e32 v[8:9], 12, v[8:9]
	s_mov_b32 s12, 0
	v_and_or_b32 v6, 0xffffff1f, v6, 32
	s_mov_b32 s14, s12
	s_mov_b32 s15, s12
	s_mov_b32 s13, s12
	v_mov_b64_e32 v[16:17], s[14:15]
	v_add_nc_u64_e32 v[12:13], v[2:3], v[8:9]
	v_mov_b64_e32 v[14:15], s[12:13]
	v_dual_mov_b32 v8, 0x331 :: v_dual_mov_b32 v9, v31
	s_delay_alu instid0(VALU_DEP_3) | instskip(NEXT) | instid1(VALU_DEP_4)
	v_readfirstlane_b32 s6, v12
	v_readfirstlane_b32 s7, v13
	s_clause 0x3
	global_store_b128 v30, v[6:9], s[6:7]
	global_store_b128 v30, v[14:17], s[6:7] offset:16
	global_store_b128 v30, v[14:17], s[6:7] offset:32
	;; [unrolled: 1-line block ×3, first 2 shown]
	s_wait_xcnt 0x0
	s_and_saveexec_b32 s1, s0
	s_cbranch_execz .LBB1_265
; %bb.258:
	v_dual_mov_b32 v8, 0 :: v_dual_mov_b32 v15, s5
	s_mov_b32 s6, exec_lo
	s_clause 0x1
	global_load_b64 v[16:17], v8, s[2:3] offset:32 scope:SCOPE_SYS
	global_load_b64 v[2:3], v8, s[2:3] offset:40
	s_wait_loadcnt 0x0
	v_dual_mov_b32 v14, s4 :: v_dual_bitop2_b32 v3, s5, v3 bitop3:0x40
	v_and_b32_e32 v2, s4, v2
	s_delay_alu instid0(VALU_DEP_1) | instskip(NEXT) | instid1(VALU_DEP_1)
	v_mul_u64_e32 v[2:3], 24, v[2:3]
	v_add_nc_u64_e32 v[6:7], v[0:1], v[2:3]
	global_store_b64 v[6:7], v[16:17], off
	global_wb scope:SCOPE_SYS
	s_wait_storecnt 0x0
	s_wait_xcnt 0x0
	global_atomic_cmpswap_b64 v[2:3], v8, v[14:17], s[2:3] offset:32 th:TH_ATOMIC_RETURN scope:SCOPE_SYS
	s_wait_loadcnt 0x0
	v_cmpx_ne_u64_e64 v[2:3], v[16:17]
	s_cbranch_execz .LBB1_261
; %bb.259:
	s_mov_b32 s7, 0
.LBB1_260:                              ; =>This Inner Loop Header: Depth=1
	v_dual_mov_b32 v0, s4 :: v_dual_mov_b32 v1, s5
	s_sleep 1
	global_store_b64 v[6:7], v[2:3], off
	global_wb scope:SCOPE_SYS
	s_wait_storecnt 0x0
	s_wait_xcnt 0x0
	global_atomic_cmpswap_b64 v[0:1], v8, v[0:3], s[2:3] offset:32 th:TH_ATOMIC_RETURN scope:SCOPE_SYS
	s_wait_loadcnt 0x0
	v_cmp_eq_u64_e32 vcc_lo, v[0:1], v[2:3]
	v_mov_b64_e32 v[2:3], v[0:1]
	s_or_b32 s7, vcc_lo, s7
	s_delay_alu instid0(SALU_CYCLE_1)
	s_and_not1_b32 exec_lo, exec_lo, s7
	s_cbranch_execnz .LBB1_260
.LBB1_261:
	s_or_b32 exec_lo, exec_lo, s6
	v_mov_b32_e32 v3, 0
	s_mov_b32 s7, exec_lo
	s_mov_b32 s6, exec_lo
	v_mbcnt_lo_u32_b32 v2, s7, 0
	global_load_b64 v[0:1], v3, s[2:3] offset:16
	s_wait_xcnt 0x0
	v_cmpx_eq_u32_e32 0, v2
	s_cbranch_execz .LBB1_263
; %bb.262:
	s_bcnt1_i32_b32 s7, s7
	s_delay_alu instid0(SALU_CYCLE_1)
	v_mov_b32_e32 v2, s7
	global_wb scope:SCOPE_SYS
	s_wait_loadcnt 0x0
	s_wait_storecnt 0x0
	global_atomic_add_u64 v[0:1], v[2:3], off offset:8 scope:SCOPE_SYS
.LBB1_263:
	s_wait_xcnt 0x0
	s_or_b32 exec_lo, exec_lo, s6
	s_wait_loadcnt 0x0
	global_load_b64 v[2:3], v[0:1], off offset:16
	s_wait_loadcnt 0x0
	v_cmp_eq_u64_e32 vcc_lo, 0, v[2:3]
	s_cbranch_vccnz .LBB1_265
; %bb.264:
	global_load_b32 v0, v[0:1], off offset:24
	s_wait_xcnt 0x0
	v_mov_b32_e32 v1, 0
	s_wait_loadcnt 0x0
	v_readfirstlane_b32 s6, v0
	global_wb scope:SCOPE_SYS
	s_wait_storecnt 0x0
	global_store_b64 v[2:3], v[0:1], off scope:SCOPE_SYS
	s_and_b32 m0, s6, 0xffffff
	s_sendmsg sendmsg(MSG_INTERRUPT)
.LBB1_265:
	s_wait_xcnt 0x0
	s_or_b32 exec_lo, exec_lo, s1
	v_add_nc_u64_e32 v[0:1], v[12:13], v[30:31]
	s_branch .LBB1_269
.LBB1_266:                              ;   in Loop: Header=BB1_269 Depth=1
	s_wait_xcnt 0x0
	s_or_b32 exec_lo, exec_lo, s1
	s_delay_alu instid0(VALU_DEP_1)
	v_readfirstlane_b32 s1, v2
	s_cmp_eq_u32 s1, 0
	s_cbranch_scc1 .LBB1_268
; %bb.267:                              ;   in Loop: Header=BB1_269 Depth=1
	s_sleep 1
	s_cbranch_execnz .LBB1_269
	s_branch .LBB1_271
.LBB1_268:
	s_branch .LBB1_271
.LBB1_269:                              ; =>This Inner Loop Header: Depth=1
	v_mov_b32_e32 v2, 1
	s_and_saveexec_b32 s1, s0
	s_cbranch_execz .LBB1_266
; %bb.270:                              ;   in Loop: Header=BB1_269 Depth=1
	global_load_b32 v2, v[10:11], off offset:20 scope:SCOPE_SYS
	s_wait_loadcnt 0x0
	global_inv scope:SCOPE_SYS
	v_and_b32_e32 v2, 1, v2
	s_branch .LBB1_266
.LBB1_271:
	global_load_b64 v[0:1], v[0:1], off
	s_wait_xcnt 0x0
	s_and_saveexec_b32 s6, s0
	s_cbranch_execz .LBB1_275
; %bb.272:
	v_mov_b32_e32 v10, 0
	s_clause 0x2
	global_load_b64 v[2:3], v10, s[2:3] offset:40
	global_load_b64 v[14:15], v10, s[2:3] offset:24 scope:SCOPE_SYS
	global_load_b64 v[6:7], v10, s[2:3]
	s_wait_loadcnt 0x2
	v_readfirstlane_b32 s10, v2
	v_readfirstlane_b32 s11, v3
	s_add_nc_u64 s[0:1], s[10:11], 1
	s_delay_alu instid0(SALU_CYCLE_1) | instskip(NEXT) | instid1(SALU_CYCLE_1)
	s_add_nc_u64 s[4:5], s[0:1], s[4:5]
	s_cmp_eq_u64 s[4:5], 0
	s_cselect_b32 s1, s1, s5
	s_cselect_b32 s0, s0, s4
	v_mov_b32_e32 v13, s1
	s_and_b64 s[4:5], s[0:1], s[10:11]
	v_mov_b32_e32 v12, s0
	s_mul_u64 s[4:5], s[4:5], 24
	s_wait_loadcnt 0x0
	v_add_nc_u64_e32 v[2:3], s[4:5], v[6:7]
	global_store_b64 v[2:3], v[14:15], off
	global_wb scope:SCOPE_SYS
	s_wait_storecnt 0x0
	s_wait_xcnt 0x0
	global_atomic_cmpswap_b64 v[8:9], v10, v[12:15], s[2:3] offset:24 th:TH_ATOMIC_RETURN scope:SCOPE_SYS
	s_wait_loadcnt 0x0
	v_cmp_ne_u64_e32 vcc_lo, v[8:9], v[14:15]
	s_and_b32 exec_lo, exec_lo, vcc_lo
	s_cbranch_execz .LBB1_275
; %bb.273:
	s_mov_b32 s4, 0
.LBB1_274:                              ; =>This Inner Loop Header: Depth=1
	v_dual_mov_b32 v6, s0 :: v_dual_mov_b32 v7, s1
	s_sleep 1
	global_store_b64 v[2:3], v[8:9], off
	global_wb scope:SCOPE_SYS
	s_wait_storecnt 0x0
	s_wait_xcnt 0x0
	global_atomic_cmpswap_b64 v[6:7], v10, v[6:9], s[2:3] offset:24 th:TH_ATOMIC_RETURN scope:SCOPE_SYS
	s_wait_loadcnt 0x0
	v_cmp_eq_u64_e32 vcc_lo, v[6:7], v[8:9]
	v_mov_b64_e32 v[8:9], v[6:7]
	s_or_b32 s4, vcc_lo, s4
	s_delay_alu instid0(SALU_CYCLE_1)
	s_and_not1_b32 exec_lo, exec_lo, s4
	s_cbranch_execnz .LBB1_274
.LBB1_275:
	s_or_b32 exec_lo, exec_lo, s6
	v_mov_b64_e32 v[2:3], v[4:5]
	s_mov_b32 s0, 0
.LBB1_276:                              ; =>This Inner Loop Header: Depth=1
	global_load_u8 v6, v[2:3], off
	s_wait_xcnt 0x0
	v_add_nc_u64_e32 v[2:3], 1, v[2:3]
	s_wait_loadcnt 0x0
	v_cmp_eq_u16_e32 vcc_lo, 0, v6
	s_or_b32 s0, vcc_lo, s0
	s_delay_alu instid0(SALU_CYCLE_1)
	s_and_not1_b32 exec_lo, exec_lo, s0
	s_cbranch_execnz .LBB1_276
; %bb.277:
	s_or_b32 exec_lo, exec_lo, s0
	s_delay_alu instid0(SALU_CYCLE_1)
	s_mov_b32 s0, exec_lo
	v_cmpx_ne_u64_e32 0, v[4:5]
	s_xor_b32 s6, exec_lo, s0
	s_cbranch_execz .LBB1_363
; %bb.278:
	v_dual_mov_b32 v31, 0 :: v_dual_sub_nc_u32 v26, v2, v4
	v_mov_b64_e32 v[8:9], 0x100000002
	v_and_b32_e32 v28, 2, v0
	s_delay_alu instid0(VALU_DEP_3)
	v_dual_ashrrev_i32 v27, 31, v26 :: v_dual_bitop2_b32 v0, -3, v0 bitop3:0x40
	s_mov_b32 s10, 0
	s_mov_b32 s7, 0
	s_branch .LBB1_280
.LBB1_279:                              ;   in Loop: Header=BB1_280 Depth=1
	s_or_b32 exec_lo, exec_lo, s11
	v_sub_nc_u64_e32 v[26:27], v[26:27], v[32:33]
	v_add_nc_u64_e32 v[4:5], v[4:5], v[32:33]
	s_delay_alu instid0(VALU_DEP_2) | instskip(SKIP_1) | instid1(SALU_CYCLE_1)
	v_cmp_eq_u64_e32 vcc_lo, 0, v[26:27]
	s_or_b32 s7, vcc_lo, s7
	s_and_not1_b32 exec_lo, exec_lo, s7
	s_cbranch_execz .LBB1_362
.LBB1_280:                              ; =>This Loop Header: Depth=1
                                        ;     Child Loop BB1_283 Depth 2
                                        ;     Child Loop BB1_291 Depth 2
	;; [unrolled: 1-line block ×11, first 2 shown]
	s_delay_alu instid0(VALU_DEP_1) | instskip(NEXT) | instid1(VALU_DEP_3)
	v_min_u64 v[32:33], v[26:27], 56
	v_add_nc_u64_e32 v[12:13], 8, v[4:5]
	s_mov_b32 s0, exec_lo
	v_cmpx_gt_u64_e32 8, v[26:27]
	s_xor_b32 s4, exec_lo, s0
	s_cbranch_execz .LBB1_286
; %bb.281:                              ;   in Loop: Header=BB1_280 Depth=1
	v_mov_b64_e32 v[2:3], 0
	s_mov_b32 s5, exec_lo
	v_cmpx_ne_u64_e32 0, v[26:27]
	s_cbranch_execz .LBB1_285
; %bb.282:                              ;   in Loop: Header=BB1_280 Depth=1
	v_mov_b64_e32 v[2:3], 0
	v_mov_b64_e32 v[10:11], v[4:5]
	v_lshlrev_b32_e32 v6, 3, v32
	s_mov_b64 s[0:1], 0
	s_mov_b32 s11, 0
.LBB1_283:                              ;   Parent Loop BB1_280 Depth=1
                                        ; =>  This Inner Loop Header: Depth=2
	global_load_u8 v7, v[10:11], off
	v_mov_b32_e32 v13, s10
	s_wait_xcnt 0x0
	v_add_nc_u64_e32 v[10:11], 1, v[10:11]
	s_wait_loadcnt 0x0
	v_and_b32_e32 v12, 0xffff, v7
	s_delay_alu instid0(VALU_DEP_1) | instskip(SKIP_1) | instid1(SALU_CYCLE_1)
	v_lshlrev_b64_e32 v[12:13], s0, v[12:13]
	s_add_nc_u64 s[0:1], s[0:1], 8
	v_cmp_eq_u32_e32 vcc_lo, s0, v6
	s_delay_alu instid0(VALU_DEP_2) | instskip(NEXT) | instid1(VALU_DEP_3)
	v_or_b32_e32 v3, v13, v3
	v_or_b32_e32 v2, v12, v2
	s_or_b32 s11, vcc_lo, s11
	s_delay_alu instid0(SALU_CYCLE_1)
	s_and_not1_b32 exec_lo, exec_lo, s11
	s_cbranch_execnz .LBB1_283
; %bb.284:                              ;   in Loop: Header=BB1_280 Depth=1
	s_or_b32 exec_lo, exec_lo, s11
.LBB1_285:                              ;   in Loop: Header=BB1_280 Depth=1
	s_delay_alu instid0(SALU_CYCLE_1)
	s_or_b32 exec_lo, exec_lo, s5
	v_mov_b64_e32 v[12:13], v[4:5]
.LBB1_286:                              ;   in Loop: Header=BB1_280 Depth=1
	s_or_saveexec_b32 s0, s4
	v_mov_b32_e32 v14, 0
	s_xor_b32 exec_lo, exec_lo, s0
	s_cbranch_execz .LBB1_288
; %bb.287:                              ;   in Loop: Header=BB1_280 Depth=1
	global_load_b64 v[2:3], v[4:5], off
	v_add_nc_u32_e32 v14, -8, v32
.LBB1_288:                              ;   in Loop: Header=BB1_280 Depth=1
	s_wait_xcnt 0x0
	s_or_b32 exec_lo, exec_lo, s0
	v_add_nc_u64_e32 v[6:7], 8, v[12:13]
                                        ; implicit-def: $vgpr10_vgpr11
	s_mov_b32 s0, exec_lo
	v_cmpx_gt_u32_e32 8, v14
	s_xor_b32 s11, exec_lo, s0
	s_cbranch_execz .LBB1_294
; %bb.289:                              ;   in Loop: Header=BB1_280 Depth=1
	v_mov_b64_e32 v[10:11], 0
	s_mov_b32 s12, exec_lo
	v_cmpx_ne_u32_e32 0, v14
	s_cbranch_execz .LBB1_293
; %bb.290:                              ;   in Loop: Header=BB1_280 Depth=1
	v_mov_b64_e32 v[10:11], 0
	s_mov_b64 s[0:1], 0
	s_mov_b32 s13, 0
	s_mov_b64 s[4:5], 0
.LBB1_291:                              ;   Parent Loop BB1_280 Depth=1
                                        ; =>  This Inner Loop Header: Depth=2
	s_delay_alu instid0(SALU_CYCLE_1) | instskip(SKIP_1) | instid1(SALU_CYCLE_1)
	v_add_nc_u64_e32 v[6:7], s[4:5], v[12:13]
	s_add_nc_u64 s[4:5], s[4:5], 1
	v_cmp_eq_u32_e32 vcc_lo, s4, v14
	global_load_u8 v6, v[6:7], off
	s_wait_xcnt 0x0
	v_mov_b32_e32 v7, s10
	s_or_b32 s13, vcc_lo, s13
	s_wait_loadcnt 0x0
	v_and_b32_e32 v6, 0xffff, v6
	s_delay_alu instid0(VALU_DEP_1) | instskip(SKIP_1) | instid1(VALU_DEP_1)
	v_lshlrev_b64_e32 v[6:7], s0, v[6:7]
	s_add_nc_u64 s[0:1], s[0:1], 8
	v_or_b32_e32 v11, v7, v11
	s_delay_alu instid0(VALU_DEP_2)
	v_or_b32_e32 v10, v6, v10
	s_and_not1_b32 exec_lo, exec_lo, s13
	s_cbranch_execnz .LBB1_291
; %bb.292:                              ;   in Loop: Header=BB1_280 Depth=1
	s_or_b32 exec_lo, exec_lo, s13
.LBB1_293:                              ;   in Loop: Header=BB1_280 Depth=1
	s_delay_alu instid0(SALU_CYCLE_1)
	s_or_b32 exec_lo, exec_lo, s12
	v_mov_b64_e32 v[6:7], v[12:13]
                                        ; implicit-def: $vgpr14
.LBB1_294:                              ;   in Loop: Header=BB1_280 Depth=1
	s_or_saveexec_b32 s0, s11
	v_mov_b32_e32 v15, 0
	s_xor_b32 exec_lo, exec_lo, s0
	s_cbranch_execz .LBB1_296
; %bb.295:                              ;   in Loop: Header=BB1_280 Depth=1
	global_load_b64 v[10:11], v[12:13], off
	v_add_nc_u32_e32 v15, -8, v14
.LBB1_296:                              ;   in Loop: Header=BB1_280 Depth=1
	s_wait_xcnt 0x0
	s_or_b32 exec_lo, exec_lo, s0
	v_add_nc_u64_e32 v[16:17], 8, v[6:7]
	s_mov_b32 s0, exec_lo
	v_cmpx_gt_u32_e32 8, v15
	s_xor_b32 s11, exec_lo, s0
	s_cbranch_execz .LBB1_302
; %bb.297:                              ;   in Loop: Header=BB1_280 Depth=1
	v_mov_b64_e32 v[12:13], 0
	s_mov_b32 s12, exec_lo
	v_cmpx_ne_u32_e32 0, v15
	s_cbranch_execz .LBB1_301
; %bb.298:                              ;   in Loop: Header=BB1_280 Depth=1
	v_mov_b64_e32 v[12:13], 0
	s_mov_b64 s[0:1], 0
	s_mov_b32 s13, 0
	s_mov_b64 s[4:5], 0
.LBB1_299:                              ;   Parent Loop BB1_280 Depth=1
                                        ; =>  This Inner Loop Header: Depth=2
	s_delay_alu instid0(SALU_CYCLE_1) | instskip(SKIP_1) | instid1(SALU_CYCLE_1)
	v_add_nc_u64_e32 v[16:17], s[4:5], v[6:7]
	s_add_nc_u64 s[4:5], s[4:5], 1
	v_cmp_eq_u32_e32 vcc_lo, s4, v15
	global_load_u8 v14, v[16:17], off
	s_wait_xcnt 0x0
	v_mov_b32_e32 v17, s10
	s_or_b32 s13, vcc_lo, s13
	s_wait_loadcnt 0x0
	v_and_b32_e32 v16, 0xffff, v14
	s_delay_alu instid0(VALU_DEP_1) | instskip(SKIP_1) | instid1(VALU_DEP_1)
	v_lshlrev_b64_e32 v[16:17], s0, v[16:17]
	s_add_nc_u64 s[0:1], s[0:1], 8
	v_or_b32_e32 v13, v17, v13
	s_delay_alu instid0(VALU_DEP_2)
	v_or_b32_e32 v12, v16, v12
	s_and_not1_b32 exec_lo, exec_lo, s13
	s_cbranch_execnz .LBB1_299
; %bb.300:                              ;   in Loop: Header=BB1_280 Depth=1
	s_or_b32 exec_lo, exec_lo, s13
.LBB1_301:                              ;   in Loop: Header=BB1_280 Depth=1
	s_delay_alu instid0(SALU_CYCLE_1)
	s_or_b32 exec_lo, exec_lo, s12
	v_mov_b64_e32 v[16:17], v[6:7]
                                        ; implicit-def: $vgpr15
.LBB1_302:                              ;   in Loop: Header=BB1_280 Depth=1
	s_or_saveexec_b32 s0, s11
	v_mov_b32_e32 v18, 0
	s_xor_b32 exec_lo, exec_lo, s0
	s_cbranch_execz .LBB1_304
; %bb.303:                              ;   in Loop: Header=BB1_280 Depth=1
	global_load_b64 v[12:13], v[6:7], off
	v_add_nc_u32_e32 v18, -8, v15
.LBB1_304:                              ;   in Loop: Header=BB1_280 Depth=1
	s_wait_xcnt 0x0
	s_or_b32 exec_lo, exec_lo, s0
	v_add_nc_u64_e32 v[6:7], 8, v[16:17]
                                        ; implicit-def: $vgpr14_vgpr15
	s_mov_b32 s0, exec_lo
	v_cmpx_gt_u32_e32 8, v18
	s_xor_b32 s11, exec_lo, s0
	s_cbranch_execz .LBB1_310
; %bb.305:                              ;   in Loop: Header=BB1_280 Depth=1
	v_mov_b64_e32 v[14:15], 0
	s_mov_b32 s12, exec_lo
	v_cmpx_ne_u32_e32 0, v18
	s_cbranch_execz .LBB1_309
; %bb.306:                              ;   in Loop: Header=BB1_280 Depth=1
	v_mov_b64_e32 v[14:15], 0
	s_mov_b64 s[0:1], 0
	s_mov_b32 s13, 0
	s_mov_b64 s[4:5], 0
.LBB1_307:                              ;   Parent Loop BB1_280 Depth=1
                                        ; =>  This Inner Loop Header: Depth=2
	s_delay_alu instid0(SALU_CYCLE_1) | instskip(SKIP_1) | instid1(SALU_CYCLE_1)
	v_add_nc_u64_e32 v[6:7], s[4:5], v[16:17]
	s_add_nc_u64 s[4:5], s[4:5], 1
	v_cmp_eq_u32_e32 vcc_lo, s4, v18
	global_load_u8 v6, v[6:7], off
	s_wait_xcnt 0x0
	v_mov_b32_e32 v7, s10
	s_or_b32 s13, vcc_lo, s13
	s_wait_loadcnt 0x0
	v_and_b32_e32 v6, 0xffff, v6
	s_delay_alu instid0(VALU_DEP_1) | instskip(SKIP_1) | instid1(VALU_DEP_1)
	v_lshlrev_b64_e32 v[6:7], s0, v[6:7]
	s_add_nc_u64 s[0:1], s[0:1], 8
	v_or_b32_e32 v15, v7, v15
	s_delay_alu instid0(VALU_DEP_2)
	v_or_b32_e32 v14, v6, v14
	s_and_not1_b32 exec_lo, exec_lo, s13
	s_cbranch_execnz .LBB1_307
; %bb.308:                              ;   in Loop: Header=BB1_280 Depth=1
	s_or_b32 exec_lo, exec_lo, s13
.LBB1_309:                              ;   in Loop: Header=BB1_280 Depth=1
	s_delay_alu instid0(SALU_CYCLE_1)
	s_or_b32 exec_lo, exec_lo, s12
	v_mov_b64_e32 v[6:7], v[16:17]
                                        ; implicit-def: $vgpr18
.LBB1_310:                              ;   in Loop: Header=BB1_280 Depth=1
	s_or_saveexec_b32 s0, s11
	v_mov_b32_e32 v19, 0
	s_xor_b32 exec_lo, exec_lo, s0
	s_cbranch_execz .LBB1_312
; %bb.311:                              ;   in Loop: Header=BB1_280 Depth=1
	global_load_b64 v[14:15], v[16:17], off
	v_add_nc_u32_e32 v19, -8, v18
.LBB1_312:                              ;   in Loop: Header=BB1_280 Depth=1
	s_wait_xcnt 0x0
	s_or_b32 exec_lo, exec_lo, s0
	v_add_nc_u64_e32 v[20:21], 8, v[6:7]
	s_mov_b32 s0, exec_lo
	v_cmpx_gt_u32_e32 8, v19
	s_xor_b32 s11, exec_lo, s0
	s_cbranch_execz .LBB1_318
; %bb.313:                              ;   in Loop: Header=BB1_280 Depth=1
	v_mov_b64_e32 v[16:17], 0
	s_mov_b32 s12, exec_lo
	v_cmpx_ne_u32_e32 0, v19
	s_cbranch_execz .LBB1_317
; %bb.314:                              ;   in Loop: Header=BB1_280 Depth=1
	v_mov_b64_e32 v[16:17], 0
	s_mov_b64 s[0:1], 0
	s_mov_b32 s13, 0
	s_mov_b64 s[4:5], 0
.LBB1_315:                              ;   Parent Loop BB1_280 Depth=1
                                        ; =>  This Inner Loop Header: Depth=2
	s_delay_alu instid0(SALU_CYCLE_1) | instskip(SKIP_1) | instid1(SALU_CYCLE_1)
	v_add_nc_u64_e32 v[20:21], s[4:5], v[6:7]
	s_add_nc_u64 s[4:5], s[4:5], 1
	v_cmp_eq_u32_e32 vcc_lo, s4, v19
	global_load_u8 v18, v[20:21], off
	s_wait_xcnt 0x0
	v_mov_b32_e32 v21, s10
	s_or_b32 s13, vcc_lo, s13
	s_wait_loadcnt 0x0
	v_and_b32_e32 v20, 0xffff, v18
	s_delay_alu instid0(VALU_DEP_1) | instskip(SKIP_1) | instid1(VALU_DEP_1)
	v_lshlrev_b64_e32 v[20:21], s0, v[20:21]
	s_add_nc_u64 s[0:1], s[0:1], 8
	v_or_b32_e32 v17, v21, v17
	s_delay_alu instid0(VALU_DEP_2)
	v_or_b32_e32 v16, v20, v16
	s_and_not1_b32 exec_lo, exec_lo, s13
	s_cbranch_execnz .LBB1_315
; %bb.316:                              ;   in Loop: Header=BB1_280 Depth=1
	s_or_b32 exec_lo, exec_lo, s13
.LBB1_317:                              ;   in Loop: Header=BB1_280 Depth=1
	s_delay_alu instid0(SALU_CYCLE_1)
	s_or_b32 exec_lo, exec_lo, s12
	v_mov_b64_e32 v[20:21], v[6:7]
                                        ; implicit-def: $vgpr19
.LBB1_318:                              ;   in Loop: Header=BB1_280 Depth=1
	s_or_saveexec_b32 s0, s11
	v_mov_b32_e32 v22, 0
	s_xor_b32 exec_lo, exec_lo, s0
	s_cbranch_execz .LBB1_320
; %bb.319:                              ;   in Loop: Header=BB1_280 Depth=1
	global_load_b64 v[16:17], v[6:7], off
	v_add_nc_u32_e32 v22, -8, v19
.LBB1_320:                              ;   in Loop: Header=BB1_280 Depth=1
	s_wait_xcnt 0x0
	s_or_b32 exec_lo, exec_lo, s0
	v_add_nc_u64_e32 v[6:7], 8, v[20:21]
                                        ; implicit-def: $vgpr18_vgpr19
	s_mov_b32 s0, exec_lo
	v_cmpx_gt_u32_e32 8, v22
	s_xor_b32 s11, exec_lo, s0
	s_cbranch_execz .LBB1_326
; %bb.321:                              ;   in Loop: Header=BB1_280 Depth=1
	v_mov_b64_e32 v[18:19], 0
	s_mov_b32 s12, exec_lo
	v_cmpx_ne_u32_e32 0, v22
	s_cbranch_execz .LBB1_325
; %bb.322:                              ;   in Loop: Header=BB1_280 Depth=1
	v_mov_b64_e32 v[18:19], 0
	s_mov_b64 s[0:1], 0
	s_mov_b32 s13, 0
	s_mov_b64 s[4:5], 0
.LBB1_323:                              ;   Parent Loop BB1_280 Depth=1
                                        ; =>  This Inner Loop Header: Depth=2
	s_delay_alu instid0(SALU_CYCLE_1) | instskip(SKIP_1) | instid1(SALU_CYCLE_1)
	v_add_nc_u64_e32 v[6:7], s[4:5], v[20:21]
	s_add_nc_u64 s[4:5], s[4:5], 1
	v_cmp_eq_u32_e32 vcc_lo, s4, v22
	global_load_u8 v6, v[6:7], off
	s_wait_xcnt 0x0
	v_mov_b32_e32 v7, s10
	s_or_b32 s13, vcc_lo, s13
	s_wait_loadcnt 0x0
	v_and_b32_e32 v6, 0xffff, v6
	s_delay_alu instid0(VALU_DEP_1) | instskip(SKIP_1) | instid1(VALU_DEP_1)
	v_lshlrev_b64_e32 v[6:7], s0, v[6:7]
	s_add_nc_u64 s[0:1], s[0:1], 8
	v_or_b32_e32 v19, v7, v19
	s_delay_alu instid0(VALU_DEP_2)
	v_or_b32_e32 v18, v6, v18
	s_and_not1_b32 exec_lo, exec_lo, s13
	s_cbranch_execnz .LBB1_323
; %bb.324:                              ;   in Loop: Header=BB1_280 Depth=1
	s_or_b32 exec_lo, exec_lo, s13
.LBB1_325:                              ;   in Loop: Header=BB1_280 Depth=1
	s_delay_alu instid0(SALU_CYCLE_1)
	s_or_b32 exec_lo, exec_lo, s12
	v_mov_b64_e32 v[6:7], v[20:21]
                                        ; implicit-def: $vgpr22
.LBB1_326:                              ;   in Loop: Header=BB1_280 Depth=1
	s_or_saveexec_b32 s0, s11
	v_mov_b32_e32 v23, 0
	s_xor_b32 exec_lo, exec_lo, s0
	s_cbranch_execz .LBB1_328
; %bb.327:                              ;   in Loop: Header=BB1_280 Depth=1
	global_load_b64 v[18:19], v[20:21], off
	v_add_nc_u32_e32 v23, -8, v22
.LBB1_328:                              ;   in Loop: Header=BB1_280 Depth=1
	s_wait_xcnt 0x0
	s_or_b32 exec_lo, exec_lo, s0
	s_delay_alu instid0(SALU_CYCLE_1) | instskip(NEXT) | instid1(VALU_DEP_1)
	s_mov_b32 s0, exec_lo
	v_cmpx_gt_u32_e32 8, v23
	s_xor_b32 s4, exec_lo, s0
	s_cbranch_execz .LBB1_334
; %bb.329:                              ;   in Loop: Header=BB1_280 Depth=1
	v_mov_b64_e32 v[20:21], 0
	s_mov_b32 s5, exec_lo
	v_cmpx_ne_u32_e32 0, v23
	s_cbranch_execz .LBB1_333
; %bb.330:                              ;   in Loop: Header=BB1_280 Depth=1
	v_mov_b64_e32 v[20:21], 0
	s_mov_b64 s[0:1], 0
	s_mov_b32 s11, 0
.LBB1_331:                              ;   Parent Loop BB1_280 Depth=1
                                        ; =>  This Inner Loop Header: Depth=2
	global_load_u8 v22, v[6:7], off
	v_dual_mov_b32 v25, s10 :: v_dual_add_nc_u32 v23, -1, v23
	s_wait_xcnt 0x0
	v_add_nc_u64_e32 v[6:7], 1, v[6:7]
	s_delay_alu instid0(VALU_DEP_2) | instskip(SKIP_3) | instid1(VALU_DEP_1)
	v_cmp_eq_u32_e32 vcc_lo, 0, v23
	s_or_b32 s11, vcc_lo, s11
	s_wait_loadcnt 0x0
	v_and_b32_e32 v24, 0xffff, v22
	v_lshlrev_b64_e32 v[24:25], s0, v[24:25]
	s_add_nc_u64 s[0:1], s[0:1], 8
	s_delay_alu instid0(VALU_DEP_1) | instskip(NEXT) | instid1(VALU_DEP_2)
	v_or_b32_e32 v21, v25, v21
	v_or_b32_e32 v20, v24, v20
	s_and_not1_b32 exec_lo, exec_lo, s11
	s_cbranch_execnz .LBB1_331
; %bb.332:                              ;   in Loop: Header=BB1_280 Depth=1
	s_or_b32 exec_lo, exec_lo, s11
.LBB1_333:                              ;   in Loop: Header=BB1_280 Depth=1
	s_delay_alu instid0(SALU_CYCLE_1)
	s_or_b32 exec_lo, exec_lo, s5
                                        ; implicit-def: $vgpr6_vgpr7
.LBB1_334:                              ;   in Loop: Header=BB1_280 Depth=1
	s_and_not1_saveexec_b32 s0, s4
	s_cbranch_execz .LBB1_336
; %bb.335:                              ;   in Loop: Header=BB1_280 Depth=1
	global_load_b64 v[20:21], v[6:7], off
.LBB1_336:                              ;   in Loop: Header=BB1_280 Depth=1
	s_wait_xcnt 0x0
	s_or_b32 exec_lo, exec_lo, s0
	v_readfirstlane_b32 s0, v48
	v_mov_b64_e32 v[6:7], 0
	s_delay_alu instid0(VALU_DEP_2)
	v_cmp_eq_u32_e64 s0, s0, v48
	s_and_saveexec_b32 s1, s0
	s_cbranch_execz .LBB1_342
; %bb.337:                              ;   in Loop: Header=BB1_280 Depth=1
	global_load_b64 v[24:25], v31, s[2:3] offset:24 scope:SCOPE_SYS
	s_wait_loadcnt 0x0
	global_inv scope:SCOPE_SYS
	s_clause 0x1
	global_load_b64 v[6:7], v31, s[2:3] offset:40
	global_load_b64 v[22:23], v31, s[2:3]
	s_mov_b32 s4, exec_lo
	s_wait_loadcnt 0x1
	v_and_b32_e32 v6, v6, v24
	v_and_b32_e32 v7, v7, v25
	s_delay_alu instid0(VALU_DEP_1) | instskip(SKIP_1) | instid1(VALU_DEP_1)
	v_mul_u64_e32 v[6:7], 24, v[6:7]
	s_wait_loadcnt 0x0
	v_add_nc_u64_e32 v[6:7], v[22:23], v[6:7]
	global_load_b64 v[22:23], v[6:7], off scope:SCOPE_SYS
	s_wait_xcnt 0x0
	s_wait_loadcnt 0x0
	global_atomic_cmpswap_b64 v[6:7], v31, v[22:25], s[2:3] offset:24 th:TH_ATOMIC_RETURN scope:SCOPE_SYS
	s_wait_loadcnt 0x0
	global_inv scope:SCOPE_SYS
	s_wait_xcnt 0x0
	v_cmpx_ne_u64_e64 v[6:7], v[24:25]
	s_cbranch_execz .LBB1_341
; %bb.338:                              ;   in Loop: Header=BB1_280 Depth=1
	s_mov_b32 s5, 0
.LBB1_339:                              ;   Parent Loop BB1_280 Depth=1
                                        ; =>  This Inner Loop Header: Depth=2
	s_sleep 1
	s_clause 0x1
	global_load_b64 v[22:23], v31, s[2:3] offset:40
	global_load_b64 v[34:35], v31, s[2:3]
	v_mov_b64_e32 v[24:25], v[6:7]
	s_wait_loadcnt 0x1
	s_delay_alu instid0(VALU_DEP_1) | instskip(NEXT) | instid1(VALU_DEP_2)
	v_and_b32_e32 v6, v22, v24
	v_and_b32_e32 v22, v23, v25
	s_wait_loadcnt 0x0
	s_delay_alu instid0(VALU_DEP_2) | instskip(NEXT) | instid1(VALU_DEP_1)
	v_mad_nc_u64_u32 v[6:7], v6, 24, v[34:35]
	v_mad_u32 v7, v22, 24, v7
	global_load_b64 v[22:23], v[6:7], off scope:SCOPE_SYS
	s_wait_xcnt 0x0
	s_wait_loadcnt 0x0
	global_atomic_cmpswap_b64 v[6:7], v31, v[22:25], s[2:3] offset:24 th:TH_ATOMIC_RETURN scope:SCOPE_SYS
	s_wait_loadcnt 0x0
	global_inv scope:SCOPE_SYS
	v_cmp_eq_u64_e32 vcc_lo, v[6:7], v[24:25]
	s_or_b32 s5, vcc_lo, s5
	s_wait_xcnt 0x0
	s_and_not1_b32 exec_lo, exec_lo, s5
	s_cbranch_execnz .LBB1_339
; %bb.340:                              ;   in Loop: Header=BB1_280 Depth=1
	s_or_b32 exec_lo, exec_lo, s5
.LBB1_341:                              ;   in Loop: Header=BB1_280 Depth=1
	s_delay_alu instid0(SALU_CYCLE_1)
	s_or_b32 exec_lo, exec_lo, s4
.LBB1_342:                              ;   in Loop: Header=BB1_280 Depth=1
	s_delay_alu instid0(SALU_CYCLE_1)
	s_or_b32 exec_lo, exec_lo, s1
	s_clause 0x1
	global_load_b64 v[34:35], v31, s[2:3] offset:40
	global_load_b128 v[22:25], v31, s[2:3]
	v_readfirstlane_b32 s4, v6
	v_readfirstlane_b32 s5, v7
	s_mov_b32 s1, exec_lo
	s_wait_loadcnt 0x1
	v_and_b32_e32 v36, s4, v34
	v_and_b32_e32 v37, s5, v35
	s_delay_alu instid0(VALU_DEP_1) | instskip(SKIP_1) | instid1(VALU_DEP_1)
	v_mul_u64_e32 v[6:7], 24, v[36:37]
	s_wait_loadcnt 0x0
	v_add_nc_u64_e32 v[34:35], v[22:23], v[6:7]
	s_wait_xcnt 0x0
	s_and_saveexec_b32 s11, s0
	s_cbranch_execz .LBB1_344
; %bb.343:                              ;   in Loop: Header=BB1_280 Depth=1
	v_dual_mov_b32 v6, s1 :: v_dual_mov_b32 v7, v31
	global_store_b128 v[34:35], v[6:9], off offset:8
.LBB1_344:                              ;   in Loop: Header=BB1_280 Depth=1
	s_wait_xcnt 0x0
	s_or_b32 exec_lo, exec_lo, s11
	v_cmp_gt_u64_e32 vcc_lo, 57, v[26:27]
	v_lshlrev_b64_e32 v[6:7], 12, v[36:37]
	v_and_b32_e32 v0, 0xffffff1f, v0
	v_lshl_add_u32 v36, v32, 2, 28
	v_cndmask_b32_e32 v29, 0, v28, vcc_lo
	s_delay_alu instid0(VALU_DEP_4) | instskip(NEXT) | instid1(VALU_DEP_2)
	v_add_nc_u64_e32 v[6:7], v[24:25], v[6:7]
	v_or_b32_e32 v0, v0, v29
	s_delay_alu instid0(VALU_DEP_2) | instskip(NEXT) | instid1(VALU_DEP_3)
	v_readfirstlane_b32 s12, v6
	v_readfirstlane_b32 s13, v7
	s_delay_alu instid0(VALU_DEP_3)
	v_and_or_b32 v0, 0x1e0, v36, v0
	s_clause 0x3
	global_store_b128 v30, v[0:3], s[12:13]
	global_store_b128 v30, v[10:13], s[12:13] offset:16
	global_store_b128 v30, v[14:17], s[12:13] offset:32
	;; [unrolled: 1-line block ×3, first 2 shown]
	s_wait_xcnt 0x0
	s_and_saveexec_b32 s1, s0
	s_cbranch_execz .LBB1_352
; %bb.345:                              ;   in Loop: Header=BB1_280 Depth=1
	s_clause 0x1
	global_load_b64 v[14:15], v31, s[2:3] offset:32 scope:SCOPE_SYS
	global_load_b64 v[0:1], v31, s[2:3] offset:40
	s_mov_b32 s11, exec_lo
	v_dual_mov_b32 v12, s4 :: v_dual_mov_b32 v13, s5
	s_wait_loadcnt 0x0
	v_and_b32_e32 v1, s5, v1
	v_and_b32_e32 v0, s4, v0
	s_delay_alu instid0(VALU_DEP_1) | instskip(NEXT) | instid1(VALU_DEP_1)
	v_mul_u64_e32 v[0:1], 24, v[0:1]
	v_add_nc_u64_e32 v[10:11], v[22:23], v[0:1]
	global_store_b64 v[10:11], v[14:15], off
	global_wb scope:SCOPE_SYS
	s_wait_storecnt 0x0
	s_wait_xcnt 0x0
	global_atomic_cmpswap_b64 v[2:3], v31, v[12:15], s[2:3] offset:32 th:TH_ATOMIC_RETURN scope:SCOPE_SYS
	s_wait_loadcnt 0x0
	v_cmpx_ne_u64_e64 v[2:3], v[14:15]
	s_cbranch_execz .LBB1_348
; %bb.346:                              ;   in Loop: Header=BB1_280 Depth=1
	s_mov_b32 s12, 0
.LBB1_347:                              ;   Parent Loop BB1_280 Depth=1
                                        ; =>  This Inner Loop Header: Depth=2
	v_dual_mov_b32 v0, s4 :: v_dual_mov_b32 v1, s5
	s_sleep 1
	global_store_b64 v[10:11], v[2:3], off
	global_wb scope:SCOPE_SYS
	s_wait_storecnt 0x0
	s_wait_xcnt 0x0
	global_atomic_cmpswap_b64 v[0:1], v31, v[0:3], s[2:3] offset:32 th:TH_ATOMIC_RETURN scope:SCOPE_SYS
	s_wait_loadcnt 0x0
	v_cmp_eq_u64_e32 vcc_lo, v[0:1], v[2:3]
	v_mov_b64_e32 v[2:3], v[0:1]
	s_or_b32 s12, vcc_lo, s12
	s_delay_alu instid0(SALU_CYCLE_1)
	s_and_not1_b32 exec_lo, exec_lo, s12
	s_cbranch_execnz .LBB1_347
.LBB1_348:                              ;   in Loop: Header=BB1_280 Depth=1
	s_or_b32 exec_lo, exec_lo, s11
	global_load_b64 v[0:1], v31, s[2:3] offset:16
	s_mov_b32 s12, exec_lo
	s_mov_b32 s11, exec_lo
	v_mbcnt_lo_u32_b32 v2, s12, 0
	s_wait_xcnt 0x0
	s_delay_alu instid0(VALU_DEP_1)
	v_cmpx_eq_u32_e32 0, v2
	s_cbranch_execz .LBB1_350
; %bb.349:                              ;   in Loop: Header=BB1_280 Depth=1
	s_bcnt1_i32_b32 s12, s12
	s_delay_alu instid0(SALU_CYCLE_1)
	v_dual_mov_b32 v3, v31 :: v_dual_mov_b32 v2, s12
	global_wb scope:SCOPE_SYS
	s_wait_loadcnt 0x0
	s_wait_storecnt 0x0
	global_atomic_add_u64 v[0:1], v[2:3], off offset:8 scope:SCOPE_SYS
.LBB1_350:                              ;   in Loop: Header=BB1_280 Depth=1
	s_wait_xcnt 0x0
	s_or_b32 exec_lo, exec_lo, s11
	s_wait_loadcnt 0x0
	global_load_b64 v[2:3], v[0:1], off offset:16
	s_wait_loadcnt 0x0
	v_cmp_eq_u64_e32 vcc_lo, 0, v[2:3]
	s_cbranch_vccnz .LBB1_352
; %bb.351:                              ;   in Loop: Header=BB1_280 Depth=1
	global_load_b32 v0, v[0:1], off offset:24
	s_wait_xcnt 0x0
	v_mov_b32_e32 v1, v31
	s_wait_loadcnt 0x0
	v_readfirstlane_b32 s11, v0
	global_wb scope:SCOPE_SYS
	s_wait_storecnt 0x0
	global_store_b64 v[2:3], v[0:1], off scope:SCOPE_SYS
	s_and_b32 m0, s11, 0xffffff
	s_sendmsg sendmsg(MSG_INTERRUPT)
.LBB1_352:                              ;   in Loop: Header=BB1_280 Depth=1
	s_wait_xcnt 0x0
	s_or_b32 exec_lo, exec_lo, s1
	v_add_nc_u64_e32 v[0:1], v[6:7], v[30:31]
	s_branch .LBB1_356
.LBB1_353:                              ;   in Loop: Header=BB1_356 Depth=2
	s_wait_xcnt 0x0
	s_or_b32 exec_lo, exec_lo, s1
	s_delay_alu instid0(VALU_DEP_1)
	v_readfirstlane_b32 s1, v2
	s_cmp_eq_u32 s1, 0
	s_cbranch_scc1 .LBB1_355
; %bb.354:                              ;   in Loop: Header=BB1_356 Depth=2
	s_sleep 1
	s_cbranch_execnz .LBB1_356
	s_branch .LBB1_358
.LBB1_355:                              ;   in Loop: Header=BB1_280 Depth=1
	s_branch .LBB1_358
.LBB1_356:                              ;   Parent Loop BB1_280 Depth=1
                                        ; =>  This Inner Loop Header: Depth=2
	v_mov_b32_e32 v2, 1
	s_and_saveexec_b32 s1, s0
	s_cbranch_execz .LBB1_353
; %bb.357:                              ;   in Loop: Header=BB1_356 Depth=2
	global_load_b32 v2, v[34:35], off offset:20 scope:SCOPE_SYS
	s_wait_loadcnt 0x0
	global_inv scope:SCOPE_SYS
	v_and_b32_e32 v2, 1, v2
	s_branch .LBB1_353
.LBB1_358:                              ;   in Loop: Header=BB1_280 Depth=1
	global_load_b64 v[0:1], v[0:1], off
	s_wait_xcnt 0x0
	s_and_saveexec_b32 s11, s0
	s_cbranch_execz .LBB1_279
; %bb.359:                              ;   in Loop: Header=BB1_280 Depth=1
	s_clause 0x2
	global_load_b64 v[2:3], v31, s[2:3] offset:40
	global_load_b64 v[14:15], v31, s[2:3] offset:24 scope:SCOPE_SYS
	global_load_b64 v[6:7], v31, s[2:3]
	s_wait_loadcnt 0x2
	v_readfirstlane_b32 s12, v2
	v_readfirstlane_b32 s13, v3
	s_add_nc_u64 s[0:1], s[12:13], 1
	s_delay_alu instid0(SALU_CYCLE_1) | instskip(NEXT) | instid1(SALU_CYCLE_1)
	s_add_nc_u64 s[4:5], s[0:1], s[4:5]
	s_cmp_eq_u64 s[4:5], 0
	s_cselect_b32 s1, s1, s5
	s_cselect_b32 s0, s0, s4
	s_delay_alu instid0(SALU_CYCLE_1) | instskip(SKIP_1) | instid1(SALU_CYCLE_1)
	v_dual_mov_b32 v13, s1 :: v_dual_mov_b32 v12, s0
	s_and_b64 s[4:5], s[0:1], s[12:13]
	s_mul_u64 s[4:5], s[4:5], 24
	s_wait_loadcnt 0x0
	v_add_nc_u64_e32 v[2:3], s[4:5], v[6:7]
	global_store_b64 v[2:3], v[14:15], off
	global_wb scope:SCOPE_SYS
	s_wait_storecnt 0x0
	s_wait_xcnt 0x0
	global_atomic_cmpswap_b64 v[12:13], v31, v[12:15], s[2:3] offset:24 th:TH_ATOMIC_RETURN scope:SCOPE_SYS
	s_wait_loadcnt 0x0
	v_cmp_ne_u64_e32 vcc_lo, v[12:13], v[14:15]
	s_and_b32 exec_lo, exec_lo, vcc_lo
	s_cbranch_execz .LBB1_279
; %bb.360:                              ;   in Loop: Header=BB1_280 Depth=1
	s_mov_b32 s4, 0
.LBB1_361:                              ;   Parent Loop BB1_280 Depth=1
                                        ; =>  This Inner Loop Header: Depth=2
	v_dual_mov_b32 v10, s0 :: v_dual_mov_b32 v11, s1
	s_sleep 1
	global_store_b64 v[2:3], v[12:13], off
	global_wb scope:SCOPE_SYS
	s_wait_storecnt 0x0
	s_wait_xcnt 0x0
	global_atomic_cmpswap_b64 v[6:7], v31, v[10:13], s[2:3] offset:24 th:TH_ATOMIC_RETURN scope:SCOPE_SYS
	s_wait_loadcnt 0x0
	v_cmp_eq_u64_e32 vcc_lo, v[6:7], v[12:13]
	v_mov_b64_e32 v[12:13], v[6:7]
	s_or_b32 s4, vcc_lo, s4
	s_delay_alu instid0(SALU_CYCLE_1)
	s_and_not1_b32 exec_lo, exec_lo, s4
	s_cbranch_execnz .LBB1_361
	s_branch .LBB1_279
.LBB1_362:
	s_or_b32 exec_lo, exec_lo, s7
                                        ; implicit-def: $vgpr30
                                        ; implicit-def: $vgpr48
.LBB1_363:
	s_and_not1_saveexec_b32 s6, s6
	s_cbranch_execz .LBB1_391
; %bb.364:
	v_readfirstlane_b32 s0, v48
	v_mov_b64_e32 v[2:3], 0
	s_delay_alu instid0(VALU_DEP_2)
	v_cmp_eq_u32_e64 s0, s0, v48
	s_and_saveexec_b32 s1, s0
	s_cbranch_execz .LBB1_370
; %bb.365:
	v_mov_b32_e32 v4, 0
	s_mov_b32 s4, exec_lo
	global_load_b64 v[8:9], v4, s[2:3] offset:24 scope:SCOPE_SYS
	s_wait_loadcnt 0x0
	global_inv scope:SCOPE_SYS
	s_clause 0x1
	global_load_b64 v[2:3], v4, s[2:3] offset:40
	global_load_b64 v[6:7], v4, s[2:3]
	s_wait_loadcnt 0x1
	v_and_b32_e32 v2, v2, v8
	v_and_b32_e32 v3, v3, v9
	s_delay_alu instid0(VALU_DEP_1) | instskip(SKIP_1) | instid1(VALU_DEP_1)
	v_mul_u64_e32 v[2:3], 24, v[2:3]
	s_wait_loadcnt 0x0
	v_add_nc_u64_e32 v[2:3], v[6:7], v[2:3]
	global_load_b64 v[6:7], v[2:3], off scope:SCOPE_SYS
	s_wait_xcnt 0x0
	s_wait_loadcnt 0x0
	global_atomic_cmpswap_b64 v[2:3], v4, v[6:9], s[2:3] offset:24 th:TH_ATOMIC_RETURN scope:SCOPE_SYS
	s_wait_loadcnt 0x0
	global_inv scope:SCOPE_SYS
	s_wait_xcnt 0x0
	v_cmpx_ne_u64_e64 v[2:3], v[8:9]
	s_cbranch_execz .LBB1_369
; %bb.366:
	s_mov_b32 s5, 0
.LBB1_367:                              ; =>This Inner Loop Header: Depth=1
	s_sleep 1
	s_clause 0x1
	global_load_b64 v[6:7], v4, s[2:3] offset:40
	global_load_b64 v[10:11], v4, s[2:3]
	v_mov_b64_e32 v[8:9], v[2:3]
	s_wait_loadcnt 0x1
	s_delay_alu instid0(VALU_DEP_1) | instskip(NEXT) | instid1(VALU_DEP_2)
	v_and_b32_e32 v2, v6, v8
	v_and_b32_e32 v5, v7, v9
	s_wait_loadcnt 0x0
	s_delay_alu instid0(VALU_DEP_2) | instskip(NEXT) | instid1(VALU_DEP_1)
	v_mad_nc_u64_u32 v[2:3], v2, 24, v[10:11]
	v_mad_u32 v3, v5, 24, v3
	global_load_b64 v[6:7], v[2:3], off scope:SCOPE_SYS
	s_wait_xcnt 0x0
	s_wait_loadcnt 0x0
	global_atomic_cmpswap_b64 v[2:3], v4, v[6:9], s[2:3] offset:24 th:TH_ATOMIC_RETURN scope:SCOPE_SYS
	s_wait_loadcnt 0x0
	global_inv scope:SCOPE_SYS
	v_cmp_eq_u64_e32 vcc_lo, v[2:3], v[8:9]
	s_or_b32 s5, vcc_lo, s5
	s_wait_xcnt 0x0
	s_and_not1_b32 exec_lo, exec_lo, s5
	s_cbranch_execnz .LBB1_367
; %bb.368:
	s_or_b32 exec_lo, exec_lo, s5
.LBB1_369:
	s_delay_alu instid0(SALU_CYCLE_1)
	s_or_b32 exec_lo, exec_lo, s4
.LBB1_370:
	s_delay_alu instid0(SALU_CYCLE_1)
	s_or_b32 exec_lo, exec_lo, s1
	v_readfirstlane_b32 s4, v2
	v_mov_b32_e32 v31, 0
	v_readfirstlane_b32 s5, v3
	s_mov_b32 s1, exec_lo
	s_clause 0x1
	global_load_b64 v[8:9], v31, s[2:3] offset:40
	global_load_b128 v[4:7], v31, s[2:3]
	s_wait_loadcnt 0x1
	v_and_b32_e32 v2, s4, v8
	v_and_b32_e32 v3, s5, v9
	s_delay_alu instid0(VALU_DEP_1) | instskip(SKIP_1) | instid1(VALU_DEP_1)
	v_mul_u64_e32 v[8:9], 24, v[2:3]
	s_wait_loadcnt 0x0
	v_add_nc_u64_e32 v[8:9], v[4:5], v[8:9]
	s_wait_xcnt 0x0
	s_and_saveexec_b32 s7, s0
	s_cbranch_execz .LBB1_372
; %bb.371:
	v_mov_b64_e32 v[12:13], 0x100000002
	v_dual_mov_b32 v10, s1 :: v_dual_mov_b32 v11, v31
	global_store_b128 v[8:9], v[10:13], off offset:8
.LBB1_372:
	s_wait_xcnt 0x0
	s_or_b32 exec_lo, exec_lo, s7
	v_lshlrev_b64_e32 v[2:3], 12, v[2:3]
	s_mov_b32 s12, 0
	v_and_or_b32 v0, 0xffffff1f, v0, 32
	s_mov_b32 s13, s12
	s_mov_b32 s14, s12
	;; [unrolled: 1-line block ×3, first 2 shown]
	v_mov_b64_e32 v[10:11], s[12:13]
	v_add_nc_u64_e32 v[6:7], v[6:7], v[2:3]
	v_mov_b64_e32 v[12:13], s[14:15]
	v_dual_mov_b32 v2, v31 :: v_dual_mov_b32 v3, v31
	s_delay_alu instid0(VALU_DEP_3) | instskip(NEXT) | instid1(VALU_DEP_4)
	v_readfirstlane_b32 s10, v6
	v_readfirstlane_b32 s11, v7
	s_clause 0x3
	global_store_b128 v30, v[0:3], s[10:11]
	global_store_b128 v30, v[10:13], s[10:11] offset:16
	global_store_b128 v30, v[10:13], s[10:11] offset:32
	global_store_b128 v30, v[10:13], s[10:11] offset:48
	s_wait_xcnt 0x0
	s_and_saveexec_b32 s1, s0
	s_cbranch_execz .LBB1_380
; %bb.373:
	v_dual_mov_b32 v10, 0 :: v_dual_mov_b32 v13, s5
	s_mov_b32 s7, exec_lo
	s_clause 0x1
	global_load_b64 v[14:15], v10, s[2:3] offset:32 scope:SCOPE_SYS
	global_load_b64 v[0:1], v10, s[2:3] offset:40
	s_wait_loadcnt 0x0
	v_dual_mov_b32 v12, s4 :: v_dual_bitop2_b32 v1, s5, v1 bitop3:0x40
	v_and_b32_e32 v0, s4, v0
	s_delay_alu instid0(VALU_DEP_1) | instskip(NEXT) | instid1(VALU_DEP_1)
	v_mul_u64_e32 v[0:1], 24, v[0:1]
	v_add_nc_u64_e32 v[4:5], v[4:5], v[0:1]
	global_store_b64 v[4:5], v[14:15], off
	global_wb scope:SCOPE_SYS
	s_wait_storecnt 0x0
	s_wait_xcnt 0x0
	global_atomic_cmpswap_b64 v[2:3], v10, v[12:15], s[2:3] offset:32 th:TH_ATOMIC_RETURN scope:SCOPE_SYS
	s_wait_loadcnt 0x0
	v_cmpx_ne_u64_e64 v[2:3], v[14:15]
	s_cbranch_execz .LBB1_376
; %bb.374:
	s_mov_b32 s10, 0
.LBB1_375:                              ; =>This Inner Loop Header: Depth=1
	v_dual_mov_b32 v0, s4 :: v_dual_mov_b32 v1, s5
	s_sleep 1
	global_store_b64 v[4:5], v[2:3], off
	global_wb scope:SCOPE_SYS
	s_wait_storecnt 0x0
	s_wait_xcnt 0x0
	global_atomic_cmpswap_b64 v[0:1], v10, v[0:3], s[2:3] offset:32 th:TH_ATOMIC_RETURN scope:SCOPE_SYS
	s_wait_loadcnt 0x0
	v_cmp_eq_u64_e32 vcc_lo, v[0:1], v[2:3]
	v_mov_b64_e32 v[2:3], v[0:1]
	s_or_b32 s10, vcc_lo, s10
	s_delay_alu instid0(SALU_CYCLE_1)
	s_and_not1_b32 exec_lo, exec_lo, s10
	s_cbranch_execnz .LBB1_375
.LBB1_376:
	s_or_b32 exec_lo, exec_lo, s7
	v_mov_b32_e32 v3, 0
	s_mov_b32 s10, exec_lo
	s_mov_b32 s7, exec_lo
	v_mbcnt_lo_u32_b32 v2, s10, 0
	global_load_b64 v[0:1], v3, s[2:3] offset:16
	s_wait_xcnt 0x0
	v_cmpx_eq_u32_e32 0, v2
	s_cbranch_execz .LBB1_378
; %bb.377:
	s_bcnt1_i32_b32 s10, s10
	s_delay_alu instid0(SALU_CYCLE_1)
	v_mov_b32_e32 v2, s10
	global_wb scope:SCOPE_SYS
	s_wait_loadcnt 0x0
	s_wait_storecnt 0x0
	global_atomic_add_u64 v[0:1], v[2:3], off offset:8 scope:SCOPE_SYS
.LBB1_378:
	s_wait_xcnt 0x0
	s_or_b32 exec_lo, exec_lo, s7
	s_wait_loadcnt 0x0
	global_load_b64 v[2:3], v[0:1], off offset:16
	s_wait_loadcnt 0x0
	v_cmp_eq_u64_e32 vcc_lo, 0, v[2:3]
	s_cbranch_vccnz .LBB1_380
; %bb.379:
	global_load_b32 v0, v[0:1], off offset:24
	s_wait_xcnt 0x0
	v_mov_b32_e32 v1, 0
	s_wait_loadcnt 0x0
	v_readfirstlane_b32 s7, v0
	global_wb scope:SCOPE_SYS
	s_wait_storecnt 0x0
	global_store_b64 v[2:3], v[0:1], off scope:SCOPE_SYS
	s_and_b32 m0, s7, 0xffffff
	s_sendmsg sendmsg(MSG_INTERRUPT)
.LBB1_380:
	s_wait_xcnt 0x0
	s_or_b32 exec_lo, exec_lo, s1
	v_add_nc_u64_e32 v[0:1], v[6:7], v[30:31]
	s_branch .LBB1_384
.LBB1_381:                              ;   in Loop: Header=BB1_384 Depth=1
	s_wait_xcnt 0x0
	s_or_b32 exec_lo, exec_lo, s1
	s_delay_alu instid0(VALU_DEP_1)
	v_readfirstlane_b32 s1, v2
	s_cmp_eq_u32 s1, 0
	s_cbranch_scc1 .LBB1_383
; %bb.382:                              ;   in Loop: Header=BB1_384 Depth=1
	s_sleep 1
	s_cbranch_execnz .LBB1_384
	s_branch .LBB1_386
.LBB1_383:
	s_branch .LBB1_386
.LBB1_384:                              ; =>This Inner Loop Header: Depth=1
	v_mov_b32_e32 v2, 1
	s_and_saveexec_b32 s1, s0
	s_cbranch_execz .LBB1_381
; %bb.385:                              ;   in Loop: Header=BB1_384 Depth=1
	global_load_b32 v2, v[8:9], off offset:20 scope:SCOPE_SYS
	s_wait_loadcnt 0x0
	global_inv scope:SCOPE_SYS
	v_and_b32_e32 v2, 1, v2
	s_branch .LBB1_381
.LBB1_386:
	global_load_b64 v[0:1], v[0:1], off
	s_wait_xcnt 0x0
	s_and_saveexec_b32 s7, s0
	s_cbranch_execz .LBB1_390
; %bb.387:
	v_mov_b32_e32 v8, 0
	s_clause 0x2
	global_load_b64 v[2:3], v8, s[2:3] offset:40
	global_load_b64 v[12:13], v8, s[2:3] offset:24 scope:SCOPE_SYS
	global_load_b64 v[4:5], v8, s[2:3]
	s_wait_loadcnt 0x2
	v_readfirstlane_b32 s10, v2
	v_readfirstlane_b32 s11, v3
	s_add_nc_u64 s[0:1], s[10:11], 1
	s_delay_alu instid0(SALU_CYCLE_1) | instskip(NEXT) | instid1(SALU_CYCLE_1)
	s_add_nc_u64 s[4:5], s[0:1], s[4:5]
	s_cmp_eq_u64 s[4:5], 0
	s_cselect_b32 s1, s1, s5
	s_cselect_b32 s0, s0, s4
	v_mov_b32_e32 v11, s1
	s_and_b64 s[4:5], s[0:1], s[10:11]
	v_mov_b32_e32 v10, s0
	s_mul_u64 s[4:5], s[4:5], 24
	s_wait_loadcnt 0x0
	v_add_nc_u64_e32 v[6:7], s[4:5], v[4:5]
	global_store_b64 v[6:7], v[12:13], off
	global_wb scope:SCOPE_SYS
	s_wait_storecnt 0x0
	s_wait_xcnt 0x0
	global_atomic_cmpswap_b64 v[4:5], v8, v[10:13], s[2:3] offset:24 th:TH_ATOMIC_RETURN scope:SCOPE_SYS
	s_wait_loadcnt 0x0
	v_cmp_ne_u64_e32 vcc_lo, v[4:5], v[12:13]
	s_and_b32 exec_lo, exec_lo, vcc_lo
	s_cbranch_execz .LBB1_390
; %bb.388:
	s_mov_b32 s4, 0
.LBB1_389:                              ; =>This Inner Loop Header: Depth=1
	v_dual_mov_b32 v2, s0 :: v_dual_mov_b32 v3, s1
	s_sleep 1
	global_store_b64 v[6:7], v[4:5], off
	global_wb scope:SCOPE_SYS
	s_wait_storecnt 0x0
	s_wait_xcnt 0x0
	global_atomic_cmpswap_b64 v[2:3], v8, v[2:5], s[2:3] offset:24 th:TH_ATOMIC_RETURN scope:SCOPE_SYS
	s_wait_loadcnt 0x0
	v_cmp_eq_u64_e32 vcc_lo, v[2:3], v[4:5]
	v_mov_b64_e32 v[4:5], v[2:3]
	s_or_b32 s4, vcc_lo, s4
	s_delay_alu instid0(SALU_CYCLE_1)
	s_and_not1_b32 exec_lo, exec_lo, s4
	s_cbranch_execnz .LBB1_389
.LBB1_390:
	s_or_b32 exec_lo, exec_lo, s7
.LBB1_391:
	s_delay_alu instid0(SALU_CYCLE_1)
	s_or_b32 exec_lo, exec_lo, s6
	s_get_pc_i64 s[0:1]
	s_add_nc_u64 s[0:1], s[0:1], .str.3@rel64+4
	s_get_pc_i64 s[2:3]
	s_add_nc_u64 s[2:3], s[2:3], .str.3@rel64+32
	v_dual_mov_b32 v2, s0 :: v_dual_mov_b32 v3, s1
	s_sub_co_i32 s4, s2, s0
	v_mov_b32_e32 v6, 1
	s_ashr_i32 s5, s4, 31
	s_delay_alu instid0(SALU_CYCLE_1) | instskip(SKIP_2) | instid1(SALU_CYCLE_1)
	v_dual_mov_b32 v4, s4 :: v_dual_mov_b32 v5, s5
	s_get_pc_i64 s[2:3]
	s_add_nc_u64 s[2:3], s[2:3], __ockl_fprintf_append_string_n@rel64+4
	s_swap_pc_i64 s[30:31], s[2:3]
	s_trap 2
.Lfunc_end1:
	.size	__assert_fail, .Lfunc_end1-__assert_fail
                                        ; -- End function
	.set .L__assert_fail.num_vgpr, max(49, .L__ockl_fprintf_append_string_n.num_vgpr)
	.set .L__assert_fail.num_agpr, max(0, .L__ockl_fprintf_append_string_n.num_agpr)
	.set .L__assert_fail.numbered_sgpr, max(34, .L__ockl_fprintf_append_string_n.numbered_sgpr)
	.set .L__assert_fail.num_named_barrier, max(0, .L__ockl_fprintf_append_string_n.num_named_barrier)
	.set .L__assert_fail.private_seg_size, 64+max(.L__ockl_fprintf_append_string_n.private_seg_size)
	.set .L__assert_fail.uses_vcc, or(1, .L__ockl_fprintf_append_string_n.uses_vcc)
	.set .L__assert_fail.uses_flat_scratch, or(1, .L__ockl_fprintf_append_string_n.uses_flat_scratch)
	.set .L__assert_fail.has_dyn_sized_stack, or(0, .L__ockl_fprintf_append_string_n.has_dyn_sized_stack)
	.set .L__assert_fail.has_recursion, or(0, .L__ockl_fprintf_append_string_n.has_recursion)
	.set .L__assert_fail.has_indirect_call, or(0, .L__ockl_fprintf_append_string_n.has_indirect_call)
	.section	.AMDGPU.csdata,"",@progbits
; Function info:
; codeLenInByte = 15740
; TotalNumSgprs: 36
; NumVgprs: 49
; ScratchSize: 64
; MemoryBound: 0
	.text
	.p2align	2                               ; -- Begin function _ZN12_GLOBAL__N_17runRingI14__hip_fp8_e4m37FuncSumIS1_E11ProtoSimpleILi2ELi2ELi0ELi1ELi0ELi0EELi0ELi0ELi1ELi0EEEviiP15ncclDevWorkColl
	.type	_ZN12_GLOBAL__N_17runRingI14__hip_fp8_e4m37FuncSumIS1_E11ProtoSimpleILi2ELi2ELi0ELi1ELi0ELi0EELi0ELi0ELi1ELi0EEEviiP15ncclDevWorkColl,@function
_ZN12_GLOBAL__N_17runRingI14__hip_fp8_e4m37FuncSumIS1_E11ProtoSimpleILi2ELi2ELi0ELi1ELi0ELi0EELi0ELi0ELi1ELi0EEEviiP15ncclDevWorkColl: ; @_ZN12_GLOBAL__N_17runRingI14__hip_fp8_e4m37FuncSumIS1_E11ProtoSimpleILi2ELi2ELi0ELi1ELi0ELi0EELi0ELi0ELi1ELi0EEEviiP15ncclDevWorkColl
; %bb.0:
	s_wait_loadcnt_dscnt 0x0
	s_wait_kmcnt 0x0
	s_mov_b32 s91, s33
	s_mov_b32 s33, s32
	s_or_saveexec_b32 s0, -1
	scratch_store_b32 off, v126, s33 offset:192 ; 4-byte Folded Spill
	s_wait_xcnt 0x0
	s_mov_b32 exec_lo, s0
	s_addk_co_i32 s32, 0xd0
	s_clause 0x2d
	scratch_store_b32 off, v40, s33 offset:180
	; meta instruction
	scratch_store_b32 off, v41, s33 offset:176
	; meta instruction
	;; [unrolled: 2-line block ×45, first 2 shown]
	scratch_store_b32 off, v125, s33
	v_writelane_b32 v126, s30, 0
	v_writelane_b32 v126, s31, 1
	s_trap 2
	flat_load_b32 v7, v[2:3]
	ds_load_b32 v6, v0
	s_mov_b32 s0, exec_lo
                                        ; implicit-def: $vgpr14_vgpr15
                                        ; implicit-def: $vgpr16_vgpr17
                                        ; implicit-def: $vgpr4_vgpr5
	s_wait_dscnt 0x0
	v_readfirstlane_b32 s16, v6
	s_wait_loadcnt 0x0
	v_and_b32_e32 v8, 0xff, v7
	s_wait_xcnt 0x0
	s_delay_alu instid0(VALU_DEP_1)
	v_cmpx_ne_u32_e64 v6, v8
	s_xor_b32 s0, exec_lo, s0
	s_cbranch_execz .LBB2_6
; %bb.1:
	v_bfe_u32 v9, v7, 8, 8
	v_not_b32_e32 v8, v8
	s_mov_b32 s1, exec_lo
                                        ; implicit-def: $vgpr14_vgpr15
                                        ; implicit-def: $vgpr16_vgpr17
                                        ; implicit-def: $vgpr4_vgpr5
	s_delay_alu instid0(VALU_DEP_2)
	v_cmpx_ne_u32_e64 v6, v9
	s_xor_b32 s1, exec_lo, s1
	s_cbranch_execz .LBB2_3
; %bb.2:
	s_clause 0x1
	flat_load_b128 v[10:13], v[2:3] offset:72
	flat_load_b64 v[4:5], v[2:3] offset:96
	v_add_nc_u32_e32 v6, v6, v8
                                        ; implicit-def: $vgpr9
                                        ; implicit-def: $vgpr8
	s_wait_loadcnt_dscnt 0x101
	s_delay_alu instid0(VALU_DEP_1) | instskip(SKIP_3) | instid1(VALU_DEP_3)
	v_mad_nc_u64_u32 v[16:17], v12, v6, v[10:11]
	s_wait_loadcnt_dscnt 0x0
	v_lshrrev_b64 v[14:15], 12, v[4:5]
	v_mov_b64_e32 v[4:5], v[12:13]
	v_mad_u32 v7, v13, v6, v17
	v_ashrrev_i32_e32 v6, 31, v6
	s_delay_alu instid0(VALU_DEP_1)
	v_mad_u32 v17, v12, v6, v7
.LBB2_3:
	s_wait_xcnt 0x0
	s_and_not1_saveexec_b32 s1, s1
	s_cbranch_execz .LBB2_5
; %bb.4:
	s_clause 0x1
	flat_load_b128 v[10:13], v[2:3] offset:72
	flat_load_b128 v[4:7], v[2:3] offset:88
	s_wait_loadcnt_dscnt 0x0
	v_dual_add_nc_u32 v6, v9, v8 :: v_dual_lshrrev_b32 v14, 1, v7
	s_delay_alu instid0(VALU_DEP_1) | instskip(NEXT) | instid1(VALU_DEP_1)
	v_mad_nc_u64_u32 v[16:17], v12, v6, v[10:11]
	v_mad_u32 v8, v13, v6, v17
	v_ashrrev_i32_e32 v6, 31, v6
	s_delay_alu instid0(VALU_DEP_1)
	v_mad_u32 v17, v12, v6, v8
.LBB2_5:
	s_wait_xcnt 0x0
	s_or_b32 exec_lo, exec_lo, s1
.LBB2_6:
	s_and_not1_saveexec_b32 s0, s0
	s_cbranch_execz .LBB2_8
; %bb.7:
	s_clause 0x1
	flat_load_b64 v[6:7], v[2:3] offset:96
	flat_load_b64 v[4:5], v[2:3] offset:72
	v_mov_b64_e32 v[16:17], 0
	s_wait_loadcnt_dscnt 0x101
	v_lshlrev_b64_e32 v[14:15], 9, v[6:7]
.LBB2_8:
	s_wait_xcnt 0x0
	s_or_b32 exec_lo, exec_lo, s0
	s_trap 2
	ds_load_b64 v[6:7], v0
	s_mov_b32 s1, 0
	s_mov_b32 s2, exec_lo
	s_wait_dscnt 0x0
	v_cmp_ne_u32_e32 vcc_lo, -1, v6
	v_cndmask_b32_e64 v15, 0, 1, vcc_lo
	v_cmp_ne_u32_e32 vcc_lo, -1, v7
	s_delay_alu instid0(VALU_DEP_2) | instskip(NEXT) | instid1(VALU_DEP_1)
	v_add_co_ci_u32_e64 v8, null, 0, v15, vcc_lo
	v_lshlrev_b32_e32 v6, 1, v8
	s_delay_alu instid0(VALU_DEP_1)
	v_cmpx_le_u32_e64 v6, v1
	s_xor_b32 s46, exec_lo, s2
	s_cbranch_execnz .LBB2_9
; %bb.5209:
	s_add_pc_i64 .LBB2_5206-.Lpost_addpc0
.Lpost_addpc0:
.LBB2_9:
	s_clause 0x3
	flat_load_b128 v[10:13], v[2:3] offset:16
	flat_load_b64 v[32:33], v[2:3] offset:104
	flat_load_u16 v7, v[2:3] offset:8
	flat_load_b32 v6, v[2:3] offset:4
	s_trap 2
	s_load_b32 s0, s[8:9], 0x0
	s_bfe_u32 s2, ttmp6, 0x4000c
	s_and_b32 s3, ttmp6, 15
	s_add_co_i32 s2, s2, 1
	s_getreg_b32 s4, hwreg(HW_REG_IB_STS2, 6, 4)
	s_mul_i32 s2, ttmp9, s2
	v_dual_mov_b32 v9, 0 :: v_dual_mov_b32 v30, 4
	s_add_co_i32 s3, s3, s2
	s_cmp_eq_u32 s4, 0
	s_cselect_b32 s2, ttmp9, s3
	s_wait_kmcnt 0x0
	s_cmp_lt_u32 s2, s0
	s_cselect_b32 s0, 12, 18
	s_delay_alu instid0(SALU_CYCLE_1)
	s_add_nc_u64 s[0:1], s[8:9], s[0:1]
	global_load_u16 v25, v9, s[0:1]
	s_wait_xcnt 0x0
	ds_load_b32 v9, v0
	s_mov_b32 s1, exec_lo
	s_wait_dscnt 0x0
	v_readfirstlane_b32 s7, v9
	v_cmpx_ge_i32_e64 v0, v15
	s_cbranch_execz .LBB2_19
; %bb.10:
	v_cmp_ge_u32_e64 s0, v0, v8
                                        ; implicit-def: $vgpr30
	s_and_saveexec_b32 s2, s0
	s_delay_alu instid0(SALU_CYCLE_1)
	s_xor_b32 s0, exec_lo, s2
	s_cbranch_execz .LBB2_16
; %bb.11:
	v_cndmask_b32_e64 v9, 0, 1, vcc_lo
	s_mov_b32 s2, exec_lo
	s_delay_alu instid0(VALU_DEP_1) | instskip(NEXT) | instid1(VALU_DEP_1)
	v_sub_nc_u32_e32 v9, v1, v9
	v_cmpx_ge_u32_e64 v0, v9
	s_xor_b32 s2, exec_lo, s2
; %bb.12:
                                        ; implicit-def: $vgpr8
; %bb.13:
	s_delay_alu instid0(SALU_CYCLE_1)
	s_or_saveexec_b32 s2, s2
	v_mov_b32_e32 v30, 16
	s_xor_b32 exec_lo, exec_lo, s2
; %bb.14:
	v_sub_nc_u32_e32 v8, v1, v8
	s_delay_alu instid0(VALU_DEP_1)
	v_cmp_lt_i32_e32 vcc_lo, v0, v8
	v_cndmask_b32_e64 v30, 32, 0, vcc_lo
; %bb.15:
	s_or_b32 exec_lo, exec_lo, s2
.LBB2_16:
	s_and_not1_saveexec_b32 s0, s0
; %bb.17:
	v_mov_b32_e32 v30, 8
; %bb.18:
	s_or_b32 exec_lo, exec_lo, s0
.LBB2_19:
	s_delay_alu instid0(SALU_CYCLE_1) | instskip(NEXT) | instid1(VALU_DEP_1)
	s_or_b32 exec_lo, exec_lo, s1
	v_dual_mov_b32 v36, -1 :: v_dual_bitop2_b32 v8, 36, v30 bitop3:0x40
	s_delay_alu instid0(VALU_DEP_1)
	v_cmp_ne_u32_e32 vcc_lo, 0, v8
	s_and_saveexec_b32 s0, vcc_lo
	s_cbranch_execz .LBB2_21
; %bb.20:
	s_trap 2
	ds_load_b32 v36, v0
.LBB2_21:
	s_or_b32 exec_lo, exec_lo, s0
	v_and_b32_e32 v8, 24, v30
	s_mov_b32 s1, exec_lo
	s_delay_alu instid0(VALU_DEP_1)
	v_cmpx_ne_u32_e32 0, v8
	s_cbranch_execz .LBB2_23
; %bb.22:
	s_trap 2
	s_wait_dscnt 0x0
	ds_load_b32 v36, v0
.LBB2_23:
	s_or_b32 exec_lo, exec_lo, s1
	s_wait_loadcnt 0x1
	v_lshrrev_b64 v[6:7], 31, v[6:7]
	v_mov_b64_e32 v[20:21], 0
                                        ; implicit-def: $vgpr24
                                        ; implicit-def: $vgpr98_vgpr99
                                        ; implicit-def: $vgpr26_vgpr27
                                        ; implicit-def: $vgpr34_vgpr35
                                        ; implicit-def: $vgpr22_vgpr23
	s_delay_alu instid0(VALU_DEP_2) | instskip(SKIP_1) | instid1(VALU_DEP_2)
	v_and_b32_e32 v8, 3, v6
	v_mov_b64_e32 v[6:7], 0
	v_and_b32_e32 v37, 0xffff, v8
                                        ; implicit-def: $vgpr8_vgpr9
                                        ; kill: killed $vgpr8_vgpr9
	s_and_saveexec_b32 s0, vcc_lo
	s_cbranch_execz .LBB2_33
; %bb.24:
	s_trap 2
	ds_load_b64 v[6:7], v0
	s_wait_dscnt 0x0
	v_readfirstlane_b32 s2, v6
	v_readfirstlane_b32 s3, v7
	flat_load_b64 v[6:7], v36, s[2:3] scale_offset
	s_wait_loadcnt_dscnt 0x0
	v_mad_nc_u64_u32 v[8:9], 0xa8, v37, v[6:7]
	flat_load_b32 v6, v[8:9] offset:640
	s_wait_loadcnt_dscnt 0x0
	v_cmp_eq_u32_e32 vcc_lo, 1, v6
                                        ; implicit-def: $vgpr6_vgpr7
                                        ; kill: killed $vgpr6_vgpr7
	s_wait_xcnt 0x0
	s_and_saveexec_b32 s1, vcc_lo
	s_cbranch_execz .LBB2_26
; %bb.25:
	flat_load_b64 v[18:19], v[8:9] offset:648
	v_or_b32_e32 v30, 0x2000, v30
	s_wait_loadcnt_dscnt 0x0
	flat_load_b64 v[6:7], v[18:19]
	s_trap 2
	scratch_store_b64 off, v[18:19], s33 offset:184 ; 8-byte Folded Spill
	s_wait_loadcnt_dscnt 0x0
	ds_store_b64 v0, v[6:7]
	flat_load_b64 v[6:7], v[18:19] offset:8
	s_wait_loadcnt_dscnt 0x0
	ds_store_b64 v0, v[6:7]
	flat_load_b64 v[6:7], v[18:19] offset:16
	s_wait_loadcnt_dscnt 0x0
	ds_store_b64 v0, v[6:7]
.LBB2_26:
	s_wait_xcnt 0x0
	s_or_b32 exec_lo, exec_lo, s1
	flat_load_b64 v[6:7], v[8:9] offset:608
	s_mov_b32 s1, exec_lo
                                        ; implicit-def: $vgpr22_vgpr23
	s_wait_loadcnt_dscnt 0x0
	v_add_nc_u64_e32 v[98:99], 3, v[6:7]
	v_and_b32_e32 v6, 32, v30
	s_delay_alu instid0(VALU_DEP_2) | instskip(SKIP_1) | instid1(VALU_DEP_2)
	v_and_b32_e32 v98, -4, v98
	s_wait_xcnt 0x0
	v_cmpx_ne_u32_e32 0, v6
	s_cbranch_execz .LBB2_28
; %bb.27:
	flat_load_b64 v[22:23], v[8:9] offset:560
	global_wb scope:SCOPE_SYS
	s_wait_storecnt 0x0
	s_wait_xcnt 0x0
	s_wait_loadcnt_dscnt 0x0
	flat_store_b64 v[22:23], v[98:99] scope:SCOPE_SYS
.LBB2_28:
	s_wait_xcnt 0x0
	s_or_b32 exec_lo, exec_lo, s1
	v_add_nc_u64_e32 v[20:21], 0x1f8, v[8:9]
	v_mov_b64_e32 v[6:7], 0
	v_and_b32_e32 v18, 4, v30
	s_mov_b32 s1, exec_lo
                                        ; implicit-def: $vgpr24
                                        ; implicit-def: $vgpr26_vgpr27
                                        ; implicit-def: $vgpr34_vgpr35
	s_delay_alu instid0(VALU_DEP_1)
	v_cmpx_ne_u32_e32 0, v18
	s_cbranch_execz .LBB2_32
; %bb.29:
	v_and_b32_e32 v6, 0x800, v30
	s_mov_b32 s2, exec_lo
	s_delay_alu instid0(VALU_DEP_1)
	v_cmpx_eq_u32_e32 0, v6
	s_cbranch_execz .LBB2_31
; %bb.30:
	s_trap 2
	ds_store_b64 v0, v[20:21]
.LBB2_31:
	s_or_b32 exec_lo, exec_lo, s2
	flat_load_b64 v[22:23], v[8:9] offset:552
	s_wait_loadcnt_dscnt 0x0
	flat_load_b64 v[34:35], v[22:23] scope:SCOPE_SYS
	s_clause 0x2
	flat_load_b64 v[6:7], v[8:9] offset:600
	flat_load_b32 v24, v[8:9] offset:576
	flat_load_b64 v[26:27], v[8:9] offset:520
	s_wait_xcnt 0x0
	v_or_b32_e32 v8, 0x100, v30
	s_wait_loadcnt_dscnt 0x202
	v_cmp_eq_u64_e32 vcc_lo, 0, v[6:7]
	s_delay_alu instid0(VALU_DEP_2)
	v_cndmask_b32_e32 v30, v8, v30, vcc_lo
.LBB2_32:
	s_or_b32 exec_lo, exec_lo, s1
.LBB2_33:
	s_delay_alu instid0(SALU_CYCLE_1) | instskip(NEXT) | instid1(VALU_DEP_1)
	s_or_b32 exec_lo, exec_lo, s0
	v_and_b32_e32 v8, 24, v30
	s_mov_b32 s0, exec_lo
                                        ; implicit-def: $vgpr28_vgpr29
	s_delay_alu instid0(VALU_DEP_1)
	v_cmpx_ne_u32_e32 0, v8
	s_cbranch_execz .LBB2_41
; %bb.34:
	s_trap 2
	ds_load_b64 v[6:7], v0
	v_or_b32_e32 v18, 0x100, v30
	s_mov_b32 s1, exec_lo
                                        ; implicit-def: $vgpr28_vgpr29
	s_wait_dscnt 0x0
	v_readfirstlane_b32 s2, v6
	v_readfirstlane_b32 s3, v7
	flat_load_b64 v[6:7], v36, s[2:3] scale_offset
	s_wait_loadcnt_dscnt 0x0
	v_mad_nc_u64_u32 v[20:21], 0xa8, v37, v[6:7]
	flat_load_b128 v[6:9], v[20:21] offset:96
	s_wait_loadcnt_dscnt 0x0
	v_cmp_eq_u64_e32 vcc_lo, 0, v[6:7]
	v_cndmask_b32_e32 v30, v18, v30, vcc_lo
	s_delay_alu instid0(VALU_DEP_1) | instskip(SKIP_1) | instid1(VALU_DEP_1)
	v_and_b32_e32 v18, 16, v30
	s_wait_xcnt 0x0
	v_cmpx_ne_u32_e32 0, v18
	s_cbranch_execz .LBB2_36
; %bb.35:
	s_clause 0x2
	flat_load_b64 v[22:23], v[20:21] offset:48
	flat_load_b64 v[28:29], v[20:21] offset:120
	;; [unrolled: 1-line block ×3, first 2 shown]
.LBB2_36:
	s_wait_xcnt 0x0
	s_or_b32 exec_lo, exec_lo, s1
	v_add_nc_u64_e32 v[98:99], 3, v[8:9]
	v_and_b32_e32 v8, 8, v30
	s_mov_b32 s1, exec_lo
	s_delay_alu instid0(VALU_DEP_2) | instskip(NEXT) | instid1(VALU_DEP_2)
	v_and_b32_e32 v98, -4, v98
	v_cmpx_ne_u32_e32 0, v8
	s_cbranch_execz .LBB2_40
; %bb.37:
	v_and_b32_e32 v8, 0x800, v30
	s_mov_b32 s2, exec_lo
	s_delay_alu instid0(VALU_DEP_1)
	v_cmpx_eq_u32_e32 0, v8
	s_cbranch_execz .LBB2_39
; %bb.38:
	s_trap 2
	ds_store_b64 v0, v[20:21]
.LBB2_39:
	s_or_b32 exec_lo, exec_lo, s2
	s_wait_loadcnt_dscnt 0x202
	flat_load_b64 v[22:23], v[20:21] offset:56
	s_wait_loadcnt_dscnt 0x0
	flat_load_b64 v[34:35], v[22:23] scope:SCOPE_SYS
	s_clause 0x1
	flat_load_b32 v24, v[20:21] offset:72
	flat_load_b64 v[26:27], v[20:21] offset:16
.LBB2_40:
	s_wait_xcnt 0x0
	s_or_b32 exec_lo, exec_lo, s1
.LBB2_41:
	s_delay_alu instid0(SALU_CYCLE_1)
	s_or_b32 exec_lo, exec_lo, s0
	v_cmp_eq_u32_e64 s0, 0, v0
	s_and_saveexec_b32 s1, s0
	s_cbranch_execz .LBB2_43
; %bb.42:
	flat_load_b64 v[8:9], v[2:3] offset:32
	ds_store_2addr_b64 v0, v[12:13], v[10:11] offset1:1
	s_trap 2
	s_wait_loadcnt_dscnt 0x1
	ds_store_b64 v0, v[8:9]
	ds_store_b64 v0, v[32:33]
.LBB2_43:
	s_wait_xcnt 0x0
	s_or_b32 exec_lo, exec_lo, s1
	v_mov_b64_e32 v[32:33], 0
	s_wait_loadcnt 0x0
	v_and_b32_e32 v74, 0xffff, v25
	s_mov_b32 s47, exec_lo
	v_cmpx_lt_i64_e32 0, v[4:5]
	s_cbranch_execnz .LBB2_44
; %bb.5211:
	s_add_pc_i64 .LBB2_5172-.Lpost_addpc1
.Lpost_addpc1:
.LBB2_44:
	flat_load_b32 v8, v[2:3] offset:4
	s_wait_xcnt 0x0
	v_and_b32_e32 v2, 0x3ffffe00, v14
	v_dual_mov_b32 v3, 0 :: v_dual_bitop2_b32 v9, 31, v31 bitop3:0x40
	s_ashr_i32 s17, s16, 31
	s_add_co_i32 s56, s16, s16
	s_not_b32 s6, s16
	v_dual_ashrrev_i32 v10, 31, v0 :: v_dual_lshlrev_b32 v50, 4, v0
	s_cmp_gt_i32 s16, 0
	v_mul_u64_e32 v[54:55], s[16:17], v[2:3]
	s_cselect_b32 s6, s6, -1
	s_wait_dscnt 0x1
	v_dual_ashrrev_i32 v25, 31, v24 :: v_dual_lshrrev_b32 v36, 5, v1
	s_add_co_i32 s28, s6, s56
	v_cmp_eq_u32_e64 s6, 0, v9
	v_lshrrev_b32_e32 v9, 27, v10
	v_mov_b64_e32 v[96:97], v[2:3]
	v_dual_lshlrev_b32 v64, 10, v36 :: v_dual_ashrrev_i32 v51, 31, v50
	v_and_b32_e32 v38, 0x1fe0, v1
	s_delay_alu instid0(VALU_DEP_4) | instskip(SKIP_2) | instid1(VALU_DEP_3)
	v_dual_mov_b32 v65, v3 :: v_dual_add_nc_u32 v2, v0, v9
	v_lshlrev_b32_e32 v66, 9, v36
	s_ashr_i32 s10, s7, 31
	v_subrev_nc_u32_e32 v70, 32, v38
	s_delay_alu instid0(VALU_DEP_3)
	v_and_b32_e32 v9, 0xffffffe0, v2
	v_ashrrev_i32_e32 v79, 5, v2
	s_lshr_b32 s10, s10, 25
	v_add_nc_u32_e32 v80, 0xfffffe00, v66
	s_add_co_i32 s7, s7, s10
	v_sub_nc_u32_e32 v88, v0, v9
	s_ashr_i32 s57, s7, 7
	s_ashr_i32 s29, s28, 31
	s_cmp_gt_i32 s16, 2
	v_dual_ashrrev_i32 v71, 31, v70 :: v_dual_ashrrev_i32 v81, 31, v80
	s_cselect_b32 s58, -1, 0
	s_add_co_i32 s13, s16, 1
	v_cmp_ge_i32_e32 vcc_lo, v0, v1
	v_mov_b64_e32 v[48:49], 0
	v_cmp_eq_u64_e64 s4, 0, v[28:29]
	v_cmp_ne_u64_e64 s5, 0, v[28:29]
	v_mov_b64_e32 v[52:53], 0
	v_mov_b64_e32 v[32:33], 0
	v_add_nc_u64_e32 v[82:83], 32, v[70:71]
	v_add_nc_u64_e32 v[84:85], 0x200, v[80:81]
	v_cmp_eq_u32_e64 s1, 32, v1
	v_cmp_ne_u32_e64 s2, 32, v1
	v_cmp_ne_u32_e64 s3, v1, v74
	v_dual_mov_b32 v75, 1 :: v_dual_mov_b32 v76, 0x90
	v_bfrev_b32_e32 v77, 1
	v_dual_mov_b32 v78, 0x88 :: v_dual_mov_b32 v37, v3
	v_dual_mov_b32 v67, v3 :: v_dual_lshlrev_b32 v68, 8, v36
	v_dual_mov_b32 v69, v3 :: v_dual_mov_b32 v39, v3
	s_mov_b32 s19, 0
	s_mov_b64 s[20:21], 0xffffffff
	s_mov_b64 s[22:23], 0xffffffffffffff
	s_mov_b64 s[24:25], 0x100000000000000
	s_add_nc_u64 s[26:27], s[16:17], -1
	s_mov_b32 s63, 0
	s_trap 2
	s_wait_loadcnt_dscnt 0x0
	v_dual_lshlrev_b32 v8, 10, v79 :: v_dual_bitop2_b32 v2, 1, v8 bitop3:0x40
	v_cmp_gt_i32_e64 s10, 1, v88
	v_cmp_lt_i32_e64 s11, v88, v15
	v_cmp_le_i32_e64 s12, v88, v15
	s_delay_alu instid0(VALU_DEP_4) | instskip(SKIP_4) | instid1(VALU_DEP_2)
	v_cmp_eq_u32_e64 s7, 1, v2
	v_lshl_add_u32 v86, v88, 4, v8
	v_sub_nc_u32_e32 v89, 0, v79
	s_xor_b32 s59, s7, -1
	s_cmp_ge_i32 s13, s16
	v_ashrrev_i32_e32 v87, 31, v86
	s_cselect_b32 s14, s16, 0
	s_add_co_i32 s60, s16, -2
	s_sub_co_i32 s42, s13, s14
	s_xor_b32 s61, vcc_lo, -1
	s_ashr_i32 s40, s17, 31
	s_sub_co_i32 s62, 0, s16
	s_ashr_i32 s43, s42, 31
	s_branch .LBB2_47
.LBB2_45:                               ;   in Loop: Header=BB2_47 Depth=1
	s_or_b32 exec_lo, exec_lo, s15
.LBB2_46:                               ;   in Loop: Header=BB2_47 Depth=1
	s_delay_alu instid0(SALU_CYCLE_1) | instskip(SKIP_1) | instid1(VALU_DEP_1)
	s_or_b32 exec_lo, exec_lo, s14
	v_add_nc_u64_e32 v[52:53], v[52:53], v[54:55]
	v_cmp_ge_i64_e32 vcc_lo, v[52:53], v[4:5]
	s_or_b32 s63, vcc_lo, s63
	s_delay_alu instid0(SALU_CYCLE_1)
	s_and_not1_b32 exec_lo, exec_lo, s63
	s_cbranch_execnz .LBB2_47
; %bb.5213:
	s_add_pc_i64 .LBB2_5171-.Lpost_addpc2
.Lpost_addpc2:
.LBB2_47:                               ; =>This Loop Header: Depth=1
                                        ;     Child Loop BB2_57 Depth 2
                                        ;       Child Loop BB2_65 Depth 3
                                        ;       Child Loop BB2_89 Depth 3
	;; [unrolled: 1-line block ×9, first 2 shown]
                                        ;     Child Loop BB2_199 Depth 2
                                        ;       Child Loop BB2_205 Depth 3
                                        ;       Child Loop BB2_229 Depth 3
	;; [unrolled: 1-line block ×3, first 2 shown]
                                        ;     Child Loop BB2_271 Depth 2
                                        ;       Child Loop BB2_274 Depth 3
                                        ;         Child Loop BB2_282 Depth 4
                                        ;         Child Loop BB2_310 Depth 4
	;; [unrolled: 1-line block ×9, first 2 shown]
                                        ;       Child Loop BB2_1736 Depth 3
                                        ;         Child Loop BB2_1742 Depth 4
                                        ;         Child Loop BB2_1770 Depth 4
	;; [unrolled: 1-line block ×3, first 2 shown]
                                        ;     Child Loop BB2_1811 Depth 2
                                        ;       Child Loop BB2_1819 Depth 3
                                        ;       Child Loop BB2_1847 Depth 3
	;; [unrolled: 1-line block ×4, first 2 shown]
                                        ;         Child Loop BB2_2386 Depth 4
                                        ;       Child Loop BB2_2392 Depth 3
                                        ;         Child Loop BB2_2889 Depth 4
                                        ;       Child Loop BB2_2899 Depth 3
                                        ;       Child Loop BB2_3191 Depth 3
                                        ;         Child Loop BB2_3228 Depth 4
                                        ;       Child Loop BB2_3241 Depth 3
                                        ;       Child Loop BB2_3742 Depth 3
	;; [unrolled: 1-line block ×6, first 2 shown]
                                        ;     Child Loop BB2_4626 Depth 2
                                        ;       Child Loop BB2_4632 Depth 3
                                        ;       Child Loop BB2_4660 Depth 3
	;; [unrolled: 1-line block ×3, first 2 shown]
                                        ;     Child Loop BB2_4701 Depth 2
                                        ;       Child Loop BB2_4704 Depth 3
                                        ;         Child Loop BB2_4712 Depth 4
                                        ;         Child Loop BB2_4740 Depth 4
	;; [unrolled: 1-line block ×4, first 2 shown]
                                        ;           Child Loop BB2_4783 Depth 5
                                        ;         Child Loop BB2_4789 Depth 4
                                        ;           Child Loop BB2_4790 Depth 5
                                        ;         Child Loop BB2_4799 Depth 4
                                        ;         Child Loop BB2_4804 Depth 4
                                        ;           Child Loop BB2_4805 Depth 5
                                        ;         Child Loop BB2_4817 Depth 4
                                        ;         Child Loop BB2_4822 Depth 4
	;; [unrolled: 1-line block ×6, first 2 shown]
                                        ;       Child Loop BB2_4887 Depth 3
                                        ;         Child Loop BB2_4893 Depth 4
                                        ;         Child Loop BB2_4921 Depth 4
	;; [unrolled: 1-line block ×3, first 2 shown]
                                        ;     Child Loop BB2_4965 Depth 2
                                        ;       Child Loop BB2_4973 Depth 3
                                        ;       Child Loop BB2_4997 Depth 3
	;; [unrolled: 1-line block ×9, first 2 shown]
                                        ;     Child Loop BB2_5105 Depth 2
                                        ;       Child Loop BB2_5111 Depth 3
                                        ;       Child Loop BB2_5135 Depth 3
	;; [unrolled: 1-line block ×3, first 2 shown]
	v_sub_nc_u64_e32 v[100:101], v[4:5], v[52:53]
	s_mov_b32 s44, exec_lo
	s_delay_alu instid0(VALU_DEP_1)
	v_cmpx_lt_i64_e64 v[100:101], v[54:55]
	s_cbranch_execz .LBB2_53
; %bb.48:                               ;   in Loop: Header=BB2_47 Depth=1
	v_add_nc_u64_e32 v[8:9], s[26:27], v[100:101]
	s_delay_alu instid0(VALU_DEP_1) | instskip(NEXT) | instid1(VALU_DEP_1)
	v_dual_mov_b32 v10, v3 :: v_dual_bitop2_b32 v11, s17, v9 bitop3:0x54
	v_cmp_ne_u64_e32 vcc_lo, 0, v[10:11]
                                        ; implicit-def: $vgpr10_vgpr11
	s_and_saveexec_b32 s13, vcc_lo
	s_delay_alu instid0(SALU_CYCLE_1)
	s_xor_b32 s45, exec_lo, s13
	s_cbranch_execz .LBB2_50
; %bb.49:                               ;   in Loop: Header=BB2_47 Depth=1
	s_mov_b32 s41, s40
	v_dual_mov_b32 v15, v3 :: v_dual_ashrrev_i32 v10, 31, v9
	s_add_nc_u64 s[14:15], s[16:17], s[40:41]
	v_mov_b32_e32 v103, v3
	s_xor_b64 s[14:15], s[14:15], s[40:41]
	s_delay_alu instid0(VALU_DEP_2) | instskip(SKIP_3) | instid1(VALU_DEP_1)
	v_mov_b32_e32 v11, v10
	s_cvt_f32_u32 s13, s14
	s_cvt_f32_u32 s18, s15
	s_sub_nc_u64 s[74:75], 0, s[14:15]
	v_add_nc_u64_e32 v[8:9], v[8:9], v[10:11]
	s_delay_alu instid0(SALU_CYCLE_1) | instskip(NEXT) | instid1(SALU_CYCLE_3)
	s_fmamk_f32 s13, s18, 0x4f800000, s13
	v_s_rcp_f32 s13, s13
	s_delay_alu instid0(VALU_DEP_1) | instskip(NEXT) | instid1(VALU_DEP_2)
	v_xor_b32_e32 v2, v8, v10
	v_xor_b32_e32 v14, v9, v10
	;; [unrolled: 1-line block ×3, first 2 shown]
	s_delay_alu instid0(TRANS32_DEP_1) | instskip(NEXT) | instid1(SALU_CYCLE_3)
	s_mul_f32 s13, s13, 0x5f7ffffc
	s_mul_f32 s18, s13, 0x2f800000
	s_delay_alu instid0(SALU_CYCLE_3) | instskip(NEXT) | instid1(SALU_CYCLE_3)
	s_trunc_f32 s18, s18
	s_fmamk_f32 s13, s18, 0xcf800000, s13
	s_cvt_u32_f32 s73, s18
	s_delay_alu instid0(SALU_CYCLE_2) | instskip(NEXT) | instid1(SALU_CYCLE_3)
	s_cvt_u32_f32 s72, s13
	s_mul_u64 s[76:77], s[74:75], s[72:73]
	s_delay_alu instid0(SALU_CYCLE_1)
	s_mul_hi_u32 s79, s72, s77
	s_mul_i32 s78, s72, s77
	s_mul_hi_u32 s18, s72, s76
	s_mul_i32 s41, s73, s76
	s_add_nc_u64 s[78:79], s[18:19], s[78:79]
	s_mul_hi_u32 s13, s73, s76
	s_mul_hi_u32 s88, s73, s77
	s_add_co_u32 s18, s78, s41
	s_add_co_ci_u32 s18, s79, s13
	s_mul_i32 s76, s73, s77
	s_add_co_ci_u32 s77, s88, 0
	s_delay_alu instid0(SALU_CYCLE_1) | instskip(NEXT) | instid1(SALU_CYCLE_1)
	s_add_nc_u64 s[76:77], s[18:19], s[76:77]
	s_add_co_u32 s72, s72, s76
	s_cselect_b32 s13, -1, 0
	s_delay_alu instid0(SALU_CYCLE_1) | instskip(SKIP_1) | instid1(SALU_CYCLE_1)
	s_cmp_lg_u32 s13, 0
	s_add_co_ci_u32 s73, s73, s77
	s_mul_u64 s[74:75], s[74:75], s[72:73]
	s_delay_alu instid0(SALU_CYCLE_1)
	s_mul_hi_u32 s77, s72, s75
	s_mul_i32 s76, s72, s75
	s_mul_hi_u32 s18, s72, s74
	s_mul_i32 s41, s73, s74
	s_add_nc_u64 s[76:77], s[18:19], s[76:77]
	s_mul_hi_u32 s13, s73, s74
	s_mul_hi_u32 s78, s73, s75
	s_add_co_u32 s18, s76, s41
	s_add_co_ci_u32 s18, s77, s13
	s_mul_i32 s74, s73, s75
	s_add_co_ci_u32 s75, s78, 0
	s_delay_alu instid0(SALU_CYCLE_1) | instskip(NEXT) | instid1(SALU_CYCLE_1)
	s_add_nc_u64 s[74:75], s[18:19], s[74:75]
	s_add_co_u32 s72, s72, s74
	s_cselect_b32 s13, -1, 0
	v_mul_hi_u32 v102, v2, s72
	s_cmp_lg_u32 s13, 0
	s_add_co_ci_u32 s18, s73, s75
	s_and_b64 s[74:75], s[72:73], s[20:21]
	v_mul_u64_e32 v[12:13], s[18:19], v[2:3]
	v_mul_u64_e32 v[8:9], s[74:75], v[14:15]
	;; [unrolled: 1-line block ×3, first 2 shown]
	s_delay_alu instid0(VALU_DEP_3) | instskip(NEXT) | instid1(VALU_DEP_1)
	v_add_nc_u64_e32 v[12:13], v[102:103], v[12:13]
	v_add_co_u32 v8, vcc_lo, v12, v8
	s_delay_alu instid0(VALU_DEP_2) | instskip(NEXT) | instid1(VALU_DEP_4)
	v_add_co_ci_u32_e32 v102, vcc_lo, v13, v9, vcc_lo
	v_add_co_ci_u32_e32 v97, vcc_lo, 0, v97, vcc_lo
	s_delay_alu instid0(VALU_DEP_1) | instskip(NEXT) | instid1(VALU_DEP_1)
	v_add_nc_u64_e32 v[8:9], v[102:103], v[96:97]
	v_mul_u64_e32 v[12:13], s[14:15], v[8:9]
	s_delay_alu instid0(VALU_DEP_1) | instskip(NEXT) | instid1(VALU_DEP_2)
	v_sub_nc_u32_e32 v11, v14, v13
	v_sub_co_u32 v2, vcc_lo, v2, v12
	s_delay_alu instid0(VALU_DEP_1) | instskip(NEXT) | instid1(VALU_DEP_3)
	v_sub_co_ci_u32_e64 v18, null, v14, v13, vcc_lo
	v_subrev_co_ci_u32_e64 v11, null, s15, v11, vcc_lo
	s_delay_alu instid0(VALU_DEP_3) | instskip(SKIP_1) | instid1(VALU_DEP_3)
	v_sub_co_u32 v12, s13, v2, s14
	v_add_nc_u64_e32 v[14:15], 1, v[8:9]
	v_subrev_co_ci_u32_e64 v11, null, 0, v11, s13
	s_delay_alu instid0(VALU_DEP_3) | instskip(SKIP_1) | instid1(VALU_DEP_3)
	v_cmp_le_u32_e32 vcc_lo, s14, v12
	v_cndmask_b32_e64 v12, 0, -1, vcc_lo
	v_cmp_le_u32_e32 vcc_lo, s15, v11
	v_cndmask_b32_e64 v13, 0, -1, vcc_lo
	;; [unrolled: 2-line block ×4, first 2 shown]
	v_cmp_eq_u32_e32 vcc_lo, s15, v11
	v_cndmask_b32_e32 v11, v13, v12, vcc_lo
	v_cmp_eq_u32_e32 vcc_lo, s15, v18
	v_add_nc_u64_e32 v[12:13], 2, v[8:9]
	v_cndmask_b32_e32 v2, v19, v2, vcc_lo
	s_delay_alu instid0(VALU_DEP_4) | instskip(NEXT) | instid1(VALU_DEP_2)
	v_cmp_ne_u32_e32 vcc_lo, 0, v11
	v_cmp_ne_u32_e64 s13, 0, v2
	s_delay_alu instid0(VALU_DEP_4) | instskip(NEXT) | instid1(VALU_DEP_1)
	v_dual_cndmask_b32 v11, v15, v13 :: v_dual_cndmask_b32 v2, v14, v12
	v_dual_cndmask_b32 v9, v9, v11, s13 :: v_dual_cndmask_b32 v2, v8, v2, s13
	s_delay_alu instid0(VALU_DEP_1) | instskip(NEXT) | instid1(VALU_DEP_2)
	v_dual_mov_b32 v11, v10 :: v_dual_bitop2_b32 v9, v9, v10 bitop3:0x14
	v_xor_b32_e32 v8, v2, v10
	s_delay_alu instid0(VALU_DEP_1)
	v_sub_nc_u64_e32 v[10:11], v[8:9], v[10:11]
                                        ; implicit-def: $vgpr8_vgpr9
.LBB2_50:                               ;   in Loop: Header=BB2_47 Depth=1
	s_and_not1_saveexec_b32 s13, s45
	s_cbranch_execz .LBB2_52
; %bb.51:                               ;   in Loop: Header=BB2_47 Depth=1
	v_cvt_f32_u32_e32 v2, s16
	s_delay_alu instid0(VALU_DEP_1) | instskip(SKIP_1) | instid1(TRANS32_DEP_1)
	v_rcp_iflag_f32_e32 v2, v2
	v_nop
	v_mul_f32_e32 v2, 0x4f7ffffe, v2
	s_delay_alu instid0(VALU_DEP_1) | instskip(NEXT) | instid1(VALU_DEP_1)
	v_cvt_u32_f32_e32 v2, v2
	v_mul_lo_u32 v9, s62, v2
	s_delay_alu instid0(VALU_DEP_1) | instskip(NEXT) | instid1(VALU_DEP_1)
	v_mul_hi_u32 v9, v2, v9
	v_add_nc_u32_e32 v2, v2, v9
	s_delay_alu instid0(VALU_DEP_1) | instskip(NEXT) | instid1(VALU_DEP_1)
	v_mul_hi_u32 v2, v8, v2
	v_mul_lo_u32 v9, v2, s16
	s_delay_alu instid0(VALU_DEP_1) | instskip(NEXT) | instid1(VALU_DEP_1)
	v_dual_sub_nc_u32 v8, v8, v9 :: v_dual_add_nc_u32 v9, 1, v2
	v_subrev_nc_u32_e32 v10, s16, v8
	v_cmp_le_u32_e32 vcc_lo, s16, v8
	s_delay_alu instid0(VALU_DEP_2) | instskip(NEXT) | instid1(VALU_DEP_1)
	v_dual_cndmask_b32 v8, v8, v10, vcc_lo :: v_dual_cndmask_b32 v2, v2, v9, vcc_lo
	v_cmp_le_u32_e32 vcc_lo, s16, v8
	s_delay_alu instid0(VALU_DEP_2) | instskip(NEXT) | instid1(VALU_DEP_1)
	v_add_nc_u32_e32 v9, 1, v2
	v_cndmask_b32_e32 v2, v2, v9, vcc_lo
	s_delay_alu instid0(VALU_DEP_1)
	v_mov_b64_e32 v[10:11], v[2:3]
.LBB2_52:                               ;   in Loop: Header=BB2_47 Depth=1
	s_or_b32 exec_lo, exec_lo, s13
	s_delay_alu instid0(VALU_DEP_1) | instskip(NEXT) | instid1(VALU_DEP_1)
	v_add_nc_u64_e32 v[96:97], 15, v[10:11]
	v_and_b32_e32 v96, -16, v96
.LBB2_53:                               ;   in Loop: Header=BB2_47 Depth=1
	s_or_b32 exec_lo, exec_lo, s44
	s_delay_alu instid0(VALU_DEP_1) | instskip(SKIP_2) | instid1(VALU_DEP_3)
	v_mul_u64_e32 v[12:13], s[28:29], v[96:97]
	v_add_nc_u64_e32 v[102:103], v[52:53], v[16:17]
	v_mov_b32_e32 v10, 0
	v_sub_nc_u64_e32 v[8:9], v[100:101], v[12:13]
	s_delay_alu instid0(VALU_DEP_1) | instskip(NEXT) | instid1(VALU_DEP_1)
	v_min_i64 v[8:9], v[96:97], v[8:9]
	v_max_i32_e32 v116, 0, v8
	v_cmp_lt_i32_e32 vcc_lo, 0, v8
	s_delay_alu instid0(VALU_DEP_2) | instskip(SKIP_1) | instid1(VALU_DEP_1)
	v_add_nc_u32_e32 v2, 31, v116
	s_and_b32 s13, s61, vcc_lo
	v_lshrrev_b32_e32 v2, 1, v2
	s_delay_alu instid0(VALU_DEP_1) | instskip(NEXT) | instid1(VALU_DEP_1)
	v_and_b32_e32 v9, 0x3ffffff0, v2
	v_dual_mov_b32 v2, 0 :: v_dual_max_i32 v8, s57, v9
	s_and_saveexec_b32 s14, s13
	s_cbranch_execz .LBB2_195
; %bb.54:                               ;   in Loop: Header=BB2_47 Depth=1
	v_mov_b32_e32 v10, 0
	s_mov_b32 s41, 1
	s_mov_b32 s18, -1
	s_mov_b32 s15, 0
	s_branch .LBB2_57
.LBB2_55:                               ;   in Loop: Header=BB2_57 Depth=2
	s_wait_xcnt 0x0
	s_or_b32 exec_lo, exec_lo, s44
	v_add_nc_u64_e32 v[98:99], 2, v[98:99]
	global_wb scope:SCOPE_SYS
	s_wait_storecnt 0x0
	s_wait_loadcnt_dscnt 0x0
	flat_store_b64 v[22:23], v[98:99] scope:SCOPE_SYS
.LBB2_56:                               ;   in Loop: Header=BB2_57 Depth=2
	s_wait_xcnt 0x0
	s_or_b32 exec_lo, exec_lo, s13
	v_dual_add_nc_u32 v10, v8, v10 :: v_dual_mov_b32 v2, s41
	s_xor_b32 s13, s18, -1
	s_mov_b32 s18, 0
	s_mov_b32 s41, 2
	s_delay_alu instid0(VALU_DEP_1) | instskip(SKIP_1) | instid1(SALU_CYCLE_1)
	v_cmp_ge_i32_e32 vcc_lo, v10, v116
	s_or_b32 s13, s13, vcc_lo
	s_and_b32 s13, exec_lo, s13
	s_delay_alu instid0(SALU_CYCLE_1) | instskip(NEXT) | instid1(SALU_CYCLE_1)
	s_or_b32 s15, s13, s15
	s_and_not1_b32 exec_lo, exec_lo, s15
	s_cbranch_execz .LBB2_194
.LBB2_57:                               ;   Parent Loop BB2_47 Depth=1
                                        ; =>  This Loop Header: Depth=2
                                        ;       Child Loop BB2_65 Depth 3
                                        ;       Child Loop BB2_89 Depth 3
	;; [unrolled: 1-line block ×9, first 2 shown]
	s_and_saveexec_b32 s13, s0
	s_cbranch_execz .LBB2_59
; %bb.58:                               ;   in Loop: Header=BB2_57 Depth=2
	s_trap 2
	ds_load_b64 v[14:15], v0
	v_ashrrev_i32_e32 v11, 31, v10
	s_wait_dscnt 0x0
	v_add_nc_u64_e32 v[14:15], v[14:15], v[102:103]
	s_delay_alu instid0(VALU_DEP_1) | instskip(NEXT) | instid1(VALU_DEP_1)
	v_add_nc_u64_e32 v[14:15], v[14:15], v[12:13]
	v_add_nc_u64_e32 v[14:15], v[14:15], v[10:11]
	ds_store_b64 v0, v[14:15]
	ds_store_b64 v0, v[48:49]
.LBB2_59:                               ;   in Loop: Header=BB2_57 Depth=2
	s_or_b32 exec_lo, exec_lo, s13
	v_sub_nc_u32_e32 v2, v116, v10
	v_and_b32_e32 v9, 8, v30
	s_mov_b32 s44, exec_lo
	s_delay_alu instid0(VALU_DEP_2) | instskip(NEXT) | instid1(VALU_DEP_2)
	v_min_i32_e32 v8, v8, v2
	v_cmpx_ne_u32_e32 0, v9
	s_cbranch_execz .LBB2_81
; %bb.60:                               ;   in Loop: Header=BB2_57 Depth=2
	s_wait_loadcnt_dscnt 0x1
	v_add_nc_u64_e32 v[112:113], 8, v[34:35]
	v_add_nc_u64_e32 v[14:15], 2, v[98:99]
	s_mov_b32 s45, exec_lo
	s_delay_alu instid0(VALU_DEP_1)
	v_cmpx_lt_u64_e64 v[112:113], v[14:15]
	s_cbranch_execz .LBB2_72
; %bb.61:                               ;   in Loop: Header=BB2_57 Depth=2
	v_and_b32_e32 v2, 64, v30
	s_mov_b32 s72, 0
	s_mov_b32 s76, 0
                                        ; implicit-def: $sgpr73
                                        ; implicit-def: $sgpr74
                                        ; implicit-def: $sgpr75
	s_delay_alu instid0(VALU_DEP_1)
	v_cmp_eq_u32_e32 vcc_lo, 0, v2
	s_branch .LBB2_65
.LBB2_62:                               ;   in Loop: Header=BB2_65 Depth=3
	s_wait_loadcnt_dscnt 0x0
	v_add_nc_u64_e32 v[112:113], 8, v[34:35]
	s_or_b32 s79, s79, exec_lo
	s_delay_alu instid0(VALU_DEP_1)
	v_cmp_ge_u64_e64 s13, v[112:113], v[14:15]
	s_or_not1_b32 s78, s13, exec_lo
.LBB2_63:                               ;   in Loop: Header=BB2_65 Depth=3
	s_or_b32 exec_lo, exec_lo, s89
	s_delay_alu instid0(SALU_CYCLE_1)
	s_and_not1_b32 s13, s75, exec_lo
	s_and_b32 s75, s79, exec_lo
	s_and_not1_b32 s74, s74, exec_lo
	s_and_b32 s78, s78, exec_lo
	s_or_b32 s75, s13, s75
	s_or_b32 s74, s74, s78
.LBB2_64:                               ;   in Loop: Header=BB2_65 Depth=3
	s_or_b32 exec_lo, exec_lo, s77
	s_delay_alu instid0(SALU_CYCLE_1) | instskip(NEXT) | instid1(SALU_CYCLE_1)
	s_and_b32 s13, exec_lo, s74
	s_or_b32 s72, s13, s72
	s_and_not1_b32 s13, s73, exec_lo
	s_and_b32 s73, s75, exec_lo
	s_delay_alu instid0(SALU_CYCLE_1)
	s_or_b32 s73, s13, s73
	s_and_not1_b32 exec_lo, exec_lo, s72
	s_cbranch_execz .LBB2_69
.LBB2_65:                               ;   Parent Loop BB2_47 Depth=1
                                        ;     Parent Loop BB2_57 Depth=2
                                        ; =>    This Inner Loop Header: Depth=3
	s_sleep 1
	s_wait_loadcnt_dscnt 0x0
	flat_load_b64 v[34:35], v[22:23] scope:SCOPE_SYS
	s_or_b32 s75, s75, exec_lo
	s_or_b32 s74, s74, exec_lo
                                        ; implicit-def: $vgpr2
	s_wait_xcnt 0x0
	s_and_saveexec_b32 s77, vcc_lo
	s_cbranch_execz .LBB2_64
; %bb.66:                               ;   in Loop: Header=BB2_65 Depth=3
	s_cmp_lt_i32 s76, 0x270f
	s_mov_b32 s78, -1
	s_cselect_b32 s88, -1, 0
	s_cmp_gt_i32 s76, 0x270e
	s_cbranch_scc0 .LBB2_68
; %bb.67:                               ;   in Loop: Header=BB2_65 Depth=3
	s_trap 2
	ds_load_b64 v[112:113], v0
	s_and_not1_b32 s76, s88, exec_lo
	s_mov_b32 s79, 0
	s_wait_storecnt 0x0
	s_wait_loadcnt_dscnt 0x0
	flat_load_b32 v2, v[112:113] scope:SCOPE_SYS
	s_wait_loadcnt_dscnt 0x0
	global_inv scope:SCOPE_SYS
	v_cmp_eq_u32_e64 s13, 0, v2
	s_and_b32 s13, s13, exec_lo
	s_delay_alu instid0(SALU_CYCLE_1)
	s_or_b32 s88, s76, s13
	s_mov_b32 s76, 0
	s_and_saveexec_b32 s89, s88
	s_cbranch_execz .LBB2_63
	s_branch .LBB2_62
.LBB2_68:                               ;   in Loop: Header=BB2_65 Depth=3
	s_add_co_i32 s76, s76, 1
	s_mov_b32 s79, -1
                                        ; implicit-def: $vgpr2
	s_and_saveexec_b32 s89, s88
	s_cbranch_execz .LBB2_63
	s_branch .LBB2_62
.LBB2_69:                               ;   in Loop: Header=BB2_57 Depth=2
	s_or_b32 exec_lo, exec_lo, s72
	s_xor_b32 s13, s73, -1
	s_delay_alu instid0(SALU_CYCLE_1) | instskip(NEXT) | instid1(SALU_CYCLE_1)
	s_and_saveexec_b32 s72, s13
	s_xor_b32 s13, exec_lo, s72
	s_cbranch_execz .LBB2_71
; %bb.70:                               ;   in Loop: Header=BB2_57 Depth=2
	v_or_b32_e32 v30, 64, v30
	s_wait_storecnt 0x0
	s_wait_loadcnt_dscnt 0x0
	ds_store_b32 v0, v2
	s_trap 2
.LBB2_71:                               ;   in Loop: Header=BB2_57 Depth=2
	s_or_b32 exec_lo, exec_lo, s13
.LBB2_72:                               ;   in Loop: Header=BB2_57 Depth=2
	s_delay_alu instid0(SALU_CYCLE_1) | instskip(SKIP_3) | instid1(VALU_DEP_1)
	s_or_b32 exec_lo, exec_lo, s45
	v_and_b32_e32 v2, 0x100, v30
	s_mov_b32 s13, -1
	;;#ASMSTART
	s_wakeup
	;;#ASMEND
	v_cmp_ne_u32_e32 vcc_lo, 0, v2
	v_and_b32_e32 v2, 7, v98
                                        ; implicit-def: $vgpr98_vgpr99
	s_and_saveexec_b32 s45, vcc_lo
	s_cbranch_execz .LBB2_76
; %bb.73:                               ;   in Loop: Header=BB2_57 Depth=2
	s_delay_alu instid0(VALU_DEP_1)
	v_mad_nc_u64_u32 v[112:113], v2, 24, v[6:7]
	v_ashrrev_i32_e32 v9, 31, v8
	s_mov_b32 s72, exec_lo
                                        ; implicit-def: $vgpr98_vgpr99
	s_clause 0x1
	flat_load_b32 v11, v[112:113]
	flat_store_b64 v[112:113], v[8:9] offset:8
	s_wait_loadcnt_dscnt 0x1
	v_cmp_ne_u32_e32 vcc_lo, 1, v11
	s_wait_xcnt 0x0
	v_cmpx_eq_u32_e32 1, v11
	s_cbranch_execz .LBB2_75
; %bb.74:                               ;   in Loop: Header=BB2_57 Depth=2
	flat_load_b32 v98, v[112:113] offset:4 scope:SCOPE_SYS
	s_wait_loadcnt_dscnt 0x0
	v_ashrrev_i32_e32 v99, 31, v98
.LBB2_75:                               ;   in Loop: Header=BB2_57 Depth=2
	s_wait_xcnt 0x0
	s_or_b32 exec_lo, exec_lo, s72
	s_delay_alu instid0(SALU_CYCLE_1)
	s_or_not1_b32 s13, vcc_lo, exec_lo
.LBB2_76:                               ;   in Loop: Header=BB2_57 Depth=2
	s_or_b32 exec_lo, exec_lo, s45
	s_and_saveexec_b32 s45, s13
; %bb.77:                               ;   in Loop: Header=BB2_57 Depth=2
	v_mul_u64_e32 v[98:99], v[2:3], v[24:25]
; %bb.78:                               ;   in Loop: Header=BB2_57 Depth=2
	s_or_b32 exec_lo, exec_lo, s45
	s_delay_alu instid0(VALU_DEP_1)
	v_add_nc_u64_e32 v[98:99], v[26:27], v[98:99]
	v_and_b32_e32 v2, 0x2000, v30
	s_mov_b32 s13, exec_lo
	ds_store_b64 v0, v[98:99] offset:784
	v_cmpx_ne_u32_e32 0, v2
	s_cbranch_execz .LBB2_80
; %bb.79:                               ;   in Loop: Header=BB2_57 Depth=2
	ds_load_b64 v[98:99], v0 offset:872
	s_wait_dscnt 0x0
	v_add_nc_u64_e32 v[98:99], 1, v[98:99]
	ds_store_b64 v0, v[98:99] offset:872
.LBB2_80:                               ;   in Loop: Header=BB2_57 Depth=2
	s_or_b32 exec_lo, exec_lo, s13
	v_mov_b64_e32 v[98:99], v[14:15]
.LBB2_81:                               ;   in Loop: Header=BB2_57 Depth=2
	s_or_b32 exec_lo, exec_lo, s44
	s_and_saveexec_b32 s13, s2
	s_cbranch_execz .LBB2_100
; %bb.82:                               ;   in Loop: Header=BB2_57 Depth=2
	s_and_saveexec_b32 s44, s3
	s_delay_alu instid0(SALU_CYCLE_1)
	s_xor_b32 s44, exec_lo, s44
	s_cbranch_execz .LBB2_97
; %bb.83:                               ;   in Loop: Header=BB2_57 Depth=2
	s_and_saveexec_b32 s45, s6
	s_cbranch_execz .LBB2_96
; %bb.84:                               ;   in Loop: Header=BB2_57 Depth=2
	s_mov_b32 s73, exec_lo
	s_mov_b32 s72, exec_lo
	v_mbcnt_lo_u32_b32 v2, s73, 0
	global_wb scope:SCOPE_DEV
	s_wait_storecnt 0x0
	s_wait_loadcnt_dscnt 0x0
	global_inv scope:SCOPE_DEV
	v_cmpx_eq_u32_e32 0, v2
	s_cbranch_execz .LBB2_86
; %bb.85:                               ;   in Loop: Header=BB2_57 Depth=2
	s_bcnt1_i32_b32 s73, s73
	s_delay_alu instid0(SALU_CYCLE_1)
	v_mov_b32_e32 v2, s73
	s_wait_loadcnt 0x0
	ds_add_u64 v0, v[2:3]
	s_trap 2
.LBB2_86:                               ;   in Loop: Header=BB2_57 Depth=2
	s_or_b32 exec_lo, exec_lo, s72
	s_trap 2
	ds_load_b64 v[14:15], v0
	s_wait_dscnt 0x0
	v_add_nc_u64_e32 v[32:33], v[32:33], v[36:37]
	s_mov_b32 s72, exec_lo
	s_delay_alu instid0(VALU_DEP_1)
	v_cmpx_lt_u64_e64 v[14:15], v[32:33]
	s_cbranch_execz .LBB2_95
; %bb.87:                               ;   in Loop: Header=BB2_57 Depth=2
	s_mov_b32 s73, 0
	s_mov_b32 s76, 0
                                        ; implicit-def: $sgpr74
                                        ; implicit-def: $sgpr75
	s_branch .LBB2_89
.LBB2_88:                               ;   in Loop: Header=BB2_89 Depth=3
	s_or_b32 exec_lo, exec_lo, s78
	s_delay_alu instid0(SALU_CYCLE_1) | instskip(NEXT) | instid1(SALU_CYCLE_1)
	s_and_b32 s77, exec_lo, s79
	s_or_b32 s73, s77, s73
	s_and_not1_b32 s74, s74, exec_lo
	s_and_b32 s77, s75, exec_lo
	s_delay_alu instid0(SALU_CYCLE_1)
	s_or_b32 s74, s74, s77
	s_and_not1_b32 exec_lo, exec_lo, s73
	s_cbranch_execz .LBB2_93
.LBB2_89:                               ;   Parent Loop BB2_47 Depth=1
                                        ;     Parent Loop BB2_57 Depth=2
                                        ; =>    This Inner Loop Header: Depth=3
	s_add_co_i32 s76, s76, 1
	s_delay_alu instid0(SALU_CYCLE_1) | instskip(SKIP_1) | instid1(SALU_CYCLE_1)
	s_cmp_lg_u32 s76, 0x2710
	s_cselect_b32 s77, -1, 0
	s_and_b32 vcc_lo, exec_lo, s77
	s_cbranch_vccz .LBB2_91
; %bb.90:                               ;   in Loop: Header=BB2_89 Depth=3
	s_mov_b32 s79, -1
	s_or_b32 s75, s75, exec_lo
	s_and_saveexec_b32 s78, s77
	s_cbranch_execz .LBB2_88
	s_branch .LBB2_92
.LBB2_91:                               ;   in Loop: Header=BB2_89 Depth=3
	s_trap 2
	ds_load_b64 v[14:15], v0
	s_and_not1_b32 s77, s77, exec_lo
	s_mov_b32 s76, 0
	s_wait_loadcnt_dscnt 0x0
	flat_load_b32 v2, v[14:15] scope:SCOPE_SYS
	s_wait_loadcnt_dscnt 0x0
	global_inv scope:SCOPE_SYS
	v_cmp_eq_u32_e32 vcc_lo, 0, v2
	s_and_b32 s78, vcc_lo, exec_lo
	s_delay_alu instid0(SALU_CYCLE_1)
	s_or_b32 s77, s77, s78
	s_mov_b32 s79, -1
	s_or_b32 s75, s75, exec_lo
	s_and_saveexec_b32 s78, s77
	s_cbranch_execz .LBB2_88
.LBB2_92:                               ;   in Loop: Header=BB2_89 Depth=3
	s_sleep 1
	s_trap 2
	ds_load_b64 v[14:15], v0
	s_wait_dscnt 0x0
	s_and_not1_b32 s75, s75, exec_lo
	v_cmp_ge_u64_e32 vcc_lo, v[14:15], v[32:33]
	s_or_not1_b32 s79, vcc_lo, exec_lo
	s_branch .LBB2_88
.LBB2_93:                               ;   in Loop: Header=BB2_57 Depth=2
	s_or_b32 exec_lo, exec_lo, s73
	s_and_saveexec_b32 s73, s74
	s_delay_alu instid0(SALU_CYCLE_1)
	s_xor_b32 s73, exec_lo, s73
	s_cbranch_execz .LBB2_95
; %bb.94:                               ;   in Loop: Header=BB2_57 Depth=2
	ds_store_b32 v0, v75
	s_trap 2
.LBB2_95:                               ;   in Loop: Header=BB2_57 Depth=2
	s_or_b32 exec_lo, exec_lo, s72
	;;#ASMSTART
	s_wakeup
	;;#ASMEND
.LBB2_96:                               ;   in Loop: Header=BB2_57 Depth=2
	s_or_b32 exec_lo, exec_lo, s45
.LBB2_97:                               ;   in Loop: Header=BB2_57 Depth=2
	s_and_not1_saveexec_b32 s44, s44
	s_cbranch_execz .LBB2_99
; %bb.98:                               ;   in Loop: Header=BB2_57 Depth=2
	global_wb scope:SCOPE_DEV
	s_wait_storecnt 0x0
	s_wait_loadcnt_dscnt 0x0
	global_inv scope:SCOPE_DEV
	s_barrier_signal -1
	s_barrier_wait -1
.LBB2_99:                               ;   in Loop: Header=BB2_57 Depth=2
	s_or_b32 exec_lo, exec_lo, s44
.LBB2_100:                              ;   in Loop: Header=BB2_57 Depth=2
	s_delay_alu instid0(SALU_CYCLE_1) | instskip(SKIP_4) | instid1(VALU_DEP_1)
	s_or_b32 exec_lo, exec_lo, s13
	s_trap 2
	ds_load_b32 v9, v0
	v_and_b32_e32 v2, 0x4000, v30
	s_xor_b32 s13, s1, -1
	v_cmp_ne_u32_e32 vcc_lo, 0, v2
	s_and_b32 s44, s13, vcc_lo
	s_delay_alu instid0(SALU_CYCLE_1)
	s_and_saveexec_b32 s13, s44
	s_cbranch_execz .LBB2_119
; %bb.101:                              ;   in Loop: Header=BB2_57 Depth=2
	s_and_saveexec_b32 s44, s3
	s_delay_alu instid0(SALU_CYCLE_1)
	s_xor_b32 s44, exec_lo, s44
	s_cbranch_execz .LBB2_116
; %bb.102:                              ;   in Loop: Header=BB2_57 Depth=2
	s_and_saveexec_b32 s45, s6
	s_cbranch_execz .LBB2_115
; %bb.103:                              ;   in Loop: Header=BB2_57 Depth=2
	s_mov_b32 s73, exec_lo
	s_mov_b32 s72, exec_lo
	v_mbcnt_lo_u32_b32 v2, s73, 0
	global_wb scope:SCOPE_DEV
	s_wait_storecnt 0x0
	s_wait_loadcnt_dscnt 0x0
	global_inv scope:SCOPE_DEV
	v_cmpx_eq_u32_e32 0, v2
	s_cbranch_execz .LBB2_105
; %bb.104:                              ;   in Loop: Header=BB2_57 Depth=2
	s_bcnt1_i32_b32 s73, s73
	s_delay_alu instid0(SALU_CYCLE_1)
	v_mov_b32_e32 v2, s73
	s_wait_loadcnt 0x0
	ds_add_u64 v0, v[2:3]
	s_trap 2
.LBB2_105:                              ;   in Loop: Header=BB2_57 Depth=2
	s_or_b32 exec_lo, exec_lo, s72
	s_trap 2
	ds_load_b64 v[14:15], v0
	s_wait_dscnt 0x0
	v_add_nc_u64_e32 v[32:33], v[32:33], v[36:37]
	s_mov_b32 s72, exec_lo
	s_delay_alu instid0(VALU_DEP_1)
	v_cmpx_lt_u64_e64 v[14:15], v[32:33]
	s_cbranch_execz .LBB2_114
; %bb.106:                              ;   in Loop: Header=BB2_57 Depth=2
	s_mov_b32 s73, 0
	s_mov_b32 s76, 0
                                        ; implicit-def: $sgpr74
                                        ; implicit-def: $sgpr75
	s_branch .LBB2_108
.LBB2_107:                              ;   in Loop: Header=BB2_108 Depth=3
	s_or_b32 exec_lo, exec_lo, s78
	s_delay_alu instid0(SALU_CYCLE_1) | instskip(NEXT) | instid1(SALU_CYCLE_1)
	s_and_b32 s77, exec_lo, s79
	s_or_b32 s73, s77, s73
	s_and_not1_b32 s74, s74, exec_lo
	s_and_b32 s77, s75, exec_lo
	s_delay_alu instid0(SALU_CYCLE_1)
	s_or_b32 s74, s74, s77
	s_and_not1_b32 exec_lo, exec_lo, s73
	s_cbranch_execz .LBB2_112
.LBB2_108:                              ;   Parent Loop BB2_47 Depth=1
                                        ;     Parent Loop BB2_57 Depth=2
                                        ; =>    This Inner Loop Header: Depth=3
	s_add_co_i32 s76, s76, 1
	s_delay_alu instid0(SALU_CYCLE_1) | instskip(SKIP_1) | instid1(SALU_CYCLE_1)
	s_cmp_lg_u32 s76, 0x2710
	s_cselect_b32 s77, -1, 0
	s_and_b32 vcc_lo, exec_lo, s77
	s_cbranch_vccz .LBB2_110
; %bb.109:                              ;   in Loop: Header=BB2_108 Depth=3
	s_mov_b32 s79, -1
	s_or_b32 s75, s75, exec_lo
	s_and_saveexec_b32 s78, s77
	s_cbranch_execz .LBB2_107
	s_branch .LBB2_111
.LBB2_110:                              ;   in Loop: Header=BB2_108 Depth=3
	s_trap 2
	ds_load_b64 v[14:15], v0
	s_and_not1_b32 s77, s77, exec_lo
	s_mov_b32 s76, 0
	s_wait_loadcnt_dscnt 0x0
	flat_load_b32 v2, v[14:15] scope:SCOPE_SYS
	s_wait_loadcnt_dscnt 0x0
	global_inv scope:SCOPE_SYS
	v_cmp_eq_u32_e32 vcc_lo, 0, v2
	s_and_b32 s78, vcc_lo, exec_lo
	s_delay_alu instid0(SALU_CYCLE_1)
	s_or_b32 s77, s77, s78
	s_mov_b32 s79, -1
	s_or_b32 s75, s75, exec_lo
	s_and_saveexec_b32 s78, s77
	s_cbranch_execz .LBB2_107
.LBB2_111:                              ;   in Loop: Header=BB2_108 Depth=3
	s_sleep 1
	s_trap 2
	ds_load_b64 v[14:15], v0
	s_wait_dscnt 0x0
	s_and_not1_b32 s75, s75, exec_lo
	v_cmp_ge_u64_e32 vcc_lo, v[14:15], v[32:33]
	s_or_not1_b32 s79, vcc_lo, exec_lo
	s_branch .LBB2_107
.LBB2_112:                              ;   in Loop: Header=BB2_57 Depth=2
	s_or_b32 exec_lo, exec_lo, s73
	s_and_saveexec_b32 s73, s74
	s_delay_alu instid0(SALU_CYCLE_1)
	s_xor_b32 s73, exec_lo, s73
	s_cbranch_execz .LBB2_114
; %bb.113:                              ;   in Loop: Header=BB2_57 Depth=2
	ds_store_b32 v0, v75
	s_trap 2
.LBB2_114:                              ;   in Loop: Header=BB2_57 Depth=2
	s_or_b32 exec_lo, exec_lo, s72
	;;#ASMSTART
	s_wakeup
	;;#ASMEND
.LBB2_115:                              ;   in Loop: Header=BB2_57 Depth=2
	s_or_b32 exec_lo, exec_lo, s45
.LBB2_116:                              ;   in Loop: Header=BB2_57 Depth=2
	s_and_not1_saveexec_b32 s44, s44
	s_cbranch_execz .LBB2_118
; %bb.117:                              ;   in Loop: Header=BB2_57 Depth=2
	global_wb scope:SCOPE_DEV
	s_wait_storecnt 0x0
	s_wait_loadcnt_dscnt 0x0
	global_inv scope:SCOPE_DEV
	s_barrier_signal -1
	s_barrier_wait -1
.LBB2_118:                              ;   in Loop: Header=BB2_57 Depth=2
	s_or_b32 exec_lo, exec_lo, s44
.LBB2_119:                              ;   in Loop: Header=BB2_57 Depth=2
	s_delay_alu instid0(SALU_CYCLE_1)
	s_or_b32 exec_lo, exec_lo, s13
	s_trap 2
	ds_load_b64 v[14:15], v0
	s_wait_dscnt 0x0
	v_cmp_eq_u64_e32 vcc_lo, 0, v[14:15]
	s_cbranch_vccnz .LBB2_127
; %bb.120:                              ;   in Loop: Header=BB2_57 Depth=2
	s_trap 2
	ds_load_b64 v[112:113], v0
	s_wait_dscnt 0x0
	v_cmp_eq_u64_e32 vcc_lo, 0, v[112:113]
	s_cbranch_vccnz .LBB2_127
; %bb.121:                              ;   in Loop: Header=BB2_57 Depth=2
	s_mov_b32 s13, -1
	s_and_saveexec_b32 s44, s10
	s_cbranch_execz .LBB2_123
; %bb.122:                              ;   in Loop: Header=BB2_57 Depth=2
	ds_load_b32 v2, v0 offset:720
	s_wait_dscnt 0x0
	v_and_b32_e32 v2, 15, v2
	s_delay_alu instid0(VALU_DEP_1)
	v_cmp_eq_u32_e32 vcc_lo, 0, v2
	s_or_not1_b32 s13, vcc_lo, exec_lo
.LBB2_123:                              ;   in Loop: Header=BB2_57 Depth=2
	s_or_b32 exec_lo, exec_lo, s44
	s_and_saveexec_b32 s44, s11
	s_cbranch_execz .LBB2_125
; %bb.124:                              ;   in Loop: Header=BB2_57 Depth=2
	ds_load_b32 v2, v0 offset:784
	s_wait_dscnt 0x0
	v_and_b32_e32 v2, 15, v2
	s_delay_alu instid0(VALU_DEP_1) | instskip(SKIP_3) | instid1(SALU_CYCLE_1)
	v_cmp_eq_u32_e32 vcc_lo, 0, v2
	s_and_b32 s45, s13, vcc_lo
	s_and_not1_b32 s13, s13, exec_lo
	s_and_b32 s45, s45, exec_lo
	s_or_b32 s13, s13, s45
.LBB2_125:                              ;   in Loop: Header=BB2_57 Depth=2
	s_or_b32 exec_lo, exec_lo, s44
	v_cmp_eq_u32_e32 vcc_lo, 0, v9
	s_xor_b32 s13, s13, -1
	v_mov_b32_e32 v114, v79
	v_cndmask_b32_e64 v11, 0, 1, s13
	s_mov_b32 s45, -1
	v_dual_cndmask_b32 v2, 0, v8 :: v_dual_mov_b32 v9, 0
	v_mov_b32_e32 v117, v0
	s_delay_alu instid0(VALU_DEP_3) | instskip(NEXT) | instid1(VALU_DEP_3)
	v_cmp_ne_u32_e32 vcc_lo, 0, v11
	v_mov_b32_e32 v11, v2
	s_cbranch_vccz .LBB2_128
; %bb.126:                              ;   in Loop: Header=BB2_57 Depth=2
	s_and_saveexec_b32 s13, s45
	s_cbranch_execnz .LBB2_141
	s_branch .LBB2_149
.LBB2_127:                              ;   in Loop: Header=BB2_57 Depth=2
	s_mov_b32 s13, 0
	s_and_saveexec_b32 s44, s2
	s_cbranch_execnz .LBB2_150
	s_branch .LBB2_168
.LBB2_128:                              ;   in Loop: Header=BB2_57 Depth=2
	v_ashrrev_i32_e32 v9, 31, v2
	s_mov_b32 s13, exec_lo
	s_delay_alu instid0(VALU_DEP_1) | instskip(NEXT) | instid1(VALU_DEP_1)
	v_lshrrev_b32_e32 v9, 22, v9
	v_add_nc_u32_e32 v9, v2, v9
	s_delay_alu instid0(VALU_DEP_1) | instskip(NEXT) | instid1(VALU_DEP_1)
	v_ashrrev_i32_e32 v9, 10, v9
	v_sub_nc_u32_e32 v119, v9, v79
	s_delay_alu instid0(VALU_DEP_1)
	v_cmpx_lt_i32_e32 0, v119
	s_cbranch_execz .LBB2_132
; %bb.129:                              ;   in Loop: Header=BB2_57 Depth=2
	v_mov_b64_e32 v[114:115], v[86:87]
	s_mov_b32 s44, 0
.LBB2_130:                              ;   Parent Loop BB2_47 Depth=1
                                        ;     Parent Loop BB2_57 Depth=2
                                        ; =>    This Inner Loop Header: Depth=3
	s_delay_alu instid0(VALU_DEP_1)
	v_add_nc_u64_e32 v[44:45], v[14:15], v[114:115]
	v_sub_nc_u32_e32 v119, v119, v36
	v_add_nc_u64_e32 v[56:57], v[112:113], v[114:115]
	v_add_nc_u64_e32 v[114:115], v[114:115], v[64:65]
	s_clause 0x1
	global_load_b128 v[40:43], v[44:45], off th:TH_LOAD_NT
	global_load_b128 v[44:47], v[44:45], off offset:512 th:TH_LOAD_NT
	v_cmp_gt_i32_e32 vcc_lo, 1, v119
	s_wait_loadcnt 0x1
	global_store_b128 v[56:57], v[40:43], off th:TH_STORE_NT
	s_wait_loadcnt 0x0
	global_store_b128 v[56:57], v[44:47], off offset:512 th:TH_STORE_NT
	s_or_b32 s44, vcc_lo, s44
	s_wait_xcnt 0x0
	s_and_not1_b32 exec_lo, exec_lo, s44
	s_cbranch_execnz .LBB2_130
; %bb.131:                              ;   in Loop: Header=BB2_57 Depth=2
	s_or_b32 exec_lo, exec_lo, s44
.LBB2_132:                              ;   in Loop: Header=BB2_57 Depth=2
	s_delay_alu instid0(SALU_CYCLE_1) | instskip(SKIP_3) | instid1(VALU_DEP_1)
	s_or_b32 exec_lo, exec_lo, s13
	v_dual_mov_b32 v9, 0 :: v_dual_lshlrev_b32 v118, 10, v9
	s_mov_b32 s45, 0
	s_mov_b32 s44, exec_lo
                                        ; implicit-def: $vgpr11
                                        ; implicit-def: $vgpr117
                                        ; implicit-def: $vgpr114
	v_cmpx_ne_u32_e64 v2, v118
	s_cbranch_execz .LBB2_140
; %bb.133:                              ;   in Loop: Header=BB2_57 Depth=2
	v_dual_lshlrev_b32 v9, 5, v119 :: v_dual_sub_nc_u32 v18, v2, v118
	s_mov_b32 s45, exec_lo
	s_delay_alu instid0(VALU_DEP_1) | instskip(NEXT) | instid1(VALU_DEP_1)
	v_dual_sub_nc_u32 v9, v88, v9 :: v_dual_ashrrev_i32 v19, 31, v18
	v_ashrrev_i32_e32 v11, 31, v9
	s_delay_alu instid0(VALU_DEP_1) | instskip(NEXT) | instid1(VALU_DEP_1)
	v_lshrrev_b32_e32 v11, 27, v11
	v_add_nc_u32_e32 v11, v9, v11
	s_delay_alu instid0(VALU_DEP_1) | instskip(NEXT) | instid1(VALU_DEP_1)
	v_and_b32_e32 v114, 0xffffffe0, v11
	v_dual_sub_nc_u32 v40, v9, v114 :: v_dual_lshrrev_b32 v19, 23, v19
	s_delay_alu instid0(VALU_DEP_1) | instskip(NEXT) | instid1(VALU_DEP_2)
	v_dual_ashrrev_i32 v114, 5, v11 :: v_dual_lshlrev_b32 v9, 4, v40
	v_add_nc_u32_e32 v19, v18, v19
	s_delay_alu instid0(VALU_DEP_2) | instskip(NEXT) | instid1(VALU_DEP_2)
	v_lshl_add_u32 v11, v114, 9, v9
	v_and_b32_e32 v119, 0xfffffe00, v19
	v_ashrrev_i32_e32 v19, 9, v19
	s_delay_alu instid0(VALU_DEP_3) | instskip(NEXT) | instid1(VALU_DEP_3)
	v_sub_nc_u32_e32 v9, v18, v11
	v_sub_nc_u32_e32 v41, v18, v119
	s_delay_alu instid0(VALU_DEP_1) | instskip(NEXT) | instid1(VALU_DEP_4)
	v_cmp_lt_i32_e32 vcc_lo, 15, v41
	v_add_co_ci_u32_e64 v19, null, 0, v19, vcc_lo
	s_delay_alu instid0(VALU_DEP_1)
	v_sub_nc_u32_e32 v42, v19, v114
	v_cmpx_lt_i32_e32 15, v9
	s_cbranch_execz .LBB2_137
; %bb.134:                              ;   in Loop: Header=BB2_57 Depth=2
	v_add_nc_u32_e32 v114, v11, v118
	s_mov_b32 s72, 0
	s_delay_alu instid0(VALU_DEP_1)
	v_ashrrev_i32_e32 v115, 31, v114
.LBB2_135:                              ;   Parent Loop BB2_47 Depth=1
                                        ;     Parent Loop BB2_57 Depth=2
                                        ; =>    This Inner Loop Header: Depth=3
	s_delay_alu instid0(VALU_DEP_1) | instskip(SKIP_3) | instid1(VALU_DEP_3)
	v_add_nc_u64_e32 v[44:45], v[14:15], v[114:115]
	v_dual_sub_nc_u32 v9, v9, v66 :: v_dual_sub_nc_u32 v42, v42, v36
	v_add_nc_u64_e32 v[56:57], v[112:113], v[114:115]
	v_add_nc_u64_e32 v[114:115], v[114:115], v[66:67]
	v_cmp_gt_i32_e64 s13, 16, v9
	global_load_b128 v[44:47], v[44:45], off th:TH_LOAD_NT
	s_or_b32 s72, s13, s72
	s_wait_loadcnt 0x0
	global_store_b128 v[56:57], v[44:47], off th:TH_STORE_NT
	s_wait_xcnt 0x0
	s_and_not1_b32 exec_lo, exec_lo, s72
	s_cbranch_execnz .LBB2_135
; %bb.136:                              ;   in Loop: Header=BB2_57 Depth=2
	s_or_b32 exec_lo, exec_lo, s72
.LBB2_137:                              ;   in Loop: Header=BB2_57 Depth=2
	s_delay_alu instid0(SALU_CYCLE_1) | instskip(SKIP_3) | instid1(VALU_DEP_1)
	s_or_b32 exec_lo, exec_lo, s45
	v_dual_mov_b32 v9, 0 :: v_dual_bitop2_b32 v115, 15, v2 bitop3:0x40
	s_mov_b32 s45, 0
	s_mov_b32 s72, exec_lo
                                        ; implicit-def: $vgpr117
                                        ; implicit-def: $vgpr114
	v_cndmask_b32_e32 v11, v41, v115, vcc_lo
	s_delay_alu instid0(VALU_DEP_1)
	v_cmpx_ne_u32_e32 0, v11
	s_cbranch_execz .LBB2_139
; %bb.138:                              ;   in Loop: Header=BB2_57 Depth=2
	v_cmp_lt_i32_e64 s13, 0, v42
	s_mov_b32 s45, exec_lo
	v_dual_sub_nc_u32 v18, v41, v115 :: v_dual_cndmask_b32 v9, 0, v36, s13
	s_delay_alu instid0(VALU_DEP_1) | instskip(NEXT) | instid1(VALU_DEP_2)
	v_cndmask_b32_e32 v18, 0, v18, vcc_lo
	v_sub_nc_u32_e32 v9, v9, v42
	s_delay_alu instid0(VALU_DEP_1) | instskip(NEXT) | instid1(VALU_DEP_1)
	v_lshl_add_u32 v117, v9, 5, v40
	v_ashrrev_i32_e32 v9, 31, v117
	s_delay_alu instid0(VALU_DEP_1) | instskip(NEXT) | instid1(VALU_DEP_1)
	v_lshrrev_b32_e32 v9, 27, v9
	v_add_nc_u32_e32 v19, v117, v9
	v_add3_u32 v9, v119, v118, v18
	s_delay_alu instid0(VALU_DEP_2)
	v_ashrrev_i32_e32 v114, 5, v19
.LBB2_139:                              ;   in Loop: Header=BB2_57 Depth=2
	s_or_b32 exec_lo, exec_lo, s72
	s_delay_alu instid0(SALU_CYCLE_1)
	s_and_b32 s45, s45, exec_lo
.LBB2_140:                              ;   in Loop: Header=BB2_57 Depth=2
	s_or_b32 exec_lo, exec_lo, s44
	s_and_saveexec_b32 s13, s45
	s_cbranch_execz .LBB2_149
.LBB2_141:                              ;   in Loop: Header=BB2_57 Depth=2
	v_ashrrev_i32_e32 v18, 31, v11
	s_mov_b32 s44, exec_lo
	s_delay_alu instid0(VALU_DEP_1) | instskip(NEXT) | instid1(VALU_DEP_1)
	v_lshrrev_b32_e32 v18, 24, v18
	v_add_nc_u32_e32 v18, v11, v18
	s_delay_alu instid0(VALU_DEP_1) | instskip(NEXT) | instid1(VALU_DEP_1)
	v_dual_ashrrev_i32 v40, 8, v18 :: v_dual_ashrrev_i32 v18, 31, v117
	v_sub_nc_u32_e32 v118, v40, v114
	s_delay_alu instid0(VALU_DEP_2) | instskip(NEXT) | instid1(VALU_DEP_2)
	v_lshrrev_b32_e32 v119, 27, v18
	v_cmpx_lt_i32_e32 0, v118
	s_cbranch_execz .LBB2_145
; %bb.142:                              ;   in Loop: Header=BB2_57 Depth=2
	s_delay_alu instid0(VALU_DEP_2) | instskip(SKIP_1) | instid1(VALU_DEP_1)
	v_dual_add_nc_u32 v18, v117, v119 :: v_dual_lshlrev_b32 v19, 8, v114
	s_mov_b32 s45, 0
	v_and_b32_e32 v18, 0xffffffe0, v18
	s_delay_alu instid0(VALU_DEP_1) | instskip(NEXT) | instid1(VALU_DEP_1)
	v_sub_nc_u32_e32 v18, v117, v18
	v_add3_u32 v114, v9, v18, v19
	s_delay_alu instid0(VALU_DEP_1)
	v_ashrrev_i32_e32 v115, 31, v114
.LBB2_143:                              ;   Parent Loop BB2_47 Depth=1
                                        ;     Parent Loop BB2_57 Depth=2
                                        ; =>    This Inner Loop Header: Depth=3
	s_delay_alu instid0(VALU_DEP_1)
	v_add_nc_u64_e32 v[42:43], v[114:115], v[14:15]
	v_sub_nc_u32_e32 v118, v118, v36
	v_add_nc_u64_e32 v[14:15], v[14:15], v[68:69]
	s_clause 0x7
	flat_load_u8 v18, v[42:43] th:TH_LOAD_NT
	flat_load_u8 v19, v[42:43] offset:32 th:TH_LOAD_NT
	flat_load_u8 v41, v[42:43] offset:64 th:TH_LOAD_NT
	flat_load_u8 v44, v[42:43] offset:96 th:TH_LOAD_NT
	flat_load_u8 v45, v[42:43] offset:128 th:TH_LOAD_NT
	flat_load_u8 v46, v[42:43] offset:160 th:TH_LOAD_NT
	flat_load_u8 v47, v[42:43] offset:192 th:TH_LOAD_NT
	flat_load_u8 v56, v[42:43] offset:224 th:TH_LOAD_NT
	s_wait_xcnt 0x0
	v_add_nc_u64_e32 v[42:43], v[114:115], v[112:113]
	v_add_nc_u64_e32 v[112:113], v[112:113], v[68:69]
	v_cmp_gt_i32_e32 vcc_lo, 1, v118
	s_wait_loadcnt_dscnt 0x707
	flat_store_b8 v[42:43], v18 th:TH_STORE_NT
	s_wait_loadcnt_dscnt 0x607
	flat_store_b8 v[42:43], v19 offset:32 th:TH_STORE_NT
	s_wait_loadcnt_dscnt 0x507
	flat_store_b8 v[42:43], v41 offset:64 th:TH_STORE_NT
	;; [unrolled: 2-line block ×7, first 2 shown]
	s_or_b32 s45, vcc_lo, s45
	s_wait_xcnt 0x0
	s_and_not1_b32 exec_lo, exec_lo, s45
	s_cbranch_execnz .LBB2_143
; %bb.144:                              ;   in Loop: Header=BB2_57 Depth=2
	s_or_b32 exec_lo, exec_lo, s45
.LBB2_145:                              ;   in Loop: Header=BB2_57 Depth=2
	s_delay_alu instid0(SALU_CYCLE_1) | instskip(SKIP_1) | instid1(VALU_DEP_1)
	s_or_b32 exec_lo, exec_lo, s44
	v_lshlrev_b32_e32 v14, 8, v40
	v_cmp_ne_u32_e32 vcc_lo, v11, v14
	s_and_b32 exec_lo, exec_lo, vcc_lo
	s_cbranch_execz .LBB2_149
; %bb.146:                              ;   in Loop: Header=BB2_57 Depth=2
	v_dual_add_nc_u32 v15, v117, v119 :: v_dual_lshlrev_b32 v18, 5, v118
	s_delay_alu instid0(VALU_DEP_1) | instskip(NEXT) | instid1(VALU_DEP_1)
	v_and_b32_e32 v15, 0xffffffe0, v15
	v_sub_nc_u32_e32 v15, v117, v15
	s_delay_alu instid0(VALU_DEP_1) | instskip(NEXT) | instid1(VALU_DEP_1)
	v_sub_nc_u32_e32 v15, v15, v18
	v_add_nc_u32_e32 v112, v14, v15
	s_delay_alu instid0(VALU_DEP_1) | instskip(NEXT) | instid1(VALU_DEP_1)
	v_sub_nc_u32_e32 v11, v11, v112
	v_cmp_lt_i32_e32 vcc_lo, 0, v11
	s_and_b32 exec_lo, exec_lo, vcc_lo
	s_cbranch_execz .LBB2_149
; %bb.147:                              ;   in Loop: Header=BB2_57 Depth=2
	s_trap 2
	ds_load_b64 v[14:15], v0
	v_add_nc_u32_e32 v112, v112, v9
	s_mov_b32 s44, 0
	s_delay_alu instid0(VALU_DEP_1)
	v_ashrrev_i32_e32 v113, 31, v112
.LBB2_148:                              ;   Parent Loop BB2_47 Depth=1
                                        ;     Parent Loop BB2_57 Depth=2
                                        ; =>    This Inner Loop Header: Depth=3
	s_wait_dscnt 0x0
	s_delay_alu instid0(VALU_DEP_1) | instskip(SKIP_2) | instid1(VALU_DEP_2)
	v_add_nc_u64_e32 v[114:115], v[14:15], v[112:113]
	v_sub_nc_u32_e32 v11, v11, v38
	v_add_nc_u64_e32 v[112:113], v[112:113], v[38:39]
	v_cmp_gt_i32_e32 vcc_lo, 1, v11
	flat_load_u8 v9, v[114:115] th:TH_LOAD_NT
	s_or_b32 s44, vcc_lo, s44
	s_wait_loadcnt_dscnt 0x0
	flat_store_b8 v[114:115], v9 th:TH_STORE_NT
	s_wait_xcnt 0x0
	s_and_not1_b32 exec_lo, exec_lo, s44
	s_cbranch_execnz .LBB2_148
.LBB2_149:                              ;   in Loop: Header=BB2_57 Depth=2
	s_or_b32 exec_lo, exec_lo, s13
	v_cmp_lt_i32_e64 s13, 0, v2
	s_and_saveexec_b32 s44, s2
	s_cbranch_execz .LBB2_168
.LBB2_150:                              ;   in Loop: Header=BB2_57 Depth=2
	s_and_saveexec_b32 s45, s3
	s_delay_alu instid0(SALU_CYCLE_1)
	s_xor_b32 s45, exec_lo, s45
	s_cbranch_execz .LBB2_165
; %bb.151:                              ;   in Loop: Header=BB2_57 Depth=2
	s_and_saveexec_b32 s72, s6
	s_cbranch_execz .LBB2_164
; %bb.152:                              ;   in Loop: Header=BB2_57 Depth=2
	s_mov_b32 s74, exec_lo
	s_mov_b32 s73, exec_lo
	v_mbcnt_lo_u32_b32 v2, s74, 0
	global_wb scope:SCOPE_DEV
	s_wait_storecnt 0x0
	s_wait_loadcnt_dscnt 0x0
	global_inv scope:SCOPE_DEV
	v_cmpx_eq_u32_e32 0, v2
	s_cbranch_execz .LBB2_154
; %bb.153:                              ;   in Loop: Header=BB2_57 Depth=2
	s_bcnt1_i32_b32 s74, s74
	s_delay_alu instid0(SALU_CYCLE_1)
	v_mov_b32_e32 v2, s74
	s_wait_loadcnt 0x0
	ds_add_u64 v0, v[2:3]
	s_trap 2
.LBB2_154:                              ;   in Loop: Header=BB2_57 Depth=2
	s_or_b32 exec_lo, exec_lo, s73
	s_trap 2
	ds_load_b64 v[14:15], v0
	s_wait_dscnt 0x0
	v_add_nc_u64_e32 v[32:33], v[32:33], v[36:37]
	s_mov_b32 s73, exec_lo
	s_delay_alu instid0(VALU_DEP_1)
	v_cmpx_lt_u64_e64 v[14:15], v[32:33]
	s_cbranch_execz .LBB2_163
; %bb.155:                              ;   in Loop: Header=BB2_57 Depth=2
	s_mov_b32 s74, 0
	s_mov_b32 s77, 0
                                        ; implicit-def: $sgpr75
                                        ; implicit-def: $sgpr76
	s_branch .LBB2_157
.LBB2_156:                              ;   in Loop: Header=BB2_157 Depth=3
	s_or_b32 exec_lo, exec_lo, s79
	s_delay_alu instid0(SALU_CYCLE_1) | instskip(NEXT) | instid1(SALU_CYCLE_1)
	s_and_b32 s78, exec_lo, s88
	s_or_b32 s74, s78, s74
	s_and_not1_b32 s75, s75, exec_lo
	s_and_b32 s78, s76, exec_lo
	s_delay_alu instid0(SALU_CYCLE_1)
	s_or_b32 s75, s75, s78
	s_and_not1_b32 exec_lo, exec_lo, s74
	s_cbranch_execz .LBB2_161
.LBB2_157:                              ;   Parent Loop BB2_47 Depth=1
                                        ;     Parent Loop BB2_57 Depth=2
                                        ; =>    This Inner Loop Header: Depth=3
	s_add_co_i32 s77, s77, 1
	s_delay_alu instid0(SALU_CYCLE_1) | instskip(SKIP_1) | instid1(SALU_CYCLE_1)
	s_cmp_lg_u32 s77, 0x2710
	s_cselect_b32 s78, -1, 0
	s_and_b32 vcc_lo, exec_lo, s78
	s_cbranch_vccz .LBB2_159
; %bb.158:                              ;   in Loop: Header=BB2_157 Depth=3
	s_mov_b32 s88, -1
	s_or_b32 s76, s76, exec_lo
	s_and_saveexec_b32 s79, s78
	s_cbranch_execz .LBB2_156
	s_branch .LBB2_160
.LBB2_159:                              ;   in Loop: Header=BB2_157 Depth=3
	s_trap 2
	ds_load_b64 v[14:15], v0
	s_and_not1_b32 s78, s78, exec_lo
	s_mov_b32 s77, 0
	s_wait_loadcnt_dscnt 0x0
	flat_load_b32 v2, v[14:15] scope:SCOPE_SYS
	s_wait_loadcnt_dscnt 0x0
	global_inv scope:SCOPE_SYS
	v_cmp_eq_u32_e32 vcc_lo, 0, v2
	s_and_b32 s79, vcc_lo, exec_lo
	s_delay_alu instid0(SALU_CYCLE_1)
	s_or_b32 s78, s78, s79
	s_mov_b32 s88, -1
	s_or_b32 s76, s76, exec_lo
	s_and_saveexec_b32 s79, s78
	s_cbranch_execz .LBB2_156
.LBB2_160:                              ;   in Loop: Header=BB2_157 Depth=3
	s_sleep 1
	s_trap 2
	ds_load_b64 v[14:15], v0
	s_wait_dscnt 0x0
	s_and_not1_b32 s76, s76, exec_lo
	v_cmp_ge_u64_e32 vcc_lo, v[14:15], v[32:33]
	s_or_not1_b32 s88, vcc_lo, exec_lo
	s_branch .LBB2_156
.LBB2_161:                              ;   in Loop: Header=BB2_57 Depth=2
	s_or_b32 exec_lo, exec_lo, s74
	s_and_saveexec_b32 s74, s75
	s_delay_alu instid0(SALU_CYCLE_1)
	s_xor_b32 s74, exec_lo, s74
	s_cbranch_execz .LBB2_163
; %bb.162:                              ;   in Loop: Header=BB2_57 Depth=2
	ds_store_b32 v0, v75
	s_trap 2
.LBB2_163:                              ;   in Loop: Header=BB2_57 Depth=2
	s_or_b32 exec_lo, exec_lo, s73
	;;#ASMSTART
	s_wakeup
	;;#ASMEND
.LBB2_164:                              ;   in Loop: Header=BB2_57 Depth=2
	s_or_b32 exec_lo, exec_lo, s72
.LBB2_165:                              ;   in Loop: Header=BB2_57 Depth=2
	s_and_not1_saveexec_b32 s45, s45
	s_cbranch_execz .LBB2_167
; %bb.166:                              ;   in Loop: Header=BB2_57 Depth=2
	global_wb scope:SCOPE_DEV
	s_wait_storecnt 0x0
	s_wait_loadcnt_dscnt 0x0
	global_inv scope:SCOPE_DEV
	s_barrier_signal -1
	s_barrier_wait -1
.LBB2_167:                              ;   in Loop: Header=BB2_57 Depth=2
	s_or_b32 exec_lo, exec_lo, s45
.LBB2_168:                              ;   in Loop: Header=BB2_57 Depth=2
	s_delay_alu instid0(SALU_CYCLE_1) | instskip(SKIP_2) | instid1(SALU_CYCLE_1)
	s_or_b32 exec_lo, exec_lo, s44
	v_and_b32_e32 v9, 16, v30
	s_and_saveexec_b32 s44, s7
	s_xor_b32 s44, exec_lo, s44
	s_cbranch_execz .LBB2_172
; %bb.169:                              ;   in Loop: Header=BB2_57 Depth=2
	v_and_b32_e32 v2, 16, v30
	v_and_b32_e32 v9, 16, v30
	s_delay_alu instid0(VALU_DEP_2) | instskip(SKIP_1) | instid1(SALU_CYCLE_1)
	v_cmp_ne_u32_e32 vcc_lo, 0, v2
	s_and_b32 s45, vcc_lo, s13
	s_and_saveexec_b32 s13, s45
	s_cbranch_execz .LBB2_171
; %bb.170:                              ;   in Loop: Header=BB2_57 Depth=2
	v_mov_b32_e32 v9, 1
	global_wb scope:SCOPE_SYS
	s_wait_storecnt 0x0
	s_wait_loadcnt_dscnt 0x0
	global_inv scope:SCOPE_SYS
.LBB2_171:                              ;   in Loop: Header=BB2_57 Depth=2
	s_or_b32 exec_lo, exec_lo, s13
.LBB2_172:                              ;   in Loop: Header=BB2_57 Depth=2
	s_and_not1_saveexec_b32 s13, s44
	s_cbranch_execz .LBB2_191
; %bb.173:                              ;   in Loop: Header=BB2_57 Depth=2
	s_and_saveexec_b32 s44, s3
	s_delay_alu instid0(SALU_CYCLE_1)
	s_xor_b32 s44, exec_lo, s44
	s_cbranch_execz .LBB2_188
; %bb.174:                              ;   in Loop: Header=BB2_57 Depth=2
	s_and_saveexec_b32 s45, s6
	s_cbranch_execz .LBB2_187
; %bb.175:                              ;   in Loop: Header=BB2_57 Depth=2
	s_mov_b32 s73, exec_lo
	s_mov_b32 s72, exec_lo
	v_mbcnt_lo_u32_b32 v2, s73, 0
	;;#ASMSTART
	s_waitcnt lgkmcnt(0) vmcnt(0)
	;;#ASMEND
	s_delay_alu instid0(VALU_DEP_1)
	v_cmpx_eq_u32_e32 0, v2
	s_cbranch_execz .LBB2_177
; %bb.176:                              ;   in Loop: Header=BB2_57 Depth=2
	s_bcnt1_i32_b32 s73, s73
	s_delay_alu instid0(SALU_CYCLE_1)
	v_mov_b32_e32 v2, s73
	s_wait_storecnt 0x0
	s_wait_loadcnt_dscnt 0x0
	ds_add_u64 v0, v[2:3]
	s_trap 2
.LBB2_177:                              ;   in Loop: Header=BB2_57 Depth=2
	s_or_b32 exec_lo, exec_lo, s72
	s_trap 2
	ds_load_b64 v[14:15], v0
	s_wait_dscnt 0x0
	v_add_nc_u64_e32 v[32:33], v[32:33], v[36:37]
	s_mov_b32 s72, exec_lo
	s_delay_alu instid0(VALU_DEP_1)
	v_cmpx_lt_u64_e64 v[14:15], v[32:33]
	s_cbranch_execz .LBB2_186
; %bb.178:                              ;   in Loop: Header=BB2_57 Depth=2
	s_mov_b32 s73, 0
	s_mov_b32 s76, 0
                                        ; implicit-def: $sgpr74
                                        ; implicit-def: $sgpr75
	s_branch .LBB2_180
.LBB2_179:                              ;   in Loop: Header=BB2_180 Depth=3
	s_or_b32 exec_lo, exec_lo, s78
	s_delay_alu instid0(SALU_CYCLE_1) | instskip(NEXT) | instid1(SALU_CYCLE_1)
	s_and_b32 s77, exec_lo, s79
	s_or_b32 s73, s77, s73
	s_and_not1_b32 s74, s74, exec_lo
	s_and_b32 s77, s75, exec_lo
	s_delay_alu instid0(SALU_CYCLE_1)
	s_or_b32 s74, s74, s77
	s_and_not1_b32 exec_lo, exec_lo, s73
	s_cbranch_execz .LBB2_184
.LBB2_180:                              ;   Parent Loop BB2_47 Depth=1
                                        ;     Parent Loop BB2_57 Depth=2
                                        ; =>    This Inner Loop Header: Depth=3
	s_add_co_i32 s76, s76, 1
	s_delay_alu instid0(SALU_CYCLE_1) | instskip(SKIP_1) | instid1(SALU_CYCLE_1)
	s_cmp_lg_u32 s76, 0x2710
	s_cselect_b32 s77, -1, 0
	s_and_b32 vcc_lo, exec_lo, s77
	s_cbranch_vccz .LBB2_182
; %bb.181:                              ;   in Loop: Header=BB2_180 Depth=3
	s_mov_b32 s79, -1
	s_or_b32 s75, s75, exec_lo
	s_and_saveexec_b32 s78, s77
	s_cbranch_execz .LBB2_179
	s_branch .LBB2_183
.LBB2_182:                              ;   in Loop: Header=BB2_180 Depth=3
	s_trap 2
	ds_load_b64 v[14:15], v0
	s_and_not1_b32 s77, s77, exec_lo
	s_mov_b32 s76, 0
	s_wait_storecnt 0x0
	s_wait_loadcnt_dscnt 0x0
	flat_load_b32 v2, v[14:15] scope:SCOPE_SYS
	s_wait_loadcnt_dscnt 0x0
	global_inv scope:SCOPE_SYS
	v_cmp_eq_u32_e32 vcc_lo, 0, v2
	s_and_b32 s78, vcc_lo, exec_lo
	s_delay_alu instid0(SALU_CYCLE_1)
	s_or_b32 s77, s77, s78
	s_mov_b32 s79, -1
	s_or_b32 s75, s75, exec_lo
	s_and_saveexec_b32 s78, s77
	s_cbranch_execz .LBB2_179
.LBB2_183:                              ;   in Loop: Header=BB2_180 Depth=3
	s_sleep 1
	s_trap 2
	ds_load_b64 v[14:15], v0
	s_wait_dscnt 0x0
	s_and_not1_b32 s75, s75, exec_lo
	v_cmp_ge_u64_e32 vcc_lo, v[14:15], v[32:33]
	s_or_not1_b32 s79, vcc_lo, exec_lo
	s_branch .LBB2_179
.LBB2_184:                              ;   in Loop: Header=BB2_57 Depth=2
	s_or_b32 exec_lo, exec_lo, s73
	s_and_saveexec_b32 s73, s74
	s_delay_alu instid0(SALU_CYCLE_1)
	s_xor_b32 s73, exec_lo, s73
	s_cbranch_execz .LBB2_186
; %bb.185:                              ;   in Loop: Header=BB2_57 Depth=2
	ds_store_b32 v0, v75
	s_trap 2
.LBB2_186:                              ;   in Loop: Header=BB2_57 Depth=2
	s_or_b32 exec_lo, exec_lo, s72
	;;#ASMSTART
	s_wakeup
	;;#ASMEND
.LBB2_187:                              ;   in Loop: Header=BB2_57 Depth=2
	s_or_b32 exec_lo, exec_lo, s45
.LBB2_188:                              ;   in Loop: Header=BB2_57 Depth=2
	s_and_not1_saveexec_b32 s44, s44
	s_cbranch_execz .LBB2_190
; %bb.189:                              ;   in Loop: Header=BB2_57 Depth=2
	;;#ASMSTART
	s_waitcnt lgkmcnt(0) vmcnt(0)
	;;#ASMEND
	s_barrier_signal -1
	s_barrier_wait -1
.LBB2_190:                              ;   in Loop: Header=BB2_57 Depth=2
	s_or_b32 exec_lo, exec_lo, s44
.LBB2_191:                              ;   in Loop: Header=BB2_57 Depth=2
	s_delay_alu instid0(SALU_CYCLE_1) | instskip(NEXT) | instid1(SALU_CYCLE_1)
	s_or_b32 exec_lo, exec_lo, s13
	s_mov_b32 s13, exec_lo
	v_cmpx_ne_u32_e32 0, v9
	s_cbranch_execz .LBB2_56
; %bb.192:                              ;   in Loop: Header=BB2_57 Depth=2
	s_and_saveexec_b32 s44, s5
	s_cbranch_execz .LBB2_55
; %bb.193:                              ;   in Loop: Header=BB2_57 Depth=2
	global_wb scope:SCOPE_SYS
	s_wait_storecnt 0x0
	s_wait_loadcnt_dscnt 0x0
	flat_store_b32 v[28:29], v75 scope:SCOPE_SYS
	s_branch .LBB2_55
.LBB2_194:                              ;   in Loop: Header=BB2_47 Depth=1
	s_or_b32 exec_lo, exec_lo, s15
.LBB2_195:                              ;   in Loop: Header=BB2_47 Depth=1
	s_delay_alu instid0(SALU_CYCLE_1) | instskip(NEXT) | instid1(SALU_CYCLE_1)
	s_or_b32 exec_lo, exec_lo, s14
	s_mov_b32 s14, exec_lo
	v_cmpx_gt_i32_e32 2, v2
	s_cbranch_execz .LBB2_267
; %bb.196:                              ;   in Loop: Header=BB2_47 Depth=1
	v_cmp_eq_u32_e64 s18, 0, v2
	s_mov_b32 s15, 0
	s_branch .LBB2_199
.LBB2_197:                              ;   in Loop: Header=BB2_199 Depth=2
	s_wait_xcnt 0x0
	s_or_b32 exec_lo, exec_lo, s18
	v_add_nc_u64_e32 v[98:99], 2, v[98:99]
	global_wb scope:SCOPE_SYS
	s_wait_storecnt 0x0
	s_wait_loadcnt_dscnt 0x0
	flat_store_b64 v[22:23], v[98:99] scope:SCOPE_SYS
.LBB2_198:                              ;   in Loop: Header=BB2_199 Depth=2
	s_wait_xcnt 0x0
	s_or_b32 exec_lo, exec_lo, s13
	v_add_nc_u32_e32 v10, v8, v10
	s_mov_b32 s18, 0
	s_and_not1_b32 exec_lo, exec_lo, s15
	s_cbranch_execz .LBB2_266
.LBB2_199:                              ;   Parent Loop BB2_47 Depth=1
                                        ; =>  This Loop Header: Depth=2
                                        ;       Child Loop BB2_205 Depth 3
                                        ;       Child Loop BB2_229 Depth 3
	;; [unrolled: 1-line block ×3, first 2 shown]
	s_delay_alu instid0(VALU_DEP_1) | instskip(SKIP_2) | instid1(VALU_DEP_2)
	v_sub_nc_u32_e32 v2, v116, v10
	v_and_b32_e32 v9, 8, v30
	s_mov_b32 s41, exec_lo
	v_min_i32_e32 v8, v8, v2
	s_delay_alu instid0(VALU_DEP_2)
	v_cmpx_ne_u32_e32 0, v9
	s_cbranch_execz .LBB2_221
; %bb.200:                              ;   in Loop: Header=BB2_199 Depth=2
	s_wait_loadcnt_dscnt 0x1
	v_add_nc_u64_e32 v[14:15], 8, v[34:35]
	v_add_nc_u64_e32 v[12:13], 2, v[98:99]
	s_mov_b32 s44, exec_lo
	s_delay_alu instid0(VALU_DEP_1)
	v_cmpx_lt_u64_e64 v[14:15], v[12:13]
	s_cbranch_execz .LBB2_212
; %bb.201:                              ;   in Loop: Header=BB2_199 Depth=2
	v_and_b32_e32 v2, 64, v30
	s_mov_b32 s45, 0
	s_mov_b32 s75, 0
                                        ; implicit-def: $sgpr72
                                        ; implicit-def: $sgpr73
                                        ; implicit-def: $sgpr74
	s_delay_alu instid0(VALU_DEP_1)
	v_cmp_eq_u32_e32 vcc_lo, 0, v2
	s_branch .LBB2_205
.LBB2_202:                              ;   in Loop: Header=BB2_205 Depth=3
	s_wait_loadcnt_dscnt 0x0
	v_add_nc_u64_e32 v[14:15], 8, v[34:35]
	s_or_b32 s78, s78, exec_lo
	s_delay_alu instid0(VALU_DEP_1)
	v_cmp_ge_u64_e64 s13, v[14:15], v[12:13]
	s_or_not1_b32 s77, s13, exec_lo
.LBB2_203:                              ;   in Loop: Header=BB2_205 Depth=3
	s_or_b32 exec_lo, exec_lo, s88
	s_delay_alu instid0(SALU_CYCLE_1)
	s_and_not1_b32 s13, s74, exec_lo
	s_and_b32 s74, s78, exec_lo
	s_and_not1_b32 s73, s73, exec_lo
	s_and_b32 s77, s77, exec_lo
	s_or_b32 s74, s13, s74
	s_or_b32 s73, s73, s77
.LBB2_204:                              ;   in Loop: Header=BB2_205 Depth=3
	s_or_b32 exec_lo, exec_lo, s76
	s_delay_alu instid0(SALU_CYCLE_1) | instskip(NEXT) | instid1(SALU_CYCLE_1)
	s_and_b32 s13, exec_lo, s73
	s_or_b32 s45, s13, s45
	s_and_not1_b32 s13, s72, exec_lo
	s_and_b32 s72, s74, exec_lo
	s_delay_alu instid0(SALU_CYCLE_1)
	s_or_b32 s72, s13, s72
	s_and_not1_b32 exec_lo, exec_lo, s45
	s_cbranch_execz .LBB2_209
.LBB2_205:                              ;   Parent Loop BB2_47 Depth=1
                                        ;     Parent Loop BB2_199 Depth=2
                                        ; =>    This Inner Loop Header: Depth=3
	s_sleep 1
	s_wait_loadcnt_dscnt 0x0
	flat_load_b64 v[34:35], v[22:23] scope:SCOPE_SYS
	s_or_b32 s74, s74, exec_lo
	s_or_b32 s73, s73, exec_lo
                                        ; implicit-def: $vgpr2
	s_wait_xcnt 0x0
	s_and_saveexec_b32 s76, vcc_lo
	s_cbranch_execz .LBB2_204
; %bb.206:                              ;   in Loop: Header=BB2_205 Depth=3
	s_cmp_lt_i32 s75, 0x270f
	s_mov_b32 s77, -1
	s_cselect_b32 s79, -1, 0
	s_cmp_gt_i32 s75, 0x270e
	s_cbranch_scc0 .LBB2_208
; %bb.207:                              ;   in Loop: Header=BB2_205 Depth=3
	s_trap 2
	ds_load_b64 v[14:15], v0
	s_and_not1_b32 s75, s79, exec_lo
	s_mov_b32 s78, 0
	s_wait_storecnt 0x0
	s_wait_loadcnt_dscnt 0x0
	flat_load_b32 v2, v[14:15] scope:SCOPE_SYS
	s_wait_loadcnt_dscnt 0x0
	global_inv scope:SCOPE_SYS
	v_cmp_eq_u32_e64 s13, 0, v2
	s_and_b32 s13, s13, exec_lo
	s_delay_alu instid0(SALU_CYCLE_1)
	s_or_b32 s79, s75, s13
	s_mov_b32 s75, 0
	s_and_saveexec_b32 s88, s79
	s_cbranch_execz .LBB2_203
	s_branch .LBB2_202
.LBB2_208:                              ;   in Loop: Header=BB2_205 Depth=3
	s_add_co_i32 s75, s75, 1
	s_mov_b32 s78, -1
                                        ; implicit-def: $vgpr2
	s_and_saveexec_b32 s88, s79
	s_cbranch_execz .LBB2_203
	s_branch .LBB2_202
.LBB2_209:                              ;   in Loop: Header=BB2_199 Depth=2
	s_or_b32 exec_lo, exec_lo, s45
	s_xor_b32 s13, s72, -1
	s_delay_alu instid0(SALU_CYCLE_1) | instskip(NEXT) | instid1(SALU_CYCLE_1)
	s_and_saveexec_b32 s45, s13
	s_xor_b32 s13, exec_lo, s45
	s_cbranch_execz .LBB2_211
; %bb.210:                              ;   in Loop: Header=BB2_199 Depth=2
	v_or_b32_e32 v30, 64, v30
	s_wait_storecnt 0x0
	s_wait_loadcnt_dscnt 0x0
	ds_store_b32 v0, v2
	s_trap 2
.LBB2_211:                              ;   in Loop: Header=BB2_199 Depth=2
	s_or_b32 exec_lo, exec_lo, s13
.LBB2_212:                              ;   in Loop: Header=BB2_199 Depth=2
	s_delay_alu instid0(SALU_CYCLE_1) | instskip(SKIP_3) | instid1(VALU_DEP_1)
	s_or_b32 exec_lo, exec_lo, s44
	v_and_b32_e32 v2, 0x100, v30
	s_mov_b32 s13, -1
	;;#ASMSTART
	s_wakeup
	;;#ASMEND
                                        ; implicit-def: $vgpr14_vgpr15
	v_cmp_ne_u32_e32 vcc_lo, 0, v2
	v_and_b32_e32 v2, 7, v98
	s_and_saveexec_b32 s44, vcc_lo
	s_cbranch_execz .LBB2_216
; %bb.213:                              ;   in Loop: Header=BB2_199 Depth=2
	s_delay_alu instid0(VALU_DEP_1)
	v_mad_nc_u64_u32 v[98:99], v2, 24, v[6:7]
	v_ashrrev_i32_e32 v9, 31, v8
	s_mov_b32 s45, exec_lo
                                        ; implicit-def: $vgpr14_vgpr15
	s_clause 0x1
	flat_load_b32 v11, v[98:99]
	flat_store_b64 v[98:99], v[8:9] offset:8
	s_wait_loadcnt_dscnt 0x1
	v_cmp_ne_u32_e32 vcc_lo, 1, v11
	s_wait_xcnt 0x0
	v_cmpx_eq_u32_e32 1, v11
	s_cbranch_execz .LBB2_215
; %bb.214:                              ;   in Loop: Header=BB2_199 Depth=2
	flat_load_b32 v14, v[98:99] offset:4 scope:SCOPE_SYS
	s_wait_loadcnt_dscnt 0x0
	v_ashrrev_i32_e32 v15, 31, v14
.LBB2_215:                              ;   in Loop: Header=BB2_199 Depth=2
	s_wait_xcnt 0x0
	s_or_b32 exec_lo, exec_lo, s45
	s_delay_alu instid0(SALU_CYCLE_1)
	s_or_not1_b32 s13, vcc_lo, exec_lo
.LBB2_216:                              ;   in Loop: Header=BB2_199 Depth=2
	s_or_b32 exec_lo, exec_lo, s44
	s_and_saveexec_b32 s44, s13
; %bb.217:                              ;   in Loop: Header=BB2_199 Depth=2
	v_mul_u64_e32 v[14:15], v[2:3], v[24:25]
; %bb.218:                              ;   in Loop: Header=BB2_199 Depth=2
	s_or_b32 exec_lo, exec_lo, s44
	s_delay_alu instid0(VALU_DEP_1)
	v_add_nc_u64_e32 v[14:15], v[26:27], v[14:15]
	v_and_b32_e32 v2, 0x2000, v30
	s_mov_b32 s13, exec_lo
	ds_store_b64 v0, v[14:15] offset:784
	v_cmpx_ne_u32_e32 0, v2
	s_cbranch_execz .LBB2_220
; %bb.219:                              ;   in Loop: Header=BB2_199 Depth=2
	ds_load_b64 v[14:15], v0 offset:872
	s_wait_dscnt 0x0
	v_add_nc_u64_e32 v[14:15], 1, v[14:15]
	ds_store_b64 v0, v[14:15] offset:872
.LBB2_220:                              ;   in Loop: Header=BB2_199 Depth=2
	s_or_b32 exec_lo, exec_lo, s13
	v_mov_b64_e32 v[98:99], v[12:13]
.LBB2_221:                              ;   in Loop: Header=BB2_199 Depth=2
	s_or_b32 exec_lo, exec_lo, s41
	s_xor_b32 s13, s18, -1
	s_delay_alu instid0(SALU_CYCLE_1) | instskip(NEXT) | instid1(SALU_CYCLE_1)
	s_and_b32 s13, exec_lo, s13
	s_or_b32 s15, s13, s15
	s_and_saveexec_b32 s13, s2
	s_cbranch_execz .LBB2_240
; %bb.222:                              ;   in Loop: Header=BB2_199 Depth=2
	s_and_saveexec_b32 s18, s3
	s_delay_alu instid0(SALU_CYCLE_1)
	s_xor_b32 s18, exec_lo, s18
	s_cbranch_execz .LBB2_237
; %bb.223:                              ;   in Loop: Header=BB2_199 Depth=2
	s_and_saveexec_b32 s41, s6
	s_cbranch_execz .LBB2_236
; %bb.224:                              ;   in Loop: Header=BB2_199 Depth=2
	s_mov_b32 s45, exec_lo
	s_mov_b32 s44, exec_lo
	v_mbcnt_lo_u32_b32 v2, s45, 0
	global_wb scope:SCOPE_DEV
	s_wait_storecnt 0x0
	s_wait_loadcnt_dscnt 0x0
	global_inv scope:SCOPE_DEV
	v_cmpx_eq_u32_e32 0, v2
	s_cbranch_execz .LBB2_226
; %bb.225:                              ;   in Loop: Header=BB2_199 Depth=2
	s_bcnt1_i32_b32 s45, s45
	s_delay_alu instid0(SALU_CYCLE_1)
	v_mov_b32_e32 v2, s45
	s_wait_loadcnt 0x0
	ds_add_u64 v0, v[2:3]
	s_trap 2
.LBB2_226:                              ;   in Loop: Header=BB2_199 Depth=2
	s_or_b32 exec_lo, exec_lo, s44
	s_trap 2
	ds_load_b64 v[12:13], v0
	s_wait_dscnt 0x0
	v_add_nc_u64_e32 v[32:33], v[32:33], v[36:37]
	s_mov_b32 s44, exec_lo
	s_delay_alu instid0(VALU_DEP_1)
	v_cmpx_lt_u64_e64 v[12:13], v[32:33]
	s_cbranch_execz .LBB2_235
; %bb.227:                              ;   in Loop: Header=BB2_199 Depth=2
	s_mov_b32 s45, 0
	s_mov_b32 s74, 0
                                        ; implicit-def: $sgpr72
                                        ; implicit-def: $sgpr73
	s_branch .LBB2_229
.LBB2_228:                              ;   in Loop: Header=BB2_229 Depth=3
	s_or_b32 exec_lo, exec_lo, s76
	s_delay_alu instid0(SALU_CYCLE_1) | instskip(NEXT) | instid1(SALU_CYCLE_1)
	s_and_b32 s75, exec_lo, s77
	s_or_b32 s45, s75, s45
	s_and_not1_b32 s72, s72, exec_lo
	s_and_b32 s75, s73, exec_lo
	s_delay_alu instid0(SALU_CYCLE_1)
	s_or_b32 s72, s72, s75
	s_and_not1_b32 exec_lo, exec_lo, s45
	s_cbranch_execz .LBB2_233
.LBB2_229:                              ;   Parent Loop BB2_47 Depth=1
                                        ;     Parent Loop BB2_199 Depth=2
                                        ; =>    This Inner Loop Header: Depth=3
	s_add_co_i32 s74, s74, 1
	s_delay_alu instid0(SALU_CYCLE_1) | instskip(SKIP_1) | instid1(SALU_CYCLE_1)
	s_cmp_lg_u32 s74, 0x2710
	s_cselect_b32 s75, -1, 0
	s_and_b32 vcc_lo, exec_lo, s75
	s_cbranch_vccz .LBB2_231
; %bb.230:                              ;   in Loop: Header=BB2_229 Depth=3
	s_mov_b32 s77, -1
	s_or_b32 s73, s73, exec_lo
	s_and_saveexec_b32 s76, s75
	s_cbranch_execz .LBB2_228
	s_branch .LBB2_232
.LBB2_231:                              ;   in Loop: Header=BB2_229 Depth=3
	s_trap 2
	ds_load_b64 v[12:13], v0
	s_and_not1_b32 s75, s75, exec_lo
	s_mov_b32 s74, 0
	s_wait_loadcnt_dscnt 0x0
	flat_load_b32 v2, v[12:13] scope:SCOPE_SYS
	s_wait_loadcnt_dscnt 0x0
	global_inv scope:SCOPE_SYS
	v_cmp_eq_u32_e32 vcc_lo, 0, v2
	s_and_b32 s76, vcc_lo, exec_lo
	s_delay_alu instid0(SALU_CYCLE_1)
	s_or_b32 s75, s75, s76
	s_mov_b32 s77, -1
	s_or_b32 s73, s73, exec_lo
	s_and_saveexec_b32 s76, s75
	s_cbranch_execz .LBB2_228
.LBB2_232:                              ;   in Loop: Header=BB2_229 Depth=3
	s_sleep 1
	s_trap 2
	ds_load_b64 v[12:13], v0
	s_wait_dscnt 0x0
	s_and_not1_b32 s73, s73, exec_lo
	v_cmp_ge_u64_e32 vcc_lo, v[12:13], v[32:33]
	s_or_not1_b32 s77, vcc_lo, exec_lo
	s_branch .LBB2_228
.LBB2_233:                              ;   in Loop: Header=BB2_199 Depth=2
	s_or_b32 exec_lo, exec_lo, s45
	s_and_saveexec_b32 s45, s72
	s_delay_alu instid0(SALU_CYCLE_1)
	s_xor_b32 s45, exec_lo, s45
	s_cbranch_execz .LBB2_235
; %bb.234:                              ;   in Loop: Header=BB2_199 Depth=2
	ds_store_b32 v0, v75
	s_trap 2
.LBB2_235:                              ;   in Loop: Header=BB2_199 Depth=2
	s_or_b32 exec_lo, exec_lo, s44
	;;#ASMSTART
	s_wakeup
	;;#ASMEND
.LBB2_236:                              ;   in Loop: Header=BB2_199 Depth=2
	s_or_b32 exec_lo, exec_lo, s41
.LBB2_237:                              ;   in Loop: Header=BB2_199 Depth=2
	s_and_not1_saveexec_b32 s18, s18
	s_cbranch_execz .LBB2_239
; %bb.238:                              ;   in Loop: Header=BB2_199 Depth=2
	global_wb scope:SCOPE_DEV
	s_wait_storecnt 0x0
	s_wait_loadcnt_dscnt 0x0
	global_inv scope:SCOPE_DEV
	s_barrier_signal -1
	s_barrier_wait -1
.LBB2_239:                              ;   in Loop: Header=BB2_199 Depth=2
	s_or_b32 exec_lo, exec_lo, s18
.LBB2_240:                              ;   in Loop: Header=BB2_199 Depth=2
	s_delay_alu instid0(SALU_CYCLE_1) | instskip(SKIP_2) | instid1(SALU_CYCLE_1)
	s_or_b32 exec_lo, exec_lo, s13
	v_and_b32_e32 v9, 16, v30
	s_and_saveexec_b32 s13, s7
	s_xor_b32 s18, exec_lo, s13
	s_cbranch_execz .LBB2_244
; %bb.241:                              ;   in Loop: Header=BB2_199 Depth=2
	s_trap 2
	ds_load_b32 v2, v0
	v_cmp_lt_i32_e32 vcc_lo, 0, v8
	v_and_b32_e32 v9, 16, v30
	s_wait_dscnt 0x0
	v_readfirstlane_b32 s13, v2
	v_and_b32_e32 v2, 16, v30
	s_cmp_eq_u32 s13, 0
	s_delay_alu instid0(VALU_DEP_1) | instskip(SKIP_1) | instid1(SALU_CYCLE_1)
	v_cmp_ne_u32_e64 s13, 0, v2
	s_cselect_b32 s41, -1, 0
	s_and_b32 s41, vcc_lo, s41
	s_delay_alu instid0(SALU_CYCLE_1) | instskip(NEXT) | instid1(SALU_CYCLE_1)
	s_and_b32 s41, s13, s41
	s_and_saveexec_b32 s13, s41
	s_cbranch_execz .LBB2_243
; %bb.242:                              ;   in Loop: Header=BB2_199 Depth=2
	v_mov_b32_e32 v9, 1
	global_wb scope:SCOPE_SYS
	s_wait_loadcnt 0x0
	s_wait_storecnt 0x0
	global_inv scope:SCOPE_SYS
.LBB2_243:                              ;   in Loop: Header=BB2_199 Depth=2
	s_or_b32 exec_lo, exec_lo, s13
.LBB2_244:                              ;   in Loop: Header=BB2_199 Depth=2
	s_and_not1_saveexec_b32 s13, s18
	s_cbranch_execz .LBB2_263
; %bb.245:                              ;   in Loop: Header=BB2_199 Depth=2
	s_and_saveexec_b32 s18, s3
	s_delay_alu instid0(SALU_CYCLE_1)
	s_xor_b32 s18, exec_lo, s18
	s_cbranch_execz .LBB2_260
; %bb.246:                              ;   in Loop: Header=BB2_199 Depth=2
	s_and_saveexec_b32 s41, s6
	s_cbranch_execz .LBB2_259
; %bb.247:                              ;   in Loop: Header=BB2_199 Depth=2
	s_mov_b32 s45, exec_lo
	s_mov_b32 s44, exec_lo
	v_mbcnt_lo_u32_b32 v2, s45, 0
	;;#ASMSTART
	s_waitcnt lgkmcnt(0) vmcnt(0)
	;;#ASMEND
	s_delay_alu instid0(VALU_DEP_1)
	v_cmpx_eq_u32_e32 0, v2
	s_cbranch_execz .LBB2_249
; %bb.248:                              ;   in Loop: Header=BB2_199 Depth=2
	s_bcnt1_i32_b32 s45, s45
	s_delay_alu instid0(SALU_CYCLE_1)
	v_mov_b32_e32 v2, s45
	s_wait_storecnt 0x0
	s_wait_loadcnt_dscnt 0x0
	ds_add_u64 v0, v[2:3]
	s_trap 2
.LBB2_249:                              ;   in Loop: Header=BB2_199 Depth=2
	s_or_b32 exec_lo, exec_lo, s44
	s_trap 2
	ds_load_b64 v[12:13], v0
	s_wait_dscnt 0x0
	v_add_nc_u64_e32 v[32:33], v[32:33], v[36:37]
	s_mov_b32 s44, exec_lo
	s_delay_alu instid0(VALU_DEP_1)
	v_cmpx_lt_u64_e64 v[12:13], v[32:33]
	s_cbranch_execz .LBB2_258
; %bb.250:                              ;   in Loop: Header=BB2_199 Depth=2
	s_mov_b32 s45, 0
	s_mov_b32 s74, 0
                                        ; implicit-def: $sgpr72
                                        ; implicit-def: $sgpr73
	s_branch .LBB2_252
.LBB2_251:                              ;   in Loop: Header=BB2_252 Depth=3
	s_or_b32 exec_lo, exec_lo, s76
	s_delay_alu instid0(SALU_CYCLE_1) | instskip(NEXT) | instid1(SALU_CYCLE_1)
	s_and_b32 s75, exec_lo, s77
	s_or_b32 s45, s75, s45
	s_and_not1_b32 s72, s72, exec_lo
	s_and_b32 s75, s73, exec_lo
	s_delay_alu instid0(SALU_CYCLE_1)
	s_or_b32 s72, s72, s75
	s_and_not1_b32 exec_lo, exec_lo, s45
	s_cbranch_execz .LBB2_256
.LBB2_252:                              ;   Parent Loop BB2_47 Depth=1
                                        ;     Parent Loop BB2_199 Depth=2
                                        ; =>    This Inner Loop Header: Depth=3
	s_add_co_i32 s74, s74, 1
	s_delay_alu instid0(SALU_CYCLE_1) | instskip(SKIP_1) | instid1(SALU_CYCLE_1)
	s_cmp_lg_u32 s74, 0x2710
	s_cselect_b32 s75, -1, 0
	s_and_b32 vcc_lo, exec_lo, s75
	s_cbranch_vccz .LBB2_254
; %bb.253:                              ;   in Loop: Header=BB2_252 Depth=3
	s_mov_b32 s77, -1
	s_or_b32 s73, s73, exec_lo
	s_and_saveexec_b32 s76, s75
	s_cbranch_execz .LBB2_251
	s_branch .LBB2_255
.LBB2_254:                              ;   in Loop: Header=BB2_252 Depth=3
	s_trap 2
	ds_load_b64 v[12:13], v0
	s_and_not1_b32 s75, s75, exec_lo
	s_mov_b32 s74, 0
	s_wait_storecnt 0x0
	s_wait_loadcnt_dscnt 0x0
	flat_load_b32 v2, v[12:13] scope:SCOPE_SYS
	s_wait_loadcnt_dscnt 0x0
	global_inv scope:SCOPE_SYS
	v_cmp_eq_u32_e32 vcc_lo, 0, v2
	s_and_b32 s76, vcc_lo, exec_lo
	s_delay_alu instid0(SALU_CYCLE_1)
	s_or_b32 s75, s75, s76
	s_mov_b32 s77, -1
	s_or_b32 s73, s73, exec_lo
	s_and_saveexec_b32 s76, s75
	s_cbranch_execz .LBB2_251
.LBB2_255:                              ;   in Loop: Header=BB2_252 Depth=3
	s_sleep 1
	s_trap 2
	ds_load_b64 v[12:13], v0
	s_wait_dscnt 0x0
	s_and_not1_b32 s73, s73, exec_lo
	v_cmp_ge_u64_e32 vcc_lo, v[12:13], v[32:33]
	s_or_not1_b32 s77, vcc_lo, exec_lo
	s_branch .LBB2_251
.LBB2_256:                              ;   in Loop: Header=BB2_199 Depth=2
	s_or_b32 exec_lo, exec_lo, s45
	s_and_saveexec_b32 s45, s72
	s_delay_alu instid0(SALU_CYCLE_1)
	s_xor_b32 s45, exec_lo, s45
	s_cbranch_execz .LBB2_258
; %bb.257:                              ;   in Loop: Header=BB2_199 Depth=2
	ds_store_b32 v0, v75
	s_trap 2
.LBB2_258:                              ;   in Loop: Header=BB2_199 Depth=2
	s_or_b32 exec_lo, exec_lo, s44
	;;#ASMSTART
	s_wakeup
	;;#ASMEND
.LBB2_259:                              ;   in Loop: Header=BB2_199 Depth=2
	s_or_b32 exec_lo, exec_lo, s41
.LBB2_260:                              ;   in Loop: Header=BB2_199 Depth=2
	s_and_not1_saveexec_b32 s18, s18
	s_cbranch_execz .LBB2_262
; %bb.261:                              ;   in Loop: Header=BB2_199 Depth=2
	;;#ASMSTART
	s_waitcnt lgkmcnt(0) vmcnt(0)
	;;#ASMEND
	s_barrier_signal -1
	s_barrier_wait -1
.LBB2_262:                              ;   in Loop: Header=BB2_199 Depth=2
	s_or_b32 exec_lo, exec_lo, s18
.LBB2_263:                              ;   in Loop: Header=BB2_199 Depth=2
	s_delay_alu instid0(SALU_CYCLE_1) | instskip(NEXT) | instid1(SALU_CYCLE_1)
	s_or_b32 exec_lo, exec_lo, s13
	s_mov_b32 s13, exec_lo
	v_cmpx_ne_u32_e32 0, v9
	s_cbranch_execz .LBB2_198
; %bb.264:                              ;   in Loop: Header=BB2_199 Depth=2
	s_and_saveexec_b32 s18, s5
	s_cbranch_execz .LBB2_197
; %bb.265:                              ;   in Loop: Header=BB2_199 Depth=2
	global_wb scope:SCOPE_SYS
	s_wait_storecnt 0x0
	s_wait_loadcnt_dscnt 0x0
	flat_store_b32 v[28:29], v75 scope:SCOPE_SYS
	s_branch .LBB2_197
.LBB2_266:                              ;   in Loop: Header=BB2_47 Depth=1
	s_or_b32 exec_lo, exec_lo, s15
.LBB2_267:                              ;   in Loop: Header=BB2_47 Depth=1
	s_delay_alu instid0(SALU_CYCLE_1) | instskip(NEXT) | instid1(SALU_CYCLE_1)
	s_or_b32 exec_lo, exec_lo, s14
	s_and_not1_b32 vcc_lo, exec_lo, s58
	s_cbranch_vccnz .LBB2_1808
; %bb.268:                              ;   in Loop: Header=BB2_47 Depth=1
	s_mov_b32 s18, 2
	s_branch .LBB2_271
.LBB2_269:                              ;   in Loop: Header=BB2_271 Depth=2
	s_or_b32 exec_lo, exec_lo, s15
.LBB2_270:                              ;   in Loop: Header=BB2_271 Depth=2
	s_delay_alu instid0(SALU_CYCLE_1) | instskip(SKIP_1) | instid1(SALU_CYCLE_1)
	s_or_b32 exec_lo, exec_lo, s14
	s_add_co_i32 s18, s18, 1
	s_cmp_eq_u32 s18, s16
	s_cbranch_scc1 .LBB2_1808
.LBB2_271:                              ;   Parent Loop BB2_47 Depth=1
                                        ; =>  This Loop Header: Depth=2
                                        ;       Child Loop BB2_274 Depth 3
                                        ;         Child Loop BB2_282 Depth 4
                                        ;         Child Loop BB2_310 Depth 4
	;; [unrolled: 1-line block ×9, first 2 shown]
                                        ;       Child Loop BB2_1736 Depth 3
                                        ;         Child Loop BB2_1742 Depth 4
                                        ;         Child Loop BB2_1770 Depth 4
	;; [unrolled: 1-line block ×3, first 2 shown]
	s_sub_co_i32 s13, s56, s18
	s_mov_b32 s44, 0
	s_cmp_ge_i32 s13, s16
	v_mov_b32_e32 v114, 0
	s_cselect_b32 s14, s16, 0
	s_delay_alu instid0(SALU_CYCLE_1) | instskip(NEXT) | instid1(SALU_CYCLE_1)
	s_sub_co_i32 s14, s13, s14
	s_ashr_i32 s15, s14, 31
	s_delay_alu instid0(SALU_CYCLE_1) | instskip(NEXT) | instid1(VALU_DEP_1)
	v_mul_u64_e32 v[116:117], s[14:15], v[96:97]
	v_sub_nc_u64_e32 v[8:9], v[100:101], v[116:117]
	s_delay_alu instid0(VALU_DEP_1) | instskip(NEXT) | instid1(VALU_DEP_1)
	v_min_i64 v[8:9], v[96:97], v[8:9]
	v_max_i32_e32 v62, 0, v8
	v_cmp_lt_i32_e32 vcc_lo, 0, v8
	s_delay_alu instid0(VALU_DEP_2) | instskip(SKIP_1) | instid1(VALU_DEP_1)
	v_add_nc_u32_e32 v2, 31, v62
	s_and_b32 s13, s61, vcc_lo
	v_lshrrev_b32_e32 v2, 1, v2
	s_delay_alu instid0(VALU_DEP_1) | instskip(NEXT) | instid1(VALU_DEP_1)
	v_and_b32_e32 v9, 0x3ffffff0, v2
	v_dual_mov_b32 v2, 0 :: v_dual_max_i32 v112, s57, v9
	s_and_saveexec_b32 s41, s13
	s_cbranch_execz .LBB2_1733
; %bb.272:                              ;   in Loop: Header=BB2_271 Depth=2
	v_mov_b32_e32 v114, 0
	s_mov_b32 s72, 1
	s_mov_b32 s45, -1
	s_branch .LBB2_274
.LBB2_273:                              ;   in Loop: Header=BB2_274 Depth=3
	s_wait_xcnt 0x0
	s_or_b32 exec_lo, exec_lo, s13
	v_dual_add_nc_u32 v114, v112, v114 :: v_dual_mov_b32 v2, s72
	s_xor_b32 s13, s45, -1
	s_mov_b32 s45, 0
	s_mov_b32 s72, 2
	s_delay_alu instid0(VALU_DEP_1) | instskip(SKIP_1) | instid1(SALU_CYCLE_1)
	v_cmp_ge_i32_e32 vcc_lo, v114, v62
	s_or_b32 s13, s13, vcc_lo
	s_and_b32 s13, exec_lo, s13
	s_delay_alu instid0(SALU_CYCLE_1) | instskip(NEXT) | instid1(SALU_CYCLE_1)
	s_or_b32 s44, s13, s44
	s_and_not1_b32 exec_lo, exec_lo, s44
	s_cbranch_execz .LBB2_1732
.LBB2_274:                              ;   Parent Loop BB2_47 Depth=1
                                        ;     Parent Loop BB2_271 Depth=2
                                        ; =>    This Loop Header: Depth=3
                                        ;         Child Loop BB2_282 Depth 4
                                        ;         Child Loop BB2_310 Depth 4
	;; [unrolled: 1-line block ×9, first 2 shown]
	s_and_saveexec_b32 s13, s0
	s_cbranch_execz .LBB2_276
; %bb.275:                              ;   in Loop: Header=BB2_274 Depth=3
	s_trap 2
	ds_load_b64 v[8:9], v0
	v_ashrrev_i32_e32 v115, 31, v114
	s_wait_dscnt 0x0
	v_add_nc_u64_e32 v[8:9], v[8:9], v[102:103]
	s_delay_alu instid0(VALU_DEP_1) | instskip(NEXT) | instid1(VALU_DEP_1)
	v_add_nc_u64_e32 v[8:9], v[8:9], v[116:117]
	v_add_nc_u64_e32 v[8:9], v[8:9], v[114:115]
	ds_store_b64 v0, v[8:9]
	ds_store_b64 v0, v[48:49]
.LBB2_276:                              ;   in Loop: Header=BB2_274 Depth=3
	s_or_b32 exec_lo, exec_lo, s13
	v_sub_nc_u32_e32 v2, v62, v114
	v_and_b32_e32 v8, 12, v30
	s_mov_b32 s14, exec_lo
	s_delay_alu instid0(VALU_DEP_2) | instskip(NEXT) | instid1(VALU_DEP_2)
	v_min_i32_e32 v112, v112, v2
	v_cmpx_ne_u32_e32 0, v8
	s_cbranch_execz .LBB2_302
; %bb.277:                              ;   in Loop: Header=BB2_274 Depth=3
	v_and_b32_e32 v2, 8, v30
	v_add_nc_u64_e32 v[8:9], 2, v[98:99]
	s_mov_b32 s15, exec_lo
	s_wait_loadcnt_dscnt 0x1
	s_delay_alu instid0(VALU_DEP_2) | instskip(NEXT) | instid1(VALU_DEP_1)
	v_add_nc_u64_e32 v[10:11], v[34:35], v[2:3]
	v_cmpx_lt_u64_e64 v[10:11], v[8:9]
	s_cbranch_execz .LBB2_289
; %bb.278:                              ;   in Loop: Header=BB2_274 Depth=3
	v_and_b32_e32 v10, 64, v30
	s_mov_b32 s73, 0
	s_mov_b32 s77, 0
                                        ; implicit-def: $sgpr74
                                        ; implicit-def: $sgpr75
                                        ; implicit-def: $sgpr76
	s_delay_alu instid0(VALU_DEP_1)
	v_cmp_eq_u32_e32 vcc_lo, 0, v10
	s_branch .LBB2_282
.LBB2_279:                              ;   in Loop: Header=BB2_282 Depth=4
	s_wait_loadcnt_dscnt 0x0
	v_add_nc_u64_e32 v[12:13], v[34:35], v[2:3]
	s_or_b32 s88, s88, exec_lo
	s_delay_alu instid0(VALU_DEP_1)
	v_cmp_ge_u64_e64 s13, v[12:13], v[8:9]
	s_or_not1_b32 s79, s13, exec_lo
.LBB2_280:                              ;   in Loop: Header=BB2_282 Depth=4
	s_or_b32 exec_lo, exec_lo, s90
	s_delay_alu instid0(SALU_CYCLE_1)
	s_and_not1_b32 s13, s76, exec_lo
	s_and_b32 s76, s88, exec_lo
	s_and_not1_b32 s75, s75, exec_lo
	s_and_b32 s79, s79, exec_lo
	s_or_b32 s76, s13, s76
	s_or_b32 s75, s75, s79
.LBB2_281:                              ;   in Loop: Header=BB2_282 Depth=4
	s_or_b32 exec_lo, exec_lo, s78
	s_delay_alu instid0(SALU_CYCLE_1) | instskip(NEXT) | instid1(SALU_CYCLE_1)
	s_and_b32 s13, exec_lo, s75
	s_or_b32 s73, s13, s73
	s_and_not1_b32 s13, s74, exec_lo
	s_and_b32 s74, s76, exec_lo
	s_delay_alu instid0(SALU_CYCLE_1)
	s_or_b32 s74, s13, s74
	s_and_not1_b32 exec_lo, exec_lo, s73
	s_cbranch_execz .LBB2_286
.LBB2_282:                              ;   Parent Loop BB2_47 Depth=1
                                        ;     Parent Loop BB2_271 Depth=2
                                        ;       Parent Loop BB2_274 Depth=3
                                        ; =>      This Inner Loop Header: Depth=4
	s_sleep 1
	s_wait_loadcnt_dscnt 0x0
	flat_load_b64 v[34:35], v[22:23] scope:SCOPE_SYS
	s_or_b32 s76, s76, exec_lo
	s_or_b32 s75, s75, exec_lo
                                        ; implicit-def: $vgpr10
	s_wait_xcnt 0x0
	s_and_saveexec_b32 s78, vcc_lo
	s_cbranch_execz .LBB2_281
; %bb.283:                              ;   in Loop: Header=BB2_282 Depth=4
	s_cmp_lt_i32 s77, 0x270f
	s_mov_b32 s79, -1
	s_cselect_b32 s89, -1, 0
	s_cmp_gt_i32 s77, 0x270e
	s_cbranch_scc0 .LBB2_285
; %bb.284:                              ;   in Loop: Header=BB2_282 Depth=4
	s_trap 2
	ds_load_b64 v[10:11], v0
	s_and_not1_b32 s77, s89, exec_lo
	s_mov_b32 s88, 0
	s_wait_storecnt 0x0
	s_wait_loadcnt_dscnt 0x0
	flat_load_b32 v10, v[10:11] scope:SCOPE_SYS
	s_wait_loadcnt_dscnt 0x0
	global_inv scope:SCOPE_SYS
	v_cmp_eq_u32_e64 s13, 0, v10
	s_and_b32 s13, s13, exec_lo
	s_delay_alu instid0(SALU_CYCLE_1)
	s_or_b32 s89, s77, s13
	s_mov_b32 s77, 0
	s_and_saveexec_b32 s90, s89
	s_cbranch_execz .LBB2_280
	s_branch .LBB2_279
.LBB2_285:                              ;   in Loop: Header=BB2_282 Depth=4
	s_add_co_i32 s77, s77, 1
	s_mov_b32 s88, -1
                                        ; implicit-def: $vgpr10
	s_and_saveexec_b32 s90, s89
	s_cbranch_execz .LBB2_280
	s_branch .LBB2_279
.LBB2_286:                              ;   in Loop: Header=BB2_274 Depth=3
	s_or_b32 exec_lo, exec_lo, s73
	s_xor_b32 s13, s74, -1
	s_delay_alu instid0(SALU_CYCLE_1) | instskip(NEXT) | instid1(SALU_CYCLE_1)
	s_and_saveexec_b32 s73, s13
	s_xor_b32 s13, exec_lo, s73
	s_cbranch_execz .LBB2_288
; %bb.287:                              ;   in Loop: Header=BB2_274 Depth=3
	v_or_b32_e32 v30, 64, v30
	s_wait_storecnt 0x0
	s_wait_loadcnt_dscnt 0x0
	ds_store_b32 v0, v10
	s_trap 2
.LBB2_288:                              ;   in Loop: Header=BB2_274 Depth=3
	s_or_b32 exec_lo, exec_lo, s13
.LBB2_289:                              ;   in Loop: Header=BB2_274 Depth=3
	s_delay_alu instid0(SALU_CYCLE_1) | instskip(SKIP_2) | instid1(VALU_DEP_1)
	s_or_b32 exec_lo, exec_lo, s15
	v_and_b32_e32 v10, 0x108, v30
	;;#ASMSTART
	s_wakeup
	;;#ASMEND
	v_cmp_ne_u32_e32 vcc_lo, 0x108, v10
                                        ; implicit-def: $vgpr10_vgpr11
	s_and_saveexec_b32 s13, vcc_lo
	s_delay_alu instid0(SALU_CYCLE_1)
	s_xor_b32 s13, exec_lo, s13
; %bb.290:                              ;   in Loop: Header=BB2_274 Depth=3
	v_dual_mov_b32 v11, v3 :: v_dual_bitop2_b32 v10, 7, v98 bitop3:0x40
                                        ; implicit-def: $vgpr98_vgpr99
; %bb.291:                              ;   in Loop: Header=BB2_274 Depth=3
	s_and_not1_saveexec_b32 s13, s13
	s_cbranch_execz .LBB2_293
; %bb.292:                              ;   in Loop: Header=BB2_274 Depth=3
	v_dual_ashrrev_i32 v113, 31, v112 :: v_dual_bitop2_b32 v10, 7, v98 bitop3:0x40
	v_mov_b32_e32 v11, v3
	s_delay_alu instid0(VALU_DEP_2)
	v_mad_nc_u64_u32 v[12:13], v10, 24, v[6:7]
	flat_store_b64 v[12:13], v[112:113] offset:8
.LBB2_293:                              ;   in Loop: Header=BB2_274 Depth=3
	s_wait_xcnt 0x0
	s_or_b32 exec_lo, exec_lo, s13
	v_and_b32_e32 v12, 0x100, v30
	s_mov_b32 s13, -1
	s_delay_alu instid0(VALU_DEP_1)
	v_cmp_ne_u32_e32 vcc_lo, 0, v12
                                        ; implicit-def: $vgpr12_vgpr13
	s_and_saveexec_b32 s15, vcc_lo
	s_cbranch_execz .LBB2_297
; %bb.294:                              ;   in Loop: Header=BB2_274 Depth=3
	v_mad_nc_u64_u32 v[14:15], v10, 24, v[6:7]
	s_delay_alu instid0(VALU_DEP_1)
	v_mad_u32 v15, v11, 24, v15
	flat_load_b32 v12, v[14:15]
	s_wait_loadcnt_dscnt 0x0
	v_cmp_eq_u32_e64 s13, 1, v12
	v_cmp_ne_u32_e32 vcc_lo, 1, v12
                                        ; implicit-def: $vgpr12_vgpr13
	s_wait_xcnt 0x0
	s_and_saveexec_b32 s73, s13
	s_cbranch_execz .LBB2_296
; %bb.295:                              ;   in Loop: Header=BB2_274 Depth=3
	flat_load_b32 v12, v[14:15] offset:4 scope:SCOPE_SYS
	s_wait_loadcnt_dscnt 0x0
	v_ashrrev_i32_e32 v13, 31, v12
.LBB2_296:                              ;   in Loop: Header=BB2_274 Depth=3
	s_wait_xcnt 0x0
	s_or_b32 exec_lo, exec_lo, s73
	s_delay_alu instid0(SALU_CYCLE_1)
	s_or_not1_b32 s13, vcc_lo, exec_lo
.LBB2_297:                              ;   in Loop: Header=BB2_274 Depth=3
	s_or_b32 exec_lo, exec_lo, s15
	s_and_saveexec_b32 s15, s13
; %bb.298:                              ;   in Loop: Header=BB2_274 Depth=3
	v_mul_u64_e32 v[12:13], v[10:11], v[24:25]
; %bb.299:                              ;   in Loop: Header=BB2_274 Depth=3
	s_or_b32 exec_lo, exec_lo, s15
	v_cmp_eq_u32_e32 vcc_lo, 0, v2
	s_delay_alu instid0(VALU_DEP_2) | instskip(SKIP_3) | instid1(VALU_DEP_1)
	v_add_nc_u64_e32 v[10:11], v[26:27], v[12:13]
	v_and_b32_e32 v14, 0x2000, v30
	s_mov_b32 s13, exec_lo
	v_cndmask_b32_e32 v2, 0xc8, v76, vcc_lo
	v_add_nc_u32_e32 v2, v0, v2
	ds_store_b64 v2, v[10:11] offset:584
	v_cmpx_ne_u32_e32 0, v14
	s_cbranch_execz .LBB2_301
; %bb.300:                              ;   in Loop: Header=BB2_274 Depth=3
	ds_load_b64 v[10:11], v0 offset:872
	s_wait_dscnt 0x0
	v_add_nc_u64_e32 v[10:11], 1, v[10:11]
	ds_store_b64 v0, v[10:11] offset:872
.LBB2_301:                              ;   in Loop: Header=BB2_274 Depth=3
	s_or_b32 exec_lo, exec_lo, s13
	v_mov_b64_e32 v[98:99], v[8:9]
.LBB2_302:                              ;   in Loop: Header=BB2_274 Depth=3
	s_or_b32 exec_lo, exec_lo, s14
	s_and_saveexec_b32 s13, s2
	s_cbranch_execz .LBB2_321
; %bb.303:                              ;   in Loop: Header=BB2_274 Depth=3
	s_and_saveexec_b32 s14, s3
	s_delay_alu instid0(SALU_CYCLE_1)
	s_xor_b32 s14, exec_lo, s14
	s_cbranch_execz .LBB2_318
; %bb.304:                              ;   in Loop: Header=BB2_274 Depth=3
	s_and_saveexec_b32 s15, s6
	s_cbranch_execz .LBB2_317
; %bb.305:                              ;   in Loop: Header=BB2_274 Depth=3
	s_mov_b32 s74, exec_lo
	s_mov_b32 s73, exec_lo
	v_mbcnt_lo_u32_b32 v2, s74, 0
	global_wb scope:SCOPE_DEV
	s_wait_storecnt 0x0
	s_wait_loadcnt_dscnt 0x0
	global_inv scope:SCOPE_DEV
	v_cmpx_eq_u32_e32 0, v2
	s_cbranch_execz .LBB2_307
; %bb.306:                              ;   in Loop: Header=BB2_274 Depth=3
	s_bcnt1_i32_b32 s74, s74
	s_delay_alu instid0(SALU_CYCLE_1)
	v_mov_b32_e32 v2, s74
	s_wait_loadcnt 0x0
	ds_add_u64 v0, v[2:3]
	s_trap 2
.LBB2_307:                              ;   in Loop: Header=BB2_274 Depth=3
	s_or_b32 exec_lo, exec_lo, s73
	s_trap 2
	ds_load_b64 v[8:9], v0
	s_wait_dscnt 0x0
	v_add_nc_u64_e32 v[32:33], v[32:33], v[36:37]
	s_mov_b32 s73, exec_lo
	s_delay_alu instid0(VALU_DEP_1)
	v_cmpx_lt_u64_e64 v[8:9], v[32:33]
	s_cbranch_execz .LBB2_316
; %bb.308:                              ;   in Loop: Header=BB2_274 Depth=3
	s_mov_b32 s74, 0
	s_mov_b32 s77, 0
                                        ; implicit-def: $sgpr75
                                        ; implicit-def: $sgpr76
	s_branch .LBB2_310
.LBB2_309:                              ;   in Loop: Header=BB2_310 Depth=4
	s_or_b32 exec_lo, exec_lo, s79
	s_delay_alu instid0(SALU_CYCLE_1) | instskip(NEXT) | instid1(SALU_CYCLE_1)
	s_and_b32 s78, exec_lo, s88
	s_or_b32 s74, s78, s74
	s_and_not1_b32 s75, s75, exec_lo
	s_and_b32 s78, s76, exec_lo
	s_delay_alu instid0(SALU_CYCLE_1)
	s_or_b32 s75, s75, s78
	s_and_not1_b32 exec_lo, exec_lo, s74
	s_cbranch_execz .LBB2_314
.LBB2_310:                              ;   Parent Loop BB2_47 Depth=1
                                        ;     Parent Loop BB2_271 Depth=2
                                        ;       Parent Loop BB2_274 Depth=3
                                        ; =>      This Inner Loop Header: Depth=4
	s_add_co_i32 s77, s77, 1
	s_delay_alu instid0(SALU_CYCLE_1) | instskip(SKIP_1) | instid1(SALU_CYCLE_1)
	s_cmp_lg_u32 s77, 0x2710
	s_cselect_b32 s78, -1, 0
	s_and_b32 vcc_lo, exec_lo, s78
	s_cbranch_vccz .LBB2_312
; %bb.311:                              ;   in Loop: Header=BB2_310 Depth=4
	s_mov_b32 s88, -1
	s_or_b32 s76, s76, exec_lo
	s_and_saveexec_b32 s79, s78
	s_cbranch_execz .LBB2_309
	s_branch .LBB2_313
.LBB2_312:                              ;   in Loop: Header=BB2_310 Depth=4
	s_trap 2
	ds_load_b64 v[8:9], v0
	s_and_not1_b32 s78, s78, exec_lo
	s_mov_b32 s77, 0
	s_wait_loadcnt_dscnt 0x0
	flat_load_b32 v2, v[8:9] scope:SCOPE_SYS
	s_wait_loadcnt_dscnt 0x0
	global_inv scope:SCOPE_SYS
	v_cmp_eq_u32_e32 vcc_lo, 0, v2
	s_and_b32 s79, vcc_lo, exec_lo
	s_delay_alu instid0(SALU_CYCLE_1)
	s_or_b32 s78, s78, s79
	s_mov_b32 s88, -1
	s_or_b32 s76, s76, exec_lo
	s_and_saveexec_b32 s79, s78
	s_cbranch_execz .LBB2_309
.LBB2_313:                              ;   in Loop: Header=BB2_310 Depth=4
	s_sleep 1
	s_trap 2
	ds_load_b64 v[8:9], v0
	s_wait_dscnt 0x0
	s_and_not1_b32 s76, s76, exec_lo
	v_cmp_ge_u64_e32 vcc_lo, v[8:9], v[32:33]
	s_or_not1_b32 s88, vcc_lo, exec_lo
	s_branch .LBB2_309
.LBB2_314:                              ;   in Loop: Header=BB2_274 Depth=3
	s_or_b32 exec_lo, exec_lo, s74
	s_and_saveexec_b32 s74, s75
	s_delay_alu instid0(SALU_CYCLE_1)
	s_xor_b32 s74, exec_lo, s74
	s_cbranch_execz .LBB2_316
; %bb.315:                              ;   in Loop: Header=BB2_274 Depth=3
	ds_store_b32 v0, v75
	s_trap 2
.LBB2_316:                              ;   in Loop: Header=BB2_274 Depth=3
	s_or_b32 exec_lo, exec_lo, s73
	;;#ASMSTART
	s_wakeup
	;;#ASMEND
.LBB2_317:                              ;   in Loop: Header=BB2_274 Depth=3
	s_or_b32 exec_lo, exec_lo, s15
.LBB2_318:                              ;   in Loop: Header=BB2_274 Depth=3
	s_and_not1_saveexec_b32 s14, s14
	s_cbranch_execz .LBB2_320
; %bb.319:                              ;   in Loop: Header=BB2_274 Depth=3
	global_wb scope:SCOPE_DEV
	s_wait_storecnt 0x0
	s_wait_loadcnt_dscnt 0x0
	global_inv scope:SCOPE_DEV
	s_barrier_signal -1
	s_barrier_wait -1
.LBB2_320:                              ;   in Loop: Header=BB2_274 Depth=3
	s_or_b32 exec_lo, exec_lo, s14
.LBB2_321:                              ;   in Loop: Header=BB2_274 Depth=3
	s_delay_alu instid0(SALU_CYCLE_1) | instskip(SKIP_4) | instid1(VALU_DEP_1)
	s_or_b32 exec_lo, exec_lo, s13
	s_trap 2
	ds_load_b32 v8, v0
	v_and_b32_e32 v2, 0x4000, v30
	s_xor_b32 s13, s1, -1
	v_cmp_ne_u32_e32 vcc_lo, 0, v2
	s_and_b32 s14, s13, vcc_lo
	s_delay_alu instid0(SALU_CYCLE_1)
	s_and_saveexec_b32 s13, s14
	s_cbranch_execz .LBB2_340
; %bb.322:                              ;   in Loop: Header=BB2_274 Depth=3
	s_and_saveexec_b32 s14, s3
	s_delay_alu instid0(SALU_CYCLE_1)
	s_xor_b32 s14, exec_lo, s14
	s_cbranch_execz .LBB2_337
; %bb.323:                              ;   in Loop: Header=BB2_274 Depth=3
	s_and_saveexec_b32 s15, s6
	s_cbranch_execz .LBB2_336
; %bb.324:                              ;   in Loop: Header=BB2_274 Depth=3
	s_mov_b32 s74, exec_lo
	s_mov_b32 s73, exec_lo
	v_mbcnt_lo_u32_b32 v2, s74, 0
	global_wb scope:SCOPE_DEV
	s_wait_storecnt 0x0
	s_wait_loadcnt_dscnt 0x0
	global_inv scope:SCOPE_DEV
	v_cmpx_eq_u32_e32 0, v2
	s_cbranch_execz .LBB2_326
; %bb.325:                              ;   in Loop: Header=BB2_274 Depth=3
	s_bcnt1_i32_b32 s74, s74
	s_delay_alu instid0(SALU_CYCLE_1)
	v_mov_b32_e32 v2, s74
	s_wait_loadcnt 0x0
	ds_add_u64 v0, v[2:3]
	s_trap 2
.LBB2_326:                              ;   in Loop: Header=BB2_274 Depth=3
	s_or_b32 exec_lo, exec_lo, s73
	s_trap 2
	ds_load_b64 v[10:11], v0
	s_wait_dscnt 0x0
	v_add_nc_u64_e32 v[32:33], v[32:33], v[36:37]
	s_mov_b32 s73, exec_lo
	s_delay_alu instid0(VALU_DEP_1)
	v_cmpx_lt_u64_e64 v[10:11], v[32:33]
	s_cbranch_execz .LBB2_335
; %bb.327:                              ;   in Loop: Header=BB2_274 Depth=3
	s_mov_b32 s74, 0
	s_mov_b32 s77, 0
                                        ; implicit-def: $sgpr75
                                        ; implicit-def: $sgpr76
	s_branch .LBB2_329
.LBB2_328:                              ;   in Loop: Header=BB2_329 Depth=4
	s_or_b32 exec_lo, exec_lo, s79
	s_delay_alu instid0(SALU_CYCLE_1) | instskip(NEXT) | instid1(SALU_CYCLE_1)
	s_and_b32 s78, exec_lo, s88
	s_or_b32 s74, s78, s74
	s_and_not1_b32 s75, s75, exec_lo
	s_and_b32 s78, s76, exec_lo
	s_delay_alu instid0(SALU_CYCLE_1)
	s_or_b32 s75, s75, s78
	s_and_not1_b32 exec_lo, exec_lo, s74
	s_cbranch_execz .LBB2_333
.LBB2_329:                              ;   Parent Loop BB2_47 Depth=1
                                        ;     Parent Loop BB2_271 Depth=2
                                        ;       Parent Loop BB2_274 Depth=3
                                        ; =>      This Inner Loop Header: Depth=4
	s_add_co_i32 s77, s77, 1
	s_delay_alu instid0(SALU_CYCLE_1) | instskip(SKIP_1) | instid1(SALU_CYCLE_1)
	s_cmp_lg_u32 s77, 0x2710
	s_cselect_b32 s78, -1, 0
	s_and_b32 vcc_lo, exec_lo, s78
	s_cbranch_vccz .LBB2_331
; %bb.330:                              ;   in Loop: Header=BB2_329 Depth=4
	s_mov_b32 s88, -1
	s_or_b32 s76, s76, exec_lo
	s_and_saveexec_b32 s79, s78
	s_cbranch_execz .LBB2_328
	s_branch .LBB2_332
.LBB2_331:                              ;   in Loop: Header=BB2_329 Depth=4
	s_trap 2
	ds_load_b64 v[10:11], v0
	s_and_not1_b32 s78, s78, exec_lo
	s_mov_b32 s77, 0
	s_wait_loadcnt_dscnt 0x0
	flat_load_b32 v2, v[10:11] scope:SCOPE_SYS
	s_wait_loadcnt_dscnt 0x0
	global_inv scope:SCOPE_SYS
	v_cmp_eq_u32_e32 vcc_lo, 0, v2
	s_and_b32 s79, vcc_lo, exec_lo
	s_delay_alu instid0(SALU_CYCLE_1)
	s_or_b32 s78, s78, s79
	s_mov_b32 s88, -1
	s_or_b32 s76, s76, exec_lo
	s_and_saveexec_b32 s79, s78
	s_cbranch_execz .LBB2_328
.LBB2_332:                              ;   in Loop: Header=BB2_329 Depth=4
	s_sleep 1
	s_trap 2
	ds_load_b64 v[10:11], v0
	s_wait_dscnt 0x0
	s_and_not1_b32 s76, s76, exec_lo
	v_cmp_ge_u64_e32 vcc_lo, v[10:11], v[32:33]
	s_or_not1_b32 s88, vcc_lo, exec_lo
	s_branch .LBB2_328
.LBB2_333:                              ;   in Loop: Header=BB2_274 Depth=3
	s_or_b32 exec_lo, exec_lo, s74
	s_and_saveexec_b32 s74, s75
	s_delay_alu instid0(SALU_CYCLE_1)
	s_xor_b32 s74, exec_lo, s74
	s_cbranch_execz .LBB2_335
; %bb.334:                              ;   in Loop: Header=BB2_274 Depth=3
	ds_store_b32 v0, v75
	s_trap 2
.LBB2_335:                              ;   in Loop: Header=BB2_274 Depth=3
	s_or_b32 exec_lo, exec_lo, s73
	;;#ASMSTART
	s_wakeup
	;;#ASMEND
.LBB2_336:                              ;   in Loop: Header=BB2_274 Depth=3
	s_or_b32 exec_lo, exec_lo, s15
.LBB2_337:                              ;   in Loop: Header=BB2_274 Depth=3
	s_and_not1_saveexec_b32 s14, s14
	s_cbranch_execz .LBB2_339
; %bb.338:                              ;   in Loop: Header=BB2_274 Depth=3
	global_wb scope:SCOPE_DEV
	s_wait_storecnt 0x0
	s_wait_loadcnt_dscnt 0x0
	global_inv scope:SCOPE_DEV
	s_barrier_signal -1
	s_barrier_wait -1
.LBB2_339:                              ;   in Loop: Header=BB2_274 Depth=3
	s_or_b32 exec_lo, exec_lo, s14
.LBB2_340:                              ;   in Loop: Header=BB2_274 Depth=3
	s_delay_alu instid0(SALU_CYCLE_1)
	s_or_b32 exec_lo, exec_lo, s13
	s_trap 2
	ds_load_b64 v[118:119], v0
	s_wait_dscnt 0x0
	v_cmp_eq_u64_e32 vcc_lo, 0, v[118:119]
	s_cbranch_vccnz .LBB2_348
; %bb.341:                              ;   in Loop: Header=BB2_274 Depth=3
	s_trap 2
	ds_load_b64 v[40:41], v0
	s_wait_dscnt 0x0
	v_cmp_eq_u64_e32 vcc_lo, 0, v[40:41]
	s_cbranch_vccnz .LBB2_348
; %bb.342:                              ;   in Loop: Header=BB2_274 Depth=3
	s_mov_b32 s13, -1
	s_and_saveexec_b32 s14, s12
	s_cbranch_execz .LBB2_344
; %bb.343:                              ;   in Loop: Header=BB2_274 Depth=3
	ds_load_b32 v2, v0 offset:720
	s_wait_dscnt 0x0
	v_and_b32_e32 v2, 15, v2
	s_delay_alu instid0(VALU_DEP_1)
	v_cmp_eq_u32_e32 vcc_lo, 0, v2
	s_or_not1_b32 s13, vcc_lo, exec_lo
.LBB2_344:                              ;   in Loop: Header=BB2_274 Depth=3
	s_or_b32 exec_lo, exec_lo, s14
	s_and_saveexec_b32 s14, s11
	s_cbranch_execz .LBB2_346
; %bb.345:                              ;   in Loop: Header=BB2_274 Depth=3
	ds_load_b32 v2, v0 offset:784
	s_wait_dscnt 0x0
	v_and_b32_e32 v2, 15, v2
	s_delay_alu instid0(VALU_DEP_1) | instskip(SKIP_3) | instid1(SALU_CYCLE_1)
	v_cmp_eq_u32_e32 vcc_lo, 0, v2
	s_and_b32 s15, s13, vcc_lo
	s_and_not1_b32 s13, s13, exec_lo
	s_and_b32 s15, s15, exec_lo
	s_or_b32 s13, s13, s15
.LBB2_346:                              ;   in Loop: Header=BB2_274 Depth=3
	s_or_b32 exec_lo, exec_lo, s14
	v_cmp_eq_u32_e32 vcc_lo, 0, v8
	s_xor_b32 s13, s13, -1
	s_mov_b32 s15, -1
	v_cndmask_b32_e64 v2, 0, 1, s13
	v_dual_mov_b32 v42, 0 :: v_dual_cndmask_b32 v113, 0, v112
	v_mov_b32_e32 v44, v0
	s_delay_alu instid0(VALU_DEP_3) | instskip(NEXT) | instid1(VALU_DEP_3)
	v_cmp_ne_u32_e32 vcc_lo, 0, v2
	v_dual_mov_b32 v2, v79 :: v_dual_mov_b32 v43, v113
	s_cbranch_vccz .LBB2_349
; %bb.347:                              ;   in Loop: Header=BB2_274 Depth=3
	s_and_saveexec_b32 s14, s15
	s_cbranch_execnz .LBB2_1354
	s_branch .LBB2_1686
.LBB2_348:                              ;   in Loop: Header=BB2_274 Depth=3
	s_mov_b32 s13, 0
	s_and_saveexec_b32 s14, s2
	s_cbranch_execnz .LBB2_1687
	s_branch .LBB2_1705
.LBB2_349:                              ;   in Loop: Header=BB2_274 Depth=3
	v_dual_ashrrev_i32 v2, 31, v113 :: v_dual_sub_nc_u32 v115, v113, v50
	s_mov_b32 s73, exec_lo
	s_delay_alu instid0(VALU_DEP_1) | instskip(NEXT) | instid1(VALU_DEP_1)
	v_lshrrev_b32_e32 v2, 23, v2
	v_add_nc_u32_e32 v2, v113, v2
	s_delay_alu instid0(VALU_DEP_1) | instskip(NEXT) | instid1(VALU_DEP_1)
	v_and_b32_e32 v63, 0xfffffe00, v2
	v_dual_ashrrev_i32 v2, 9, v2 :: v_dual_sub_nc_u32 v72, v113, v63
	s_delay_alu instid0(VALU_DEP_1) | instskip(NEXT) | instid1(VALU_DEP_2)
	v_cmp_lt_i32_e32 vcc_lo, 15, v72
	v_add_co_ci_u32_e64 v73, null, v2, v89, vcc_lo
	v_cmpx_lt_i32_e32 15, v115
	s_cbranch_execz .LBB2_849
; %bb.350:                              ;   in Loop: Header=BB2_274 Depth=3
	s_trap 2
	ds_load_b64 v[8:9], v0
	v_add_nc_u64_e32 v[42:43], v[118:119], v[50:51]
	v_add_nc_u64_e32 v[46:47], v[40:41], v[50:51]
	s_mov_b32 s74, 0
	s_wait_dscnt 0x0
	v_add_nc_u64_e32 v[44:45], v[8:9], v[50:51]
	s_branch .LBB2_352
.LBB2_351:                              ;   in Loop: Header=BB2_352 Depth=4
	s_or_b32 exec_lo, exec_lo, s13
	v_lshl_or_b32 v8, v61, 8, v60
	v_dual_lshlrev_b32 v9, 16, v58 :: v_dual_lshlrev_b32 v10, 24, v59
	v_lshl_or_b32 v11, v91, 8, v90
	v_dual_lshlrev_b32 v13, 16, v92 :: v_dual_lshlrev_b32 v14, 24, v93
	;; [unrolled: 2-line block ×3, first 2 shown]
	v_dual_lshlrev_b32 v2, 24, v2 :: v_dual_lshlrev_b32 v12, 16, v12
	v_lshl_or_b32 v56, v57, 8, v56
	v_or3_b32 v9, v8, v9, v10
	v_or3_b32 v8, v11, v13, v14
	;; [unrolled: 1-line block ×3, first 2 shown]
	v_dual_sub_nc_u32 v115, v115, v66 :: v_dual_sub_nc_u32 v73, v73, v36
	v_or3_b32 v11, v56, v12, v2
	v_add_nc_u64_e32 v[42:43], v[42:43], v[66:67]
	v_add_nc_u64_e32 v[44:45], v[44:45], v[66:67]
	s_delay_alu instid0(VALU_DEP_4) | instskip(SKIP_4) | instid1(SALU_CYCLE_1)
	v_cmp_gt_i32_e64 s13, 16, v115
	global_store_b128 v[46:47], v[8:11], off th:TH_STORE_NT
	s_wait_xcnt 0x0
	v_add_nc_u64_e32 v[46:47], v[46:47], v[66:67]
	s_or_b32 s74, s13, s74
	s_and_not1_b32 exec_lo, exec_lo, s74
	s_cbranch_execz .LBB2_848
.LBB2_352:                              ;   Parent Loop BB2_47 Depth=1
                                        ;     Parent Loop BB2_271 Depth=2
                                        ;       Parent Loop BB2_274 Depth=3
                                        ; =>      This Inner Loop Header: Depth=4
	global_load_b128 v[12:15], v[42:43], off th:TH_LOAD_NT
	global_load_b128 v[8:11], v[44:45], off th:TH_LOAD_NT
	v_mov_b32_e32 v2, 0
	s_mov_b32 s14, exec_lo
	s_wait_loadcnt 0x1
	v_and_b32_e32 v56, 0xff, v12
	s_wait_xcnt 0x0
	s_delay_alu instid0(VALU_DEP_1)
	v_cmpx_ne_u16_e32 0, v56
	s_cbranch_execz .LBB2_358
; %bb.353:                              ;   in Loop: Header=BB2_352 Depth=4
	v_bfrev_b32_e32 v2, 1
	s_mov_b32 s15, exec_lo
	v_cmpx_ne_u16_e32 0x80, v56
	s_cbranch_execz .LBB2_357
; %bb.354:                              ;   in Loop: Header=BB2_352 Depth=4
	v_and_b32_e32 v56, 0x7f, v12
	v_mov_b32_e32 v2, 0x7f800001
	s_mov_b32 s75, exec_lo
	s_delay_alu instid0(VALU_DEP_2)
	v_cmpx_ne_u32_e32 0x7f, v56
	s_cbranch_execz .LBB2_356
; %bb.355:                              ;   in Loop: Header=BB2_352 Depth=4
	v_cmp_gt_u32_e64 s13, 8, v56
	v_and_b32_e32 v2, 7, v12
	s_delay_alu instid0(VALU_DEP_1) | instskip(NEXT) | instid1(VALU_DEP_1)
	v_clz_i32_u32_e32 v2, v2
	v_min_u32_e32 v2, 32, v2
	v_lshrrev_b32_e32 v18, 3, v56
	s_delay_alu instid0(VALU_DEP_2) | instskip(SKIP_1) | instid1(VALU_DEP_1)
	v_subrev_nc_u32_e32 v19, 28, v2
	v_sub_nc_u32_e32 v2, 29, v2
	v_dual_cndmask_b32 v2, v18, v2, s13 :: v_dual_cndmask_b32 v18, 0, v19, s13
	s_delay_alu instid0(VALU_DEP_1) | instskip(SKIP_1) | instid1(VALU_DEP_3)
	v_lshlrev_b64_e32 v[18:19], v18, v[12:13]
	v_lshlrev_b32_e32 v19, 24, v12
	v_lshl_add_u32 v2, v2, 23, 0x3c000000
	s_delay_alu instid0(VALU_DEP_2) | instskip(NEXT) | instid1(VALU_DEP_4)
	v_and_b32_e32 v19, 0x80000000, v19
	v_lshlrev_b32_e32 v18, 20, v18
	s_delay_alu instid0(VALU_DEP_1) | instskip(NEXT) | instid1(VALU_DEP_1)
	v_and_b32_e32 v18, 0x700000, v18
	v_or3_b32 v2, v18, v19, v2
.LBB2_356:                              ;   in Loop: Header=BB2_352 Depth=4
	s_or_b32 exec_lo, exec_lo, s75
.LBB2_357:                              ;   in Loop: Header=BB2_352 Depth=4
	s_delay_alu instid0(SALU_CYCLE_1)
	s_or_b32 exec_lo, exec_lo, s15
.LBB2_358:                              ;   in Loop: Header=BB2_352 Depth=4
	s_delay_alu instid0(SALU_CYCLE_1) | instskip(SKIP_4) | instid1(VALU_DEP_1)
	s_or_b32 exec_lo, exec_lo, s14
	s_wait_loadcnt 0x0
	v_and_b32_e32 v57, 0xff, v8
	s_mov_b32 s14, 0
	s_mov_b32 s15, exec_lo
	v_cmpx_lt_i16_e32 0x7f, v57
	s_xor_b32 s15, exec_lo, s15
	s_cbranch_execz .LBB2_393
; %bb.359:                              ;   in Loop: Header=BB2_352 Depth=4
	s_mov_b32 s14, -1
	s_mov_b32 s75, exec_lo
	v_cmpx_eq_u16_e32 0x80, v57
; %bb.360:                              ;   in Loop: Header=BB2_352 Depth=4
	s_xor_b32 s14, exec_lo, -1
; %bb.361:                              ;   in Loop: Header=BB2_352 Depth=4
	s_or_b32 exec_lo, exec_lo, s75
	s_delay_alu instid0(SALU_CYCLE_1)
	s_and_b32 s14, s14, exec_lo
                                        ; implicit-def: $vgpr57
	s_or_saveexec_b32 s15, s15
	v_bfrev_b32_e32 v56, 1
	s_xor_b32 exec_lo, exec_lo, s15
	s_cbranch_execnz .LBB2_394
.LBB2_362:                              ;   in Loop: Header=BB2_352 Depth=4
	s_or_b32 exec_lo, exec_lo, s15
	s_and_saveexec_b32 s15, s14
	s_cbranch_execz .LBB2_364
.LBB2_363:                              ;   in Loop: Header=BB2_352 Depth=4
	v_and_b32_e32 v18, 7, v8
	v_and_b32_e32 v56, 0x7f, v8
	v_bfe_u32 v19, v8, 3, 4
	s_delay_alu instid0(VALU_DEP_3) | instskip(NEXT) | instid1(VALU_DEP_3)
	v_clz_i32_u32_e32 v18, v18
	v_cmp_gt_u32_e64 s13, 8, v56
	s_delay_alu instid0(VALU_DEP_2) | instskip(NEXT) | instid1(VALU_DEP_1)
	v_min_u32_e32 v18, 32, v18
	v_subrev_nc_u32_e32 v57, 28, v18
	v_sub_nc_u32_e32 v18, 29, v18
	s_delay_alu instid0(VALU_DEP_1) | instskip(SKIP_1) | instid1(VALU_DEP_2)
	v_dual_cndmask_b32 v58, v19, v18, s13 :: v_dual_cndmask_b32 v18, 0, v57, s13
	v_cmp_ne_u32_e64 s13, 0x7f, v56
	v_lshl_add_u32 v57, v58, 23, 0x3c000000
	s_delay_alu instid0(VALU_DEP_3) | instskip(SKIP_1) | instid1(VALU_DEP_1)
	v_lshlrev_b64_e32 v[18:19], v18, v[8:9]
	v_lshlrev_b32_e32 v19, 24, v8
	v_and_b32_e32 v19, 0x80000000, v19
	s_delay_alu instid0(VALU_DEP_3) | instskip(NEXT) | instid1(VALU_DEP_1)
	v_lshlrev_b32_e32 v18, 20, v18
	v_and_b32_e32 v18, 0x700000, v18
	s_delay_alu instid0(VALU_DEP_1) | instskip(NEXT) | instid1(VALU_DEP_1)
	v_or3_b32 v18, v18, v19, v57
	v_cndmask_b32_e64 v56, 0x7f800001, v18, s13
.LBB2_364:                              ;   in Loop: Header=BB2_352 Depth=4
	s_or_b32 exec_lo, exec_lo, s15
	s_delay_alu instid0(VALU_DEP_1) | instskip(SKIP_1) | instid1(VALU_DEP_1)
	v_add_f32_e32 v56, v2, v56
                                        ; implicit-def: $vgpr90
	s_mov_b32 s14, exec_lo
	v_and_b32_e32 v2, 0x7f800000, v56
	v_lshrrev_b32_e32 v57, 24, v56
	s_delay_alu instid0(VALU_DEP_2)
	v_cmpx_ne_u64_e32 0x7f800000, v[2:3]
	s_xor_b32 s15, exec_lo, s14
	s_cbranch_execz .LBB2_378
; %bb.365:                              ;   in Loop: Header=BB2_352 Depth=4
	v_and_b32_e32 v2, 0x7fffffff, v56
	v_and_b32_e32 v60, 0x80, v57
                                        ; implicit-def: $vgpr90
	s_mov_b32 s14, exec_lo
	s_delay_alu instid0(VALU_DEP_2)
	v_cmpx_gt_u64_e32 0x43e00001, v[2:3]
	s_xor_b32 s75, exec_lo, s14
	s_cbranch_execz .LBB2_375
; %bb.366:                              ;   in Loop: Header=BB2_352 Depth=4
	v_mov_b32_e32 v90, 0
	s_mov_b32 s76, exec_lo
	v_cmpx_ne_u32_e32 0, v56
	s_cbranch_execz .LBB2_374
; %bb.367:                              ;   in Loop: Header=BB2_352 Depth=4
	v_bfe_u32 v61, v56, 23, 8
	s_delay_alu instid0(VALU_DEP_1) | instskip(SKIP_1) | instid1(VALU_DEP_1)
	v_sub_nc_u32_e32 v2, 0x79, v61
	v_cmp_gt_u32_e64 s13, 0x7a, v61
	v_cndmask_b32_e64 v2, 0, v2, s13
	v_cmp_eq_u32_e64 s13, 0, v61
	s_delay_alu instid0(VALU_DEP_1) | instskip(SKIP_1) | instid1(VALU_DEP_2)
	v_cndmask_b32_e64 v90, v2, 0x78, s13
	v_and_b32_e32 v2, 0x7fffff, v56
	v_dual_add_nc_u32 v18, 20, v90 :: v_dual_add_nc_u32 v57, 19, v90
	s_delay_alu instid0(VALU_DEP_2) | instskip(NEXT) | instid1(VALU_DEP_2)
	v_or_b32_e32 v56, 0x800000, v2
	v_lshlrev_b64_e64 v[18:19], v18, -1
	s_delay_alu instid0(VALU_DEP_3) | instskip(NEXT) | instid1(VALU_DEP_3)
	v_lshlrev_b64_e64 v[58:59], v57, 1
	v_cndmask_b32_e64 v2, v56, v2, s13
	s_delay_alu instid0(VALU_DEP_1) | instskip(NEXT) | instid1(VALU_DEP_4)
	v_lshrrev_b64 v[56:57], v90, v[2:3]
	v_bfi_b32 v19, v19, 0, 0
	v_bfi_b32 v18, v18, 0, v2
	s_delay_alu instid0(VALU_DEP_1) | instskip(NEXT) | instid1(VALU_DEP_4)
	v_cmp_eq_u64_e64 s14, v[18:19], v[58:59]
	v_mov_b64_e32 v[58:59], v[56:57]
	s_and_saveexec_b32 s77, s14
; %bb.368:                              ;   in Loop: Header=BB2_352 Depth=4
	v_bfe_u32 v2, v56, 20, 1
	s_delay_alu instid0(VALU_DEP_1) | instskip(NEXT) | instid1(VALU_DEP_1)
	v_add_nc_u64_e32 v[18:19], v[56:57], v[2:3]
	v_add_nc_u64_e32 v[58:59], -1, v[18:19]
; %bb.369:                              ;   in Loop: Header=BB2_352 Depth=4
	s_or_b32 exec_lo, exec_lo, s77
	v_add_nc_u32_e32 v2, 0xffffff81, v61
	v_lshrrev_b32_e32 v18, 23, v56
	s_mov_b32 s14, exec_lo
	s_delay_alu instid0(VALU_DEP_2) | instskip(NEXT) | instid1(VALU_DEP_1)
	v_cndmask_b32_e64 v2, v2, 0xffffff82, s13
	v_add3_u32 v59, v90, v2, v18
	v_and_b32_e32 v2, 0xfffff, v58
                                        ; implicit-def: $vgpr58
	s_delay_alu instid0(VALU_DEP_1) | instskip(NEXT) | instid1(VALU_DEP_1)
	v_dual_add_nc_u32 v61, 6, v59 :: v_dual_add_nc_u32 v2, v2, v56
                                        ; implicit-def: $vgpr56_vgpr57
	v_cmpx_ne_u32_e32 0, v61
	s_xor_b32 s14, exec_lo, s14
; %bb.370:                              ;   in Loop: Header=BB2_352 Depth=4
	s_delay_alu instid0(VALU_DEP_2) | instskip(SKIP_1) | instid1(VALU_DEP_1)
	v_cmp_lt_u64_e64 s13, 0xffffff, v[2:3]
	v_add_nc_u32_e32 v18, 7, v59
	v_cndmask_b32_e64 v58, v61, v18, s13
	v_cndmask_b32_e64 v18, 0, 1, s13
	s_delay_alu instid0(VALU_DEP_1)
	v_lshrrev_b64 v[56:57], v18, v[2:3]
; %bb.371:                              ;   in Loop: Header=BB2_352 Depth=4
	s_and_not1_saveexec_b32 s13, s14
; %bb.372:                              ;   in Loop: Header=BB2_352 Depth=4
	v_mov_b64_e32 v[56:57], v[2:3]
	v_bfe_u32 v58, v2, 23, 1
; %bb.373:                              ;   in Loop: Header=BB2_352 Depth=4
	s_or_b32 exec_lo, exec_lo, s13
	s_delay_alu instid0(VALU_DEP_2) | instskip(NEXT) | instid1(VALU_DEP_2)
	v_lshrrev_b64 v[18:19], 20, v[56:57]
	v_cmp_gt_i32_e64 s13, 16, v58
	v_min_i32_e32 v2, 15, v58
	v_cmp_eq_u32_e64 s14, 0, v58
	s_delay_alu instid0(VALU_DEP_2) | instskip(SKIP_1) | instid1(VALU_DEP_2)
	v_dual_cndmask_b32 v19, 0, v19, s13 :: v_dual_lshlrev_b32 v2, 3, v2
	v_cndmask_b32_e64 v18, 7, v18, s13
	v_and_b32_e32 v2, 0xf8, v2
	s_delay_alu instid0(VALU_DEP_2) | instskip(NEXT) | instid1(VALU_DEP_2)
	v_cmp_eq_u64_e64 s13, 0, v[18:19]
	v_and_or_b32 v2, v18, 7, v2
	s_and_b32 s13, s14, s13
	s_delay_alu instid0(VALU_DEP_1) | instid1(SALU_CYCLE_1)
	v_cndmask_b32_e64 v2, v2, 0, s13
	s_delay_alu instid0(VALU_DEP_1)
	v_or_b32_e32 v90, v2, v60
.LBB2_374:                              ;   in Loop: Header=BB2_352 Depth=4
	s_or_b32 exec_lo, exec_lo, s76
                                        ; implicit-def: $vgpr60
.LBB2_375:                              ;   in Loop: Header=BB2_352 Depth=4
	s_and_not1_saveexec_b32 s13, s75
; %bb.376:                              ;   in Loop: Header=BB2_352 Depth=4
	v_or_b32_e32 v90, 0x7e, v60
; %bb.377:                              ;   in Loop: Header=BB2_352 Depth=4
	s_or_b32 exec_lo, exec_lo, s13
                                        ; implicit-def: $vgpr57
.LBB2_378:                              ;   in Loop: Header=BB2_352 Depth=4
	s_and_not1_saveexec_b32 s13, s15
; %bb.379:                              ;   in Loop: Header=BB2_352 Depth=4
	v_or_b32_e32 v90, 0x7f, v57
; %bb.380:                              ;   in Loop: Header=BB2_352 Depth=4
	s_or_b32 exec_lo, exec_lo, s13
	v_lshrrev_b16 v2, 8, v12
	v_mov_b32_e32 v56, 0
	s_mov_b32 s14, exec_lo
	s_delay_alu instid0(VALU_DEP_2)
	v_cmpx_ne_u16_e32 0, v2
	s_cbranch_execz .LBB2_388
; %bb.381:                              ;   in Loop: Header=BB2_352 Depth=4
	v_bfrev_b32_e32 v56, 1
	s_mov_b32 s15, exec_lo
	v_cmpx_ne_u16_e32 0x80, v2
	s_cbranch_execz .LBB2_387
; %bb.382:                              ;   in Loop: Header=BB2_352 Depth=4
	v_and_b32_e32 v2, 0xffff, v2
	v_mov_b32_e32 v56, 0x7f800001
	s_mov_b32 s75, exec_lo
	s_delay_alu instid0(VALU_DEP_2) | instskip(NEXT) | instid1(VALU_DEP_1)
	v_and_b32_e32 v57, 0x7f, v2
	v_cmpx_ne_u32_e32 0x7f, v57
	s_cbranch_execz .LBB2_386
; %bb.383:                              ;   in Loop: Header=BB2_352 Depth=4
	v_dual_lshrrev_b32 v56, 3, v57 :: v_dual_bitop2_b32 v2, 7, v2 bitop3:0x40
	s_mov_b32 s76, exec_lo
	v_cmpx_gt_u32_e32 8, v57
; %bb.384:                              ;   in Loop: Header=BB2_352 Depth=4
	s_delay_alu instid0(VALU_DEP_2) | instskip(NEXT) | instid1(VALU_DEP_1)
	v_clz_i32_u32_e32 v18, v2
	v_min_u32_e32 v56, 32, v18
	s_delay_alu instid0(VALU_DEP_1) | instskip(NEXT) | instid1(VALU_DEP_1)
	v_subrev_nc_u32_e32 v18, 28, v56
	v_lshlrev_b64_e32 v[18:19], v18, v[2:3]
	s_delay_alu instid0(VALU_DEP_1)
	v_dual_sub_nc_u32 v56, 29, v56 :: v_dual_bitop2_b32 v2, 7, v18 bitop3:0x40
; %bb.385:                              ;   in Loop: Header=BB2_352 Depth=4
	s_or_b32 exec_lo, exec_lo, s76
	s_delay_alu instid0(VALU_DEP_1) | instskip(NEXT) | instid1(VALU_DEP_2)
	v_dual_lshlrev_b32 v18, 16, v12 :: v_dual_lshlrev_b32 v2, 20, v2
	v_lshl_add_u32 v19, v56, 23, 0x3c000000
	s_delay_alu instid0(VALU_DEP_2) | instskip(NEXT) | instid1(VALU_DEP_1)
	v_and_b32_e32 v18, 0x80000000, v18
	v_or3_b32 v56, v2, v18, v19
.LBB2_386:                              ;   in Loop: Header=BB2_352 Depth=4
	s_or_b32 exec_lo, exec_lo, s75
.LBB2_387:                              ;   in Loop: Header=BB2_352 Depth=4
	s_delay_alu instid0(SALU_CYCLE_1)
	s_or_b32 exec_lo, exec_lo, s15
.LBB2_388:                              ;   in Loop: Header=BB2_352 Depth=4
	s_delay_alu instid0(SALU_CYCLE_1) | instskip(SKIP_3) | instid1(VALU_DEP_1)
	s_or_b32 exec_lo, exec_lo, s14
	v_lshrrev_b16 v57, 8, v8
	s_mov_b32 s15, 0
	s_mov_b32 s14, exec_lo
	v_cmpx_lt_i16_e32 0x7f, v57
	s_xor_b32 s14, exec_lo, s14
	s_cbranch_execz .LBB2_395
; %bb.389:                              ;   in Loop: Header=BB2_352 Depth=4
	s_mov_b32 s15, -1
	s_mov_b32 s75, exec_lo
	v_cmpx_eq_u16_e32 0x80, v57
; %bb.390:                              ;   in Loop: Header=BB2_352 Depth=4
	s_xor_b32 s15, exec_lo, -1
; %bb.391:                              ;   in Loop: Header=BB2_352 Depth=4
	s_or_b32 exec_lo, exec_lo, s75
	s_delay_alu instid0(SALU_CYCLE_1)
	s_and_b32 s15, s15, exec_lo
	s_or_saveexec_b32 s14, s14
	v_bfrev_b32_e32 v58, 1
	s_xor_b32 exec_lo, exec_lo, s14
	s_cbranch_execnz .LBB2_396
.LBB2_392:                              ;   in Loop: Header=BB2_352 Depth=4
	s_or_b32 exec_lo, exec_lo, s14
	s_and_saveexec_b32 s14, s15
	s_cbranch_execnz .LBB2_397
	s_branch .LBB2_400
.LBB2_393:                              ;   in Loop: Header=BB2_352 Depth=4
	s_or_saveexec_b32 s15, s15
	v_bfrev_b32_e32 v56, 1
	s_xor_b32 exec_lo, exec_lo, s15
	s_cbranch_execz .LBB2_362
.LBB2_394:                              ;   in Loop: Header=BB2_352 Depth=4
	v_cmp_ne_u16_e64 s13, 0, v57
	v_mov_b32_e32 v56, 0
	s_and_not1_b32 s14, s14, exec_lo
	s_and_b32 s13, s13, exec_lo
	s_delay_alu instid0(SALU_CYCLE_1)
	s_or_b32 s14, s14, s13
	s_or_b32 exec_lo, exec_lo, s15
	s_and_saveexec_b32 s15, s14
	s_cbranch_execnz .LBB2_363
	s_branch .LBB2_364
.LBB2_395:                              ;   in Loop: Header=BB2_352 Depth=4
	s_or_saveexec_b32 s14, s14
	v_bfrev_b32_e32 v58, 1
	s_xor_b32 exec_lo, exec_lo, s14
	s_cbranch_execz .LBB2_392
.LBB2_396:                              ;   in Loop: Header=BB2_352 Depth=4
	v_cmp_ne_u16_e64 s13, 0, v57
	v_mov_b32_e32 v58, 0
	s_and_not1_b32 s15, s15, exec_lo
	s_and_b32 s13, s13, exec_lo
	s_delay_alu instid0(SALU_CYCLE_1)
	s_or_b32 s15, s15, s13
	s_or_b32 exec_lo, exec_lo, s14
	s_and_saveexec_b32 s14, s15
	s_cbranch_execz .LBB2_400
.LBB2_397:                              ;   in Loop: Header=BB2_352 Depth=4
	v_and_b32_e32 v2, 0xffff, v57
	v_mov_b32_e32 v58, 0x7f800001
	s_mov_b32 s15, exec_lo
	s_delay_alu instid0(VALU_DEP_2) | instskip(NEXT) | instid1(VALU_DEP_1)
	v_and_b32_e32 v59, 0x7f, v2
	v_cmpx_ne_u32_e32 0x7f, v59
	s_cbranch_execz .LBB2_399
; %bb.398:                              ;   in Loop: Header=BB2_352 Depth=4
	v_and_b32_e32 v58, 7, v2
	v_cmp_gt_u32_e64 s13, 8, v59
	s_delay_alu instid0(VALU_DEP_2) | instskip(NEXT) | instid1(VALU_DEP_1)
	v_clz_i32_u32_e32 v18, v58
	v_min_u32_e32 v60, 32, v18
	s_delay_alu instid0(VALU_DEP_1) | instskip(NEXT) | instid1(VALU_DEP_1)
	v_subrev_nc_u32_e32 v18, 28, v60
	v_lshlrev_b64_e32 v[18:19], v18, v[2:3]
	v_dual_lshrrev_b32 v2, 3, v59 :: v_dual_sub_nc_u32 v19, 29, v60
	s_delay_alu instid0(VALU_DEP_2) | instskip(NEXT) | instid1(VALU_DEP_2)
	v_dual_lshlrev_b32 v57, 24, v57 :: v_dual_bitop2_b32 v18, 7, v18 bitop3:0x40
	v_cndmask_b32_e64 v2, v2, v19, s13
	s_delay_alu instid0(VALU_DEP_2) | instskip(NEXT) | instid1(VALU_DEP_3)
	v_cndmask_b32_e64 v18, v58, v18, s13
	v_and_b32_e32 v19, 0x80000000, v57
	s_delay_alu instid0(VALU_DEP_3) | instskip(NEXT) | instid1(VALU_DEP_3)
	v_lshl_add_u32 v2, v2, 23, 0x3c000000
	v_lshlrev_b32_e32 v18, 20, v18
	s_delay_alu instid0(VALU_DEP_1)
	v_or3_b32 v58, v18, v19, v2
.LBB2_399:                              ;   in Loop: Header=BB2_352 Depth=4
	s_or_b32 exec_lo, exec_lo, s15
.LBB2_400:                              ;   in Loop: Header=BB2_352 Depth=4
	s_delay_alu instid0(SALU_CYCLE_1) | instskip(NEXT) | instid1(VALU_DEP_1)
	s_or_b32 exec_lo, exec_lo, s14
	v_add_f32_e32 v56, v56, v58
                                        ; implicit-def: $vgpr91
	s_mov_b32 s14, exec_lo
	s_delay_alu instid0(VALU_DEP_1) | instskip(SKIP_1) | instid1(VALU_DEP_2)
	v_and_b32_e32 v2, 0x7f800000, v56
	v_lshrrev_b32_e32 v57, 24, v56
	v_cmpx_ne_u64_e32 0x7f800000, v[2:3]
	s_xor_b32 s15, exec_lo, s14
	s_cbranch_execz .LBB2_414
; %bb.401:                              ;   in Loop: Header=BB2_352 Depth=4
	v_and_b32_e32 v2, 0x7fffffff, v56
	v_and_b32_e32 v60, 0x80, v57
                                        ; implicit-def: $vgpr91
	s_mov_b32 s14, exec_lo
	s_delay_alu instid0(VALU_DEP_2)
	v_cmpx_gt_u64_e32 0x43e00001, v[2:3]
	s_xor_b32 s75, exec_lo, s14
	s_cbranch_execz .LBB2_411
; %bb.402:                              ;   in Loop: Header=BB2_352 Depth=4
	v_mov_b32_e32 v91, 0
	s_mov_b32 s76, exec_lo
	v_cmpx_ne_u32_e32 0, v56
	s_cbranch_execz .LBB2_410
; %bb.403:                              ;   in Loop: Header=BB2_352 Depth=4
	v_bfe_u32 v61, v56, 23, 8
	s_delay_alu instid0(VALU_DEP_1) | instskip(SKIP_1) | instid1(VALU_DEP_1)
	v_sub_nc_u32_e32 v2, 0x79, v61
	v_cmp_gt_u32_e64 s13, 0x7a, v61
	v_cndmask_b32_e64 v2, 0, v2, s13
	v_cmp_eq_u32_e64 s13, 0, v61
	s_delay_alu instid0(VALU_DEP_1) | instskip(SKIP_1) | instid1(VALU_DEP_2)
	v_cndmask_b32_e64 v91, v2, 0x78, s13
	v_and_b32_e32 v2, 0x7fffff, v56
	v_add_nc_u32_e32 v18, 20, v91
	s_delay_alu instid0(VALU_DEP_2) | instskip(SKIP_1) | instid1(VALU_DEP_3)
	v_or_b32_e32 v56, 0x800000, v2
	v_add_nc_u32_e32 v57, 19, v91
	v_lshlrev_b64_e64 v[18:19], v18, -1
	s_delay_alu instid0(VALU_DEP_3) | instskip(NEXT) | instid1(VALU_DEP_3)
	v_cndmask_b32_e64 v2, v56, v2, s13
	v_lshlrev_b64_e64 v[58:59], v57, 1
	s_delay_alu instid0(VALU_DEP_2) | instskip(NEXT) | instid1(VALU_DEP_4)
	v_lshrrev_b64 v[56:57], v91, v[2:3]
	v_bfi_b32 v19, v19, 0, 0
	v_bfi_b32 v18, v18, 0, v2
	s_delay_alu instid0(VALU_DEP_1) | instskip(NEXT) | instid1(VALU_DEP_4)
	v_cmp_eq_u64_e64 s14, v[18:19], v[58:59]
	v_mov_b64_e32 v[58:59], v[56:57]
	s_and_saveexec_b32 s77, s14
; %bb.404:                              ;   in Loop: Header=BB2_352 Depth=4
	v_bfe_u32 v2, v56, 20, 1
	s_delay_alu instid0(VALU_DEP_1) | instskip(NEXT) | instid1(VALU_DEP_1)
	v_add_nc_u64_e32 v[18:19], v[56:57], v[2:3]
	v_add_nc_u64_e32 v[58:59], -1, v[18:19]
; %bb.405:                              ;   in Loop: Header=BB2_352 Depth=4
	s_or_b32 exec_lo, exec_lo, s77
	v_add_nc_u32_e32 v2, 0xffffff81, v61
	v_lshrrev_b32_e32 v18, 23, v56
	s_mov_b32 s14, exec_lo
	s_delay_alu instid0(VALU_DEP_2) | instskip(NEXT) | instid1(VALU_DEP_1)
	v_cndmask_b32_e64 v2, v2, 0xffffff82, s13
	v_add3_u32 v59, v91, v2, v18
	v_and_b32_e32 v2, 0xfffff, v58
                                        ; implicit-def: $vgpr58
	s_delay_alu instid0(VALU_DEP_1) | instskip(NEXT) | instid1(VALU_DEP_1)
	v_dual_add_nc_u32 v61, 6, v59 :: v_dual_add_nc_u32 v2, v2, v56
                                        ; implicit-def: $vgpr56_vgpr57
	v_cmpx_ne_u32_e32 0, v61
	s_xor_b32 s14, exec_lo, s14
; %bb.406:                              ;   in Loop: Header=BB2_352 Depth=4
	s_delay_alu instid0(VALU_DEP_2) | instskip(SKIP_1) | instid1(VALU_DEP_1)
	v_cmp_lt_u64_e64 s13, 0xffffff, v[2:3]
	v_add_nc_u32_e32 v18, 7, v59
	v_cndmask_b32_e64 v58, v61, v18, s13
	v_cndmask_b32_e64 v18, 0, 1, s13
	s_delay_alu instid0(VALU_DEP_1)
	v_lshrrev_b64 v[56:57], v18, v[2:3]
; %bb.407:                              ;   in Loop: Header=BB2_352 Depth=4
	s_and_not1_saveexec_b32 s13, s14
; %bb.408:                              ;   in Loop: Header=BB2_352 Depth=4
	v_mov_b64_e32 v[56:57], v[2:3]
	v_bfe_u32 v58, v2, 23, 1
; %bb.409:                              ;   in Loop: Header=BB2_352 Depth=4
	s_or_b32 exec_lo, exec_lo, s13
	s_delay_alu instid0(VALU_DEP_2) | instskip(NEXT) | instid1(VALU_DEP_2)
	v_lshrrev_b64 v[18:19], 20, v[56:57]
	v_cmp_gt_i32_e64 s13, 16, v58
	v_min_i32_e32 v2, 15, v58
	v_cmp_eq_u32_e64 s14, 0, v58
	s_delay_alu instid0(VALU_DEP_2) | instskip(SKIP_1) | instid1(VALU_DEP_2)
	v_dual_cndmask_b32 v19, 0, v19, s13 :: v_dual_lshlrev_b32 v2, 3, v2
	v_cndmask_b32_e64 v18, 7, v18, s13
	v_and_b32_e32 v2, 0xf8, v2
	s_delay_alu instid0(VALU_DEP_2) | instskip(NEXT) | instid1(VALU_DEP_2)
	v_cmp_eq_u64_e64 s13, 0, v[18:19]
	v_and_or_b32 v2, v18, 7, v2
	s_and_b32 s13, s14, s13
	s_delay_alu instid0(VALU_DEP_1) | instid1(SALU_CYCLE_1)
	v_cndmask_b32_e64 v2, v2, 0, s13
	s_delay_alu instid0(VALU_DEP_1)
	v_or_b32_e32 v91, v2, v60
.LBB2_410:                              ;   in Loop: Header=BB2_352 Depth=4
	s_or_b32 exec_lo, exec_lo, s76
                                        ; implicit-def: $vgpr60
.LBB2_411:                              ;   in Loop: Header=BB2_352 Depth=4
	s_and_not1_saveexec_b32 s13, s75
; %bb.412:                              ;   in Loop: Header=BB2_352 Depth=4
	v_or_b32_e32 v91, 0x7e, v60
; %bb.413:                              ;   in Loop: Header=BB2_352 Depth=4
	s_or_b32 exec_lo, exec_lo, s13
                                        ; implicit-def: $vgpr57
.LBB2_414:                              ;   in Loop: Header=BB2_352 Depth=4
	s_and_not1_saveexec_b32 s13, s15
; %bb.415:                              ;   in Loop: Header=BB2_352 Depth=4
	v_or_b32_e32 v91, 0x7f, v57
; %bb.416:                              ;   in Loop: Header=BB2_352 Depth=4
	s_or_b32 exec_lo, exec_lo, s13
	v_dual_mov_b32 v56, 0 :: v_dual_lshrrev_b32 v57, 16, v12
	s_mov_b32 s14, exec_lo
	s_delay_alu instid0(VALU_DEP_1) | instskip(NEXT) | instid1(VALU_DEP_1)
	v_and_b32_e32 v2, 0xff, v57
	v_cmpx_ne_u16_e32 0, v2
	s_cbranch_execz .LBB2_424
; %bb.417:                              ;   in Loop: Header=BB2_352 Depth=4
	v_bfrev_b32_e32 v56, 1
	s_mov_b32 s15, exec_lo
	v_cmpx_ne_u16_e32 0x80, v2
	s_cbranch_execz .LBB2_423
; %bb.418:                              ;   in Loop: Header=BB2_352 Depth=4
	v_bfe_u32 v58, v12, 16, 7
	v_mov_b32_e32 v56, 0x7f800001
	s_mov_b32 s75, exec_lo
	s_delay_alu instid0(VALU_DEP_2)
	v_cmpx_ne_u32_e32 0x7f, v58
	s_cbranch_execz .LBB2_422
; %bb.419:                              ;   in Loop: Header=BB2_352 Depth=4
	v_dual_lshrrev_b32 v56, 3, v58 :: v_dual_bitop2_b32 v2, 7, v57 bitop3:0x40
	s_mov_b32 s76, exec_lo
	v_cmpx_gt_u32_e32 8, v58
; %bb.420:                              ;   in Loop: Header=BB2_352 Depth=4
	s_delay_alu instid0(VALU_DEP_2) | instskip(NEXT) | instid1(VALU_DEP_1)
	v_clz_i32_u32_e32 v18, v2
	v_min_u32_e32 v56, 32, v18
	s_delay_alu instid0(VALU_DEP_1) | instskip(NEXT) | instid1(VALU_DEP_1)
	v_subrev_nc_u32_e32 v18, 28, v56
	v_lshlrev_b64_e32 v[18:19], v18, v[2:3]
	s_delay_alu instid0(VALU_DEP_1)
	v_dual_sub_nc_u32 v56, 29, v56 :: v_dual_bitop2_b32 v2, 7, v18 bitop3:0x40
; %bb.421:                              ;   in Loop: Header=BB2_352 Depth=4
	s_or_b32 exec_lo, exec_lo, s76
	s_delay_alu instid0(VALU_DEP_1) | instskip(NEXT) | instid1(VALU_DEP_2)
	v_dual_lshlrev_b32 v18, 24, v57 :: v_dual_lshlrev_b32 v2, 20, v2
	v_lshl_add_u32 v19, v56, 23, 0x3c000000
	s_delay_alu instid0(VALU_DEP_2) | instskip(NEXT) | instid1(VALU_DEP_1)
	v_and_b32_e32 v18, 0x80000000, v18
	v_or3_b32 v56, v2, v18, v19
.LBB2_422:                              ;   in Loop: Header=BB2_352 Depth=4
	s_or_b32 exec_lo, exec_lo, s75
.LBB2_423:                              ;   in Loop: Header=BB2_352 Depth=4
	s_delay_alu instid0(SALU_CYCLE_1)
	s_or_b32 exec_lo, exec_lo, s15
.LBB2_424:                              ;   in Loop: Header=BB2_352 Depth=4
	s_delay_alu instid0(SALU_CYCLE_1) | instskip(SKIP_3) | instid1(VALU_DEP_1)
	s_or_b32 exec_lo, exec_lo, s14
	v_lshrrev_b32_e32 v2, 16, v8
	s_mov_b32 s15, 0
	s_mov_b32 s14, exec_lo
	v_and_b32_e32 v58, 0xff, v2
	s_delay_alu instid0(VALU_DEP_1)
	v_cmpx_lt_i16_e32 0x7f, v58
	s_xor_b32 s14, exec_lo, s14
	s_cbranch_execz .LBB2_429
; %bb.425:                              ;   in Loop: Header=BB2_352 Depth=4
	s_mov_b32 s15, -1
	s_mov_b32 s75, exec_lo
	v_cmpx_eq_u16_e32 0x80, v58
; %bb.426:                              ;   in Loop: Header=BB2_352 Depth=4
	s_xor_b32 s15, exec_lo, -1
; %bb.427:                              ;   in Loop: Header=BB2_352 Depth=4
	s_or_b32 exec_lo, exec_lo, s75
	s_delay_alu instid0(SALU_CYCLE_1)
	s_and_b32 s15, s15, exec_lo
                                        ; implicit-def: $vgpr58
	s_or_saveexec_b32 s14, s14
	v_bfrev_b32_e32 v57, 1
	s_xor_b32 exec_lo, exec_lo, s14
	s_cbranch_execnz .LBB2_430
.LBB2_428:                              ;   in Loop: Header=BB2_352 Depth=4
	s_or_b32 exec_lo, exec_lo, s14
	s_and_saveexec_b32 s14, s15
	s_cbranch_execnz .LBB2_431
	s_branch .LBB2_434
.LBB2_429:                              ;   in Loop: Header=BB2_352 Depth=4
	s_or_saveexec_b32 s14, s14
	v_bfrev_b32_e32 v57, 1
	s_xor_b32 exec_lo, exec_lo, s14
	s_cbranch_execz .LBB2_428
.LBB2_430:                              ;   in Loop: Header=BB2_352 Depth=4
	v_cmp_ne_u16_e64 s13, 0, v58
	v_mov_b32_e32 v57, 0
	s_and_not1_b32 s15, s15, exec_lo
	s_and_b32 s13, s13, exec_lo
	s_delay_alu instid0(SALU_CYCLE_1)
	s_or_b32 s15, s15, s13
	s_or_b32 exec_lo, exec_lo, s14
	s_and_saveexec_b32 s14, s15
	s_cbranch_execz .LBB2_434
.LBB2_431:                              ;   in Loop: Header=BB2_352 Depth=4
	v_and_b32_e32 v58, 0x7f, v2
	v_mov_b32_e32 v57, 0x7f800001
	s_mov_b32 s15, exec_lo
	s_delay_alu instid0(VALU_DEP_2)
	v_cmpx_ne_u32_e32 0x7f, v58
	s_cbranch_execz .LBB2_433
; %bb.432:                              ;   in Loop: Header=BB2_352 Depth=4
	v_and_b32_e32 v57, 7, v2
	v_cmp_gt_u32_e64 s13, 8, v58
	s_delay_alu instid0(VALU_DEP_2) | instskip(NEXT) | instid1(VALU_DEP_1)
	v_clz_i32_u32_e32 v18, v57
	v_min_u32_e32 v59, 32, v18
	s_delay_alu instid0(VALU_DEP_1) | instskip(SKIP_1) | instid1(VALU_DEP_2)
	v_subrev_nc_u32_e32 v18, 28, v59
	v_sub_nc_u32_e32 v59, 29, v59
	v_lshlrev_b64_e32 v[18:19], v18, v[2:3]
	v_lshrrev_b32_e32 v19, 3, v58
	s_delay_alu instid0(VALU_DEP_1) | instskip(NEXT) | instid1(VALU_DEP_3)
	v_dual_lshlrev_b32 v2, 24, v2 :: v_dual_cndmask_b32 v19, v19, v59, s13
	v_and_b32_e32 v18, 7, v18
	s_delay_alu instid0(VALU_DEP_2) | instskip(NEXT) | instid1(VALU_DEP_3)
	v_and_b32_e32 v2, 0x80000000, v2
	v_lshl_add_u32 v19, v19, 23, 0x3c000000
	s_delay_alu instid0(VALU_DEP_3) | instskip(NEXT) | instid1(VALU_DEP_1)
	v_cndmask_b32_e64 v18, v57, v18, s13
	v_lshlrev_b32_e32 v18, 20, v18
	s_delay_alu instid0(VALU_DEP_1)
	v_or3_b32 v57, v18, v2, v19
.LBB2_433:                              ;   in Loop: Header=BB2_352 Depth=4
	s_or_b32 exec_lo, exec_lo, s15
.LBB2_434:                              ;   in Loop: Header=BB2_352 Depth=4
	s_delay_alu instid0(SALU_CYCLE_1) | instskip(NEXT) | instid1(VALU_DEP_1)
	s_or_b32 exec_lo, exec_lo, s14
	v_add_f32_e32 v56, v56, v57
                                        ; implicit-def: $vgpr92
	s_mov_b32 s14, exec_lo
	s_delay_alu instid0(VALU_DEP_1) | instskip(SKIP_1) | instid1(VALU_DEP_2)
	v_and_b32_e32 v2, 0x7f800000, v56
	v_lshrrev_b32_e32 v57, 24, v56
	v_cmpx_ne_u64_e32 0x7f800000, v[2:3]
	s_xor_b32 s15, exec_lo, s14
	s_cbranch_execz .LBB2_448
; %bb.435:                              ;   in Loop: Header=BB2_352 Depth=4
	v_and_b32_e32 v2, 0x7fffffff, v56
	v_and_b32_e32 v60, 0x80, v57
                                        ; implicit-def: $vgpr92
	s_mov_b32 s14, exec_lo
	s_delay_alu instid0(VALU_DEP_2)
	v_cmpx_gt_u64_e32 0x43e00001, v[2:3]
	s_xor_b32 s75, exec_lo, s14
	s_cbranch_execz .LBB2_445
; %bb.436:                              ;   in Loop: Header=BB2_352 Depth=4
	v_mov_b32_e32 v92, 0
	s_mov_b32 s76, exec_lo
	v_cmpx_ne_u32_e32 0, v56
	s_cbranch_execz .LBB2_444
; %bb.437:                              ;   in Loop: Header=BB2_352 Depth=4
	v_bfe_u32 v61, v56, 23, 8
	s_delay_alu instid0(VALU_DEP_1) | instskip(SKIP_1) | instid1(VALU_DEP_1)
	v_sub_nc_u32_e32 v2, 0x79, v61
	v_cmp_gt_u32_e64 s13, 0x7a, v61
	v_cndmask_b32_e64 v2, 0, v2, s13
	v_cmp_eq_u32_e64 s13, 0, v61
	s_delay_alu instid0(VALU_DEP_1) | instskip(SKIP_1) | instid1(VALU_DEP_2)
	v_cndmask_b32_e64 v92, v2, 0x78, s13
	v_and_b32_e32 v2, 0x7fffff, v56
	v_add_nc_u32_e32 v18, 20, v92
	s_delay_alu instid0(VALU_DEP_2) | instskip(SKIP_1) | instid1(VALU_DEP_3)
	v_or_b32_e32 v56, 0x800000, v2
	v_add_nc_u32_e32 v57, 19, v92
	v_lshlrev_b64_e64 v[18:19], v18, -1
	s_delay_alu instid0(VALU_DEP_3) | instskip(NEXT) | instid1(VALU_DEP_3)
	v_cndmask_b32_e64 v2, v56, v2, s13
	v_lshlrev_b64_e64 v[58:59], v57, 1
	s_delay_alu instid0(VALU_DEP_2) | instskip(NEXT) | instid1(VALU_DEP_4)
	v_lshrrev_b64 v[56:57], v92, v[2:3]
	v_bfi_b32 v19, v19, 0, 0
	v_bfi_b32 v18, v18, 0, v2
	s_delay_alu instid0(VALU_DEP_1) | instskip(NEXT) | instid1(VALU_DEP_4)
	v_cmp_eq_u64_e64 s14, v[18:19], v[58:59]
	v_mov_b64_e32 v[58:59], v[56:57]
	s_and_saveexec_b32 s77, s14
; %bb.438:                              ;   in Loop: Header=BB2_352 Depth=4
	v_bfe_u32 v2, v56, 20, 1
	s_delay_alu instid0(VALU_DEP_1) | instskip(NEXT) | instid1(VALU_DEP_1)
	v_add_nc_u64_e32 v[18:19], v[56:57], v[2:3]
	v_add_nc_u64_e32 v[58:59], -1, v[18:19]
; %bb.439:                              ;   in Loop: Header=BB2_352 Depth=4
	s_or_b32 exec_lo, exec_lo, s77
	v_add_nc_u32_e32 v2, 0xffffff81, v61
	v_lshrrev_b32_e32 v18, 23, v56
	s_mov_b32 s14, exec_lo
	s_delay_alu instid0(VALU_DEP_2) | instskip(NEXT) | instid1(VALU_DEP_1)
	v_cndmask_b32_e64 v2, v2, 0xffffff82, s13
	v_add3_u32 v59, v92, v2, v18
	v_and_b32_e32 v2, 0xfffff, v58
                                        ; implicit-def: $vgpr58
	s_delay_alu instid0(VALU_DEP_1) | instskip(NEXT) | instid1(VALU_DEP_1)
	v_dual_add_nc_u32 v61, 6, v59 :: v_dual_add_nc_u32 v2, v2, v56
                                        ; implicit-def: $vgpr56_vgpr57
	v_cmpx_ne_u32_e32 0, v61
	s_xor_b32 s14, exec_lo, s14
; %bb.440:                              ;   in Loop: Header=BB2_352 Depth=4
	s_delay_alu instid0(VALU_DEP_2) | instskip(SKIP_1) | instid1(VALU_DEP_1)
	v_cmp_lt_u64_e64 s13, 0xffffff, v[2:3]
	v_add_nc_u32_e32 v18, 7, v59
	v_cndmask_b32_e64 v58, v61, v18, s13
	v_cndmask_b32_e64 v18, 0, 1, s13
	s_delay_alu instid0(VALU_DEP_1)
	v_lshrrev_b64 v[56:57], v18, v[2:3]
; %bb.441:                              ;   in Loop: Header=BB2_352 Depth=4
	s_and_not1_saveexec_b32 s13, s14
; %bb.442:                              ;   in Loop: Header=BB2_352 Depth=4
	v_mov_b64_e32 v[56:57], v[2:3]
	v_bfe_u32 v58, v2, 23, 1
; %bb.443:                              ;   in Loop: Header=BB2_352 Depth=4
	s_or_b32 exec_lo, exec_lo, s13
	s_delay_alu instid0(VALU_DEP_2) | instskip(NEXT) | instid1(VALU_DEP_2)
	v_lshrrev_b64 v[18:19], 20, v[56:57]
	v_cmp_gt_i32_e64 s13, 16, v58
	v_min_i32_e32 v2, 15, v58
	v_cmp_eq_u32_e64 s14, 0, v58
	s_delay_alu instid0(VALU_DEP_2) | instskip(SKIP_1) | instid1(VALU_DEP_2)
	v_dual_cndmask_b32 v19, 0, v19, s13 :: v_dual_lshlrev_b32 v2, 3, v2
	v_cndmask_b32_e64 v18, 7, v18, s13
	v_and_b32_e32 v2, 0xf8, v2
	s_delay_alu instid0(VALU_DEP_2) | instskip(NEXT) | instid1(VALU_DEP_2)
	v_cmp_eq_u64_e64 s13, 0, v[18:19]
	v_and_or_b32 v2, v18, 7, v2
	s_and_b32 s13, s14, s13
	s_delay_alu instid0(VALU_DEP_1) | instid1(SALU_CYCLE_1)
	v_cndmask_b32_e64 v2, v2, 0, s13
	s_delay_alu instid0(VALU_DEP_1)
	v_or_b32_e32 v92, v2, v60
.LBB2_444:                              ;   in Loop: Header=BB2_352 Depth=4
	s_or_b32 exec_lo, exec_lo, s76
                                        ; implicit-def: $vgpr60
.LBB2_445:                              ;   in Loop: Header=BB2_352 Depth=4
	s_and_not1_saveexec_b32 s13, s75
; %bb.446:                              ;   in Loop: Header=BB2_352 Depth=4
	v_or_b32_e32 v92, 0x7e, v60
; %bb.447:                              ;   in Loop: Header=BB2_352 Depth=4
	s_or_b32 exec_lo, exec_lo, s13
                                        ; implicit-def: $vgpr57
.LBB2_448:                              ;   in Loop: Header=BB2_352 Depth=4
	s_and_not1_saveexec_b32 s13, s15
; %bb.449:                              ;   in Loop: Header=BB2_352 Depth=4
	v_or_b32_e32 v92, 0x7f, v57
; %bb.450:                              ;   in Loop: Header=BB2_352 Depth=4
	s_or_b32 exec_lo, exec_lo, s13
	v_mov_b32_e32 v56, 0
	s_mov_b32 s14, exec_lo
	v_cmpx_lt_u32_e32 0xffffff, v12
	s_cbranch_execz .LBB2_458
; %bb.451:                              ;   in Loop: Header=BB2_352 Depth=4
	v_lshrrev_b32_e32 v57, 24, v12
	v_bfrev_b32_e32 v56, 1
	s_mov_b32 s15, exec_lo
	s_delay_alu instid0(VALU_DEP_2)
	v_cmpx_ne_u32_e32 0x80, v57
	s_cbranch_execz .LBB2_457
; %bb.452:                              ;   in Loop: Header=BB2_352 Depth=4
	v_bfe_u32 v58, v12, 24, 7
	v_mov_b32_e32 v56, 0x7f800001
	s_mov_b32 s75, exec_lo
	s_delay_alu instid0(VALU_DEP_2)
	v_cmpx_ne_u32_e32 0x7f, v58
	s_cbranch_execz .LBB2_456
; %bb.453:                              ;   in Loop: Header=BB2_352 Depth=4
	v_dual_lshrrev_b32 v56, 3, v58 :: v_dual_bitop2_b32 v2, 7, v57 bitop3:0x40
	s_mov_b32 s76, exec_lo
	v_cmpx_gt_u32_e32 8, v58
; %bb.454:                              ;   in Loop: Header=BB2_352 Depth=4
	s_delay_alu instid0(VALU_DEP_2) | instskip(NEXT) | instid1(VALU_DEP_1)
	v_clz_i32_u32_e32 v18, v2
	v_min_u32_e32 v56, 32, v18
	s_delay_alu instid0(VALU_DEP_1) | instskip(NEXT) | instid1(VALU_DEP_1)
	v_subrev_nc_u32_e32 v18, 28, v56
	v_lshlrev_b64_e32 v[18:19], v18, v[2:3]
	s_delay_alu instid0(VALU_DEP_1)
	v_dual_sub_nc_u32 v56, 29, v56 :: v_dual_bitop2_b32 v2, 7, v18 bitop3:0x40
; %bb.455:                              ;   in Loop: Header=BB2_352 Depth=4
	s_or_b32 exec_lo, exec_lo, s76
	s_delay_alu instid0(VALU_DEP_1) | instskip(NEXT) | instid1(VALU_DEP_2)
	v_dual_lshlrev_b32 v18, 24, v57 :: v_dual_lshlrev_b32 v2, 20, v2
	v_lshl_add_u32 v19, v56, 23, 0x3c000000
	s_delay_alu instid0(VALU_DEP_2) | instskip(NEXT) | instid1(VALU_DEP_1)
	v_and_b32_e32 v18, 0x80000000, v18
	v_or3_b32 v56, v2, v18, v19
.LBB2_456:                              ;   in Loop: Header=BB2_352 Depth=4
	s_or_b32 exec_lo, exec_lo, s75
.LBB2_457:                              ;   in Loop: Header=BB2_352 Depth=4
	s_delay_alu instid0(SALU_CYCLE_1)
	s_or_b32 exec_lo, exec_lo, s15
.LBB2_458:                              ;   in Loop: Header=BB2_352 Depth=4
	s_delay_alu instid0(SALU_CYCLE_1) | instskip(SKIP_3) | instid1(VALU_DEP_3)
	s_or_b32 exec_lo, exec_lo, s14
	v_lshrrev_b32_e32 v2, 24, v8
	v_bfe_u32 v57, v8, 24, 7
	v_cmp_gt_u32_e64 s15, 0x1000000, v8
	v_cmp_eq_u32_e64 s13, 0x80, v2
	s_delay_alu instid0(VALU_DEP_3) | instskip(NEXT) | instid1(VALU_DEP_2)
	v_cmp_eq_u32_e64 s14, 0x7f, v57
	v_cndmask_b32_e64 v18, 0x7f800001, v77, s13
	s_or_b32 s13, s13, s14
	s_delay_alu instid0(SALU_CYCLE_1) | instskip(NEXT) | instid1(VALU_DEP_1)
	s_nor_b32 s13, s15, s13
	v_cndmask_b32_e64 v58, v18, 0, s15
	s_and_saveexec_b32 s14, s13
	s_cbranch_execz .LBB2_460
; %bb.459:                              ;   in Loop: Header=BB2_352 Depth=4
	v_and_b32_e32 v58, 7, v2
	v_cmp_gt_u32_e64 s13, 8, v57
	s_delay_alu instid0(VALU_DEP_2) | instskip(NEXT) | instid1(VALU_DEP_1)
	v_clz_i32_u32_e32 v18, v58
	v_min_u32_e32 v59, 32, v18
	s_delay_alu instid0(VALU_DEP_1) | instskip(NEXT) | instid1(VALU_DEP_1)
	v_subrev_nc_u32_e32 v18, 28, v59
	v_lshlrev_b64_e32 v[18:19], v18, v[2:3]
	v_dual_lshrrev_b32 v19, 3, v57 :: v_dual_sub_nc_u32 v59, 29, v59
	s_delay_alu instid0(VALU_DEP_2) | instskip(NEXT) | instid1(VALU_DEP_2)
	v_and_b32_e32 v18, 7, v18
	v_dual_lshlrev_b32 v2, 24, v2 :: v_dual_cndmask_b32 v19, v19, v59, s13
	s_delay_alu instid0(VALU_DEP_2) | instskip(NEXT) | instid1(VALU_DEP_2)
	v_cndmask_b32_e64 v18, v58, v18, s13
	v_and_b32_e32 v2, 0x80000000, v2
	s_delay_alu instid0(VALU_DEP_3) | instskip(NEXT) | instid1(VALU_DEP_3)
	v_lshl_add_u32 v19, v19, 23, 0x3c000000
	v_lshlrev_b32_e32 v18, 20, v18
	s_delay_alu instid0(VALU_DEP_1)
	v_or3_b32 v58, v18, v2, v19
.LBB2_460:                              ;   in Loop: Header=BB2_352 Depth=4
	s_or_b32 exec_lo, exec_lo, s14
	s_delay_alu instid0(VALU_DEP_1) | instskip(SKIP_1) | instid1(VALU_DEP_1)
	v_add_f32_e32 v56, v56, v58
                                        ; implicit-def: $vgpr93
	s_mov_b32 s14, exec_lo
	v_and_b32_e32 v2, 0x7f800000, v56
	v_lshrrev_b32_e32 v57, 24, v56
	s_delay_alu instid0(VALU_DEP_2)
	v_cmpx_ne_u64_e32 0x7f800000, v[2:3]
	s_xor_b32 s15, exec_lo, s14
	s_cbranch_execz .LBB2_474
; %bb.461:                              ;   in Loop: Header=BB2_352 Depth=4
	v_and_b32_e32 v2, 0x7fffffff, v56
	v_and_b32_e32 v60, 0x80, v57
                                        ; implicit-def: $vgpr93
	s_mov_b32 s14, exec_lo
	s_delay_alu instid0(VALU_DEP_2)
	v_cmpx_gt_u64_e32 0x43e00001, v[2:3]
	s_xor_b32 s75, exec_lo, s14
	s_cbranch_execz .LBB2_471
; %bb.462:                              ;   in Loop: Header=BB2_352 Depth=4
	v_mov_b32_e32 v93, 0
	s_mov_b32 s76, exec_lo
	v_cmpx_ne_u32_e32 0, v56
	s_cbranch_execz .LBB2_470
; %bb.463:                              ;   in Loop: Header=BB2_352 Depth=4
	v_bfe_u32 v61, v56, 23, 8
	s_delay_alu instid0(VALU_DEP_1) | instskip(SKIP_1) | instid1(VALU_DEP_1)
	v_sub_nc_u32_e32 v2, 0x79, v61
	v_cmp_gt_u32_e64 s13, 0x7a, v61
	v_cndmask_b32_e64 v2, 0, v2, s13
	v_cmp_eq_u32_e64 s13, 0, v61
	s_delay_alu instid0(VALU_DEP_1) | instskip(SKIP_1) | instid1(VALU_DEP_2)
	v_cndmask_b32_e64 v93, v2, 0x78, s13
	v_and_b32_e32 v2, 0x7fffff, v56
	v_add_nc_u32_e32 v18, 20, v93
	s_delay_alu instid0(VALU_DEP_2) | instskip(SKIP_1) | instid1(VALU_DEP_3)
	v_or_b32_e32 v56, 0x800000, v2
	v_add_nc_u32_e32 v57, 19, v93
	v_lshlrev_b64_e64 v[18:19], v18, -1
	s_delay_alu instid0(VALU_DEP_3) | instskip(NEXT) | instid1(VALU_DEP_3)
	v_cndmask_b32_e64 v2, v56, v2, s13
	v_lshlrev_b64_e64 v[58:59], v57, 1
	s_delay_alu instid0(VALU_DEP_2) | instskip(NEXT) | instid1(VALU_DEP_4)
	v_lshrrev_b64 v[56:57], v93, v[2:3]
	v_bfi_b32 v19, v19, 0, 0
	v_bfi_b32 v18, v18, 0, v2
	s_delay_alu instid0(VALU_DEP_1) | instskip(NEXT) | instid1(VALU_DEP_4)
	v_cmp_eq_u64_e64 s14, v[18:19], v[58:59]
	v_mov_b64_e32 v[58:59], v[56:57]
	s_and_saveexec_b32 s77, s14
; %bb.464:                              ;   in Loop: Header=BB2_352 Depth=4
	v_bfe_u32 v2, v56, 20, 1
	s_delay_alu instid0(VALU_DEP_1) | instskip(NEXT) | instid1(VALU_DEP_1)
	v_add_nc_u64_e32 v[18:19], v[56:57], v[2:3]
	v_add_nc_u64_e32 v[58:59], -1, v[18:19]
; %bb.465:                              ;   in Loop: Header=BB2_352 Depth=4
	s_or_b32 exec_lo, exec_lo, s77
	v_add_nc_u32_e32 v2, 0xffffff81, v61
	v_lshrrev_b32_e32 v18, 23, v56
	s_mov_b32 s14, exec_lo
	s_delay_alu instid0(VALU_DEP_2) | instskip(NEXT) | instid1(VALU_DEP_1)
	v_cndmask_b32_e64 v2, v2, 0xffffff82, s13
	v_add3_u32 v59, v93, v2, v18
	v_and_b32_e32 v2, 0xfffff, v58
                                        ; implicit-def: $vgpr58
	s_delay_alu instid0(VALU_DEP_1) | instskip(NEXT) | instid1(VALU_DEP_1)
	v_dual_add_nc_u32 v61, 6, v59 :: v_dual_add_nc_u32 v2, v2, v56
                                        ; implicit-def: $vgpr56_vgpr57
	v_cmpx_ne_u32_e32 0, v61
	s_xor_b32 s14, exec_lo, s14
; %bb.466:                              ;   in Loop: Header=BB2_352 Depth=4
	s_delay_alu instid0(VALU_DEP_2) | instskip(SKIP_1) | instid1(VALU_DEP_1)
	v_cmp_lt_u64_e64 s13, 0xffffff, v[2:3]
	v_add_nc_u32_e32 v18, 7, v59
	v_cndmask_b32_e64 v58, v61, v18, s13
	v_cndmask_b32_e64 v18, 0, 1, s13
	s_delay_alu instid0(VALU_DEP_1)
	v_lshrrev_b64 v[56:57], v18, v[2:3]
; %bb.467:                              ;   in Loop: Header=BB2_352 Depth=4
	s_and_not1_saveexec_b32 s13, s14
; %bb.468:                              ;   in Loop: Header=BB2_352 Depth=4
	v_mov_b64_e32 v[56:57], v[2:3]
	v_bfe_u32 v58, v2, 23, 1
; %bb.469:                              ;   in Loop: Header=BB2_352 Depth=4
	s_or_b32 exec_lo, exec_lo, s13
	s_delay_alu instid0(VALU_DEP_2) | instskip(NEXT) | instid1(VALU_DEP_2)
	v_lshrrev_b64 v[18:19], 20, v[56:57]
	v_cmp_gt_i32_e64 s13, 16, v58
	v_min_i32_e32 v2, 15, v58
	v_cmp_eq_u32_e64 s14, 0, v58
	s_delay_alu instid0(VALU_DEP_2) | instskip(SKIP_1) | instid1(VALU_DEP_2)
	v_dual_cndmask_b32 v19, 0, v19, s13 :: v_dual_lshlrev_b32 v2, 3, v2
	v_cndmask_b32_e64 v18, 7, v18, s13
	v_and_b32_e32 v2, 0xf8, v2
	s_delay_alu instid0(VALU_DEP_2) | instskip(NEXT) | instid1(VALU_DEP_2)
	v_cmp_eq_u64_e64 s13, 0, v[18:19]
	v_and_or_b32 v2, v18, 7, v2
	s_and_b32 s13, s14, s13
	s_delay_alu instid0(VALU_DEP_1) | instid1(SALU_CYCLE_1)
	v_cndmask_b32_e64 v2, v2, 0, s13
	s_delay_alu instid0(VALU_DEP_1)
	v_or_b32_e32 v93, v2, v60
.LBB2_470:                              ;   in Loop: Header=BB2_352 Depth=4
	s_or_b32 exec_lo, exec_lo, s76
                                        ; implicit-def: $vgpr60
.LBB2_471:                              ;   in Loop: Header=BB2_352 Depth=4
	s_and_not1_saveexec_b32 s13, s75
; %bb.472:                              ;   in Loop: Header=BB2_352 Depth=4
	v_or_b32_e32 v93, 0x7e, v60
; %bb.473:                              ;   in Loop: Header=BB2_352 Depth=4
	s_or_b32 exec_lo, exec_lo, s13
                                        ; implicit-def: $vgpr57
.LBB2_474:                              ;   in Loop: Header=BB2_352 Depth=4
	s_and_not1_saveexec_b32 s13, s15
; %bb.475:                              ;   in Loop: Header=BB2_352 Depth=4
	v_or_b32_e32 v93, 0x7f, v57
; %bb.476:                              ;   in Loop: Header=BB2_352 Depth=4
	s_or_b32 exec_lo, exec_lo, s13
	v_and_b32_e32 v56, 0xff, v13
	v_dual_mov_b32 v2, v13 :: v_dual_mov_b32 v58, 0
	s_mov_b32 s14, exec_lo
	s_delay_alu instid0(VALU_DEP_2)
	v_cmpx_ne_u16_e32 0, v56
	s_cbranch_execz .LBB2_482
; %bb.477:                              ;   in Loop: Header=BB2_352 Depth=4
	v_bfrev_b32_e32 v58, 1
	s_mov_b32 s15, exec_lo
	v_cmpx_ne_u16_e32 0x80, v56
	s_cbranch_execz .LBB2_481
; %bb.478:                              ;   in Loop: Header=BB2_352 Depth=4
	v_and_b32_e32 v56, 0x7f, v13
	v_mov_b32_e32 v58, 0x7f800001
	s_mov_b32 s75, exec_lo
	s_delay_alu instid0(VALU_DEP_2)
	v_cmpx_ne_u32_e32 0x7f, v56
	s_cbranch_execz .LBB2_480
; %bb.479:                              ;   in Loop: Header=BB2_352 Depth=4
	v_dual_lshrrev_b32 v19, 3, v56 :: v_dual_bitop2_b32 v18, 7, v13 bitop3:0x40
	v_cmp_gt_u32_e64 s13, 8, v56
	s_delay_alu instid0(VALU_DEP_2) | instskip(NEXT) | instid1(VALU_DEP_1)
	v_clz_i32_u32_e32 v18, v18
	v_min_u32_e32 v18, 32, v18
	s_delay_alu instid0(VALU_DEP_1) | instskip(SKIP_1) | instid1(VALU_DEP_1)
	v_subrev_nc_u32_e32 v57, 28, v18
	v_sub_nc_u32_e32 v18, 29, v18
	v_dual_cndmask_b32 v56, v19, v18, s13 :: v_dual_cndmask_b32 v18, 0, v57, s13
	s_delay_alu instid0(VALU_DEP_1) | instskip(NEXT) | instid1(VALU_DEP_2)
	v_lshl_add_u32 v56, v56, 23, 0x3c000000
	v_lshlrev_b64_e32 v[18:19], v18, v[2:3]
	v_lshlrev_b32_e32 v19, 24, v2
	s_delay_alu instid0(VALU_DEP_1) | instskip(NEXT) | instid1(VALU_DEP_3)
	v_and_b32_e32 v19, 0x80000000, v19
	v_lshlrev_b32_e32 v18, 20, v18
	s_delay_alu instid0(VALU_DEP_1) | instskip(NEXT) | instid1(VALU_DEP_1)
	v_and_b32_e32 v18, 0x700000, v18
	v_or3_b32 v58, v18, v19, v56
.LBB2_480:                              ;   in Loop: Header=BB2_352 Depth=4
	s_or_b32 exec_lo, exec_lo, s75
.LBB2_481:                              ;   in Loop: Header=BB2_352 Depth=4
	s_delay_alu instid0(SALU_CYCLE_1)
	s_or_b32 exec_lo, exec_lo, s15
.LBB2_482:                              ;   in Loop: Header=BB2_352 Depth=4
	s_delay_alu instid0(SALU_CYCLE_1) | instskip(SKIP_4) | instid1(VALU_DEP_2)
	s_or_b32 exec_lo, exec_lo, s14
	v_and_b32_e32 v57, 0xff, v9
	v_mov_b32_e32 v56, v9
	s_mov_b32 s14, 0
	s_mov_b32 s15, exec_lo
	v_cmpx_lt_i16_e32 0x7f, v57
	s_xor_b32 s15, exec_lo, s15
	s_cbranch_execz .LBB2_517
; %bb.483:                              ;   in Loop: Header=BB2_352 Depth=4
	s_mov_b32 s14, -1
	s_mov_b32 s75, exec_lo
	v_cmpx_eq_u16_e32 0x80, v57
; %bb.484:                              ;   in Loop: Header=BB2_352 Depth=4
	s_xor_b32 s14, exec_lo, -1
; %bb.485:                              ;   in Loop: Header=BB2_352 Depth=4
	s_or_b32 exec_lo, exec_lo, s75
	s_delay_alu instid0(SALU_CYCLE_1)
	s_and_b32 s14, s14, exec_lo
                                        ; implicit-def: $vgpr57
	s_or_saveexec_b32 s15, s15
	v_bfrev_b32_e32 v59, 1
	s_xor_b32 exec_lo, exec_lo, s15
	s_cbranch_execnz .LBB2_518
.LBB2_486:                              ;   in Loop: Header=BB2_352 Depth=4
	s_or_b32 exec_lo, exec_lo, s15
	v_mov_b32_e32 v57, v3
	s_and_saveexec_b32 s15, s14
	s_cbranch_execz .LBB2_488
.LBB2_487:                              ;   in Loop: Header=BB2_352 Depth=4
	v_and_b32_e32 v18, 7, v9
	v_and_b32_e32 v59, 0x7f, v9
	v_bfe_u32 v19, v9, 3, 4
	s_delay_alu instid0(VALU_DEP_3) | instskip(NEXT) | instid1(VALU_DEP_3)
	v_clz_i32_u32_e32 v18, v18
	v_cmp_gt_u32_e64 s13, 8, v59
	s_delay_alu instid0(VALU_DEP_2) | instskip(NEXT) | instid1(VALU_DEP_1)
	v_min_u32_e32 v18, 32, v18
	v_subrev_nc_u32_e32 v60, 28, v18
	v_sub_nc_u32_e32 v18, 29, v18
	s_delay_alu instid0(VALU_DEP_1) | instskip(SKIP_1) | instid1(VALU_DEP_2)
	v_dual_cndmask_b32 v61, v19, v18, s13 :: v_dual_cndmask_b32 v18, 0, v60, s13
	v_cmp_ne_u32_e64 s13, 0x7f, v59
	v_lshlrev_b64_e32 v[18:19], v18, v[56:57]
	v_lshlrev_b32_e32 v19, 24, v56
	s_delay_alu instid0(VALU_DEP_4) | instskip(NEXT) | instid1(VALU_DEP_2)
	v_lshl_add_u32 v57, v61, 23, 0x3c000000
	v_and_b32_e32 v19, 0x80000000, v19
	s_delay_alu instid0(VALU_DEP_4) | instskip(NEXT) | instid1(VALU_DEP_1)
	v_lshlrev_b32_e32 v18, 20, v18
	v_and_b32_e32 v18, 0x700000, v18
	s_delay_alu instid0(VALU_DEP_1) | instskip(NEXT) | instid1(VALU_DEP_1)
	v_or3_b32 v18, v18, v19, v57
	v_cndmask_b32_e64 v59, 0x7f800001, v18, s13
.LBB2_488:                              ;   in Loop: Header=BB2_352 Depth=4
	s_or_b32 exec_lo, exec_lo, s15
	s_delay_alu instid0(VALU_DEP_1) | instskip(SKIP_1) | instid1(VALU_DEP_1)
	v_dual_add_f32 v58, v58, v59 :: v_dual_mov_b32 v19, v3
                                        ; implicit-def: $vgpr60
	s_mov_b32 s14, exec_lo
	v_and_b32_e32 v18, 0x7f800000, v58
	v_lshrrev_b32_e32 v57, 24, v58
	s_delay_alu instid0(VALU_DEP_2)
	v_cmpx_ne_u64_e32 0x7f800000, v[18:19]
	s_xor_b32 s15, exec_lo, s14
	s_cbranch_execz .LBB2_502
; %bb.489:                              ;   in Loop: Header=BB2_352 Depth=4
	v_and_b32_e32 v18, 0x7fffffff, v58
	v_mov_b32_e32 v19, v3
	v_and_b32_e32 v57, 0x80, v57
                                        ; implicit-def: $vgpr60
	s_mov_b32 s14, exec_lo
	s_delay_alu instid0(VALU_DEP_2)
	v_cmpx_gt_u64_e32 0x43e00001, v[18:19]
	s_xor_b32 s75, exec_lo, s14
	s_cbranch_execz .LBB2_499
; %bb.490:                              ;   in Loop: Header=BB2_352 Depth=4
	v_mov_b32_e32 v60, 0
	s_mov_b32 s76, exec_lo
	v_cmpx_ne_u32_e32 0, v58
	s_cbranch_execz .LBB2_498
; %bb.491:                              ;   in Loop: Header=BB2_352 Depth=4
	v_bfe_u32 v94, v58, 23, 8
	v_and_b32_e32 v58, 0x7fffff, v58
	s_delay_alu instid0(VALU_DEP_2) | instskip(SKIP_1) | instid1(VALU_DEP_3)
	v_sub_nc_u32_e32 v18, 0x79, v94
	v_cmp_gt_u32_e64 s13, 0x7a, v94
	v_or_b32_e32 v59, 0x800000, v58
	s_delay_alu instid0(VALU_DEP_2) | instskip(SKIP_1) | instid1(VALU_DEP_1)
	v_cndmask_b32_e64 v18, 0, v18, s13
	v_cmp_eq_u32_e64 s13, 0, v94
	v_cndmask_b32_e64 v95, v18, 0x78, s13
	s_delay_alu instid0(VALU_DEP_4) | instskip(NEXT) | instid1(VALU_DEP_2)
	v_cndmask_b32_e64 v58, v59, v58, s13
	v_dual_mov_b32 v59, v3 :: v_dual_add_nc_u32 v18, 20, v95
	v_add_nc_u32_e32 v60, 19, v95
	s_delay_alu instid0(VALU_DEP_2) | instskip(NEXT) | instid1(VALU_DEP_2)
	v_lshlrev_b64_e64 v[18:19], v18, -1
	v_lshlrev_b64_e64 v[60:61], v60, 1
	s_delay_alu instid0(VALU_DEP_2) | instskip(SKIP_1) | instid1(VALU_DEP_4)
	v_bfi_b32 v18, v18, 0, v58
	v_lshrrev_b64 v[58:59], v95, v[58:59]
	v_bfi_b32 v19, v19, 0, 0
	s_delay_alu instid0(VALU_DEP_1) | instskip(NEXT) | instid1(VALU_DEP_3)
	v_cmp_eq_u64_e64 s14, v[18:19], v[60:61]
	v_mov_b64_e32 v[60:61], v[58:59]
	s_and_saveexec_b32 s77, s14
; %bb.492:                              ;   in Loop: Header=BB2_352 Depth=4
	v_bfe_u32 v18, v58, 20, 1
	v_mov_b32_e32 v19, v3
	s_delay_alu instid0(VALU_DEP_1) | instskip(NEXT) | instid1(VALU_DEP_1)
	v_add_nc_u64_e32 v[18:19], v[58:59], v[18:19]
	v_add_nc_u64_e32 v[60:61], -1, v[18:19]
; %bb.493:                              ;   in Loop: Header=BB2_352 Depth=4
	s_or_b32 exec_lo, exec_lo, s77
	v_dual_mov_b32 v59, v3 :: v_dual_add_nc_u32 v18, 0xffffff81, v94
	v_lshrrev_b32_e32 v19, 23, v58
	s_mov_b32 s14, exec_lo
	s_delay_alu instid0(VALU_DEP_2) | instskip(NEXT) | instid1(VALU_DEP_1)
	v_cndmask_b32_e64 v18, v18, 0xffffff82, s13
	v_add3_u32 v61, v95, v18, v19
	v_and_b32_e32 v18, 0xfffff, v60
                                        ; implicit-def: $vgpr60
	s_delay_alu instid0(VALU_DEP_1) | instskip(NEXT) | instid1(VALU_DEP_1)
	v_dual_add_nc_u32 v94, 6, v61 :: v_dual_add_nc_u32 v58, v18, v58
	v_cmpx_ne_u32_e32 0, v94
	s_xor_b32 s14, exec_lo, s14
; %bb.494:                              ;   in Loop: Header=BB2_352 Depth=4
	s_delay_alu instid0(VALU_DEP_2) | instskip(SKIP_1) | instid1(VALU_DEP_1)
	v_cmp_lt_u64_e64 s13, 0xffffff, v[58:59]
	v_add_nc_u32_e32 v18, 7, v61
	v_cndmask_b32_e64 v60, v94, v18, s13
	v_cndmask_b32_e64 v18, 0, 1, s13
	s_delay_alu instid0(VALU_DEP_1)
	v_lshrrev_b64 v[58:59], v18, v[58:59]
; %bb.495:                              ;   in Loop: Header=BB2_352 Depth=4
	s_and_not1_saveexec_b32 s13, s14
; %bb.496:                              ;   in Loop: Header=BB2_352 Depth=4
	s_delay_alu instid0(VALU_DEP_1)
	v_bfe_u32 v60, v58, 23, 1
; %bb.497:                              ;   in Loop: Header=BB2_352 Depth=4
	s_or_b32 exec_lo, exec_lo, s13
	s_delay_alu instid0(VALU_DEP_2) | instskip(NEXT) | instid1(VALU_DEP_2)
	v_lshrrev_b64 v[18:19], 20, v[58:59]
	v_cmp_gt_i32_e64 s13, 16, v60
	v_min_i32_e32 v58, 15, v60
	v_cmp_eq_u32_e64 s14, 0, v60
	s_delay_alu instid0(VALU_DEP_2) | instskip(SKIP_1) | instid1(VALU_DEP_2)
	v_dual_cndmask_b32 v19, 0, v19, s13 :: v_dual_lshlrev_b32 v58, 3, v58
	v_cndmask_b32_e64 v18, 7, v18, s13
	v_and_b32_e32 v58, 0xf8, v58
	s_delay_alu instid0(VALU_DEP_2) | instskip(NEXT) | instid1(VALU_DEP_2)
	v_cmp_eq_u64_e64 s13, 0, v[18:19]
	v_and_or_b32 v18, v18, 7, v58
	s_and_b32 s13, s14, s13
	s_delay_alu instid0(VALU_DEP_1) | instid1(SALU_CYCLE_1)
	v_cndmask_b32_e64 v18, v18, 0, s13
	s_delay_alu instid0(VALU_DEP_1)
	v_or_b32_e32 v60, v18, v57
.LBB2_498:                              ;   in Loop: Header=BB2_352 Depth=4
	s_or_b32 exec_lo, exec_lo, s76
                                        ; implicit-def: $vgpr57
.LBB2_499:                              ;   in Loop: Header=BB2_352 Depth=4
	s_and_not1_saveexec_b32 s13, s75
; %bb.500:                              ;   in Loop: Header=BB2_352 Depth=4
	v_or_b32_e32 v60, 0x7e, v57
; %bb.501:                              ;   in Loop: Header=BB2_352 Depth=4
	s_or_b32 exec_lo, exec_lo, s13
                                        ; implicit-def: $vgpr57
.LBB2_502:                              ;   in Loop: Header=BB2_352 Depth=4
	s_and_not1_saveexec_b32 s13, s15
; %bb.503:                              ;   in Loop: Header=BB2_352 Depth=4
	v_or_b32_e32 v60, 0x7f, v57
; %bb.504:                              ;   in Loop: Header=BB2_352 Depth=4
	s_or_b32 exec_lo, exec_lo, s13
	v_lshrrev_b16 v58, 8, v2
	v_mov_b32_e32 v57, 0
	s_mov_b32 s14, exec_lo
	s_delay_alu instid0(VALU_DEP_2)
	v_cmpx_ne_u16_e32 0, v58
	s_cbranch_execz .LBB2_512
; %bb.505:                              ;   in Loop: Header=BB2_352 Depth=4
	v_bfrev_b32_e32 v57, 1
	s_mov_b32 s15, exec_lo
	v_cmpx_ne_u16_e32 0x80, v58
	s_cbranch_execz .LBB2_511
; %bb.506:                              ;   in Loop: Header=BB2_352 Depth=4
	v_and_b32_e32 v58, 0xffff, v58
	v_mov_b32_e32 v57, 0x7f800001
	s_mov_b32 s75, exec_lo
	s_delay_alu instid0(VALU_DEP_2) | instskip(NEXT) | instid1(VALU_DEP_1)
	v_and_b32_e32 v61, 0x7f, v58
	v_cmpx_ne_u32_e32 0x7f, v61
	s_cbranch_execz .LBB2_510
; %bb.507:                              ;   in Loop: Header=BB2_352 Depth=4
	v_dual_mov_b32 v59, v3 :: v_dual_bitop2_b32 v58, 7, v58 bitop3:0x40
	v_lshrrev_b32_e32 v57, 3, v61
	s_mov_b32 s76, exec_lo
	v_cmpx_gt_u32_e32 8, v61
; %bb.508:                              ;   in Loop: Header=BB2_352 Depth=4
	s_delay_alu instid0(VALU_DEP_3) | instskip(NEXT) | instid1(VALU_DEP_1)
	v_clz_i32_u32_e32 v18, v58
	v_min_u32_e32 v57, 32, v18
	s_delay_alu instid0(VALU_DEP_1) | instskip(NEXT) | instid1(VALU_DEP_1)
	v_subrev_nc_u32_e32 v18, 28, v57
	v_lshlrev_b64_e32 v[18:19], v18, v[58:59]
	s_delay_alu instid0(VALU_DEP_1)
	v_dual_sub_nc_u32 v57, 29, v57 :: v_dual_bitop2_b32 v58, 7, v18 bitop3:0x40
; %bb.509:                              ;   in Loop: Header=BB2_352 Depth=4
	s_or_b32 exec_lo, exec_lo, s76
	v_lshlrev_b32_e32 v2, 16, v2
	s_delay_alu instid0(VALU_DEP_2) | instskip(NEXT) | instid1(VALU_DEP_3)
	v_lshlrev_b32_e32 v18, 20, v58
	v_lshl_add_u32 v19, v57, 23, 0x3c000000
	s_delay_alu instid0(VALU_DEP_3) | instskip(NEXT) | instid1(VALU_DEP_1)
	v_and_b32_e32 v2, 0x80000000, v2
	v_or3_b32 v57, v18, v2, v19
.LBB2_510:                              ;   in Loop: Header=BB2_352 Depth=4
	s_or_b32 exec_lo, exec_lo, s75
.LBB2_511:                              ;   in Loop: Header=BB2_352 Depth=4
	s_delay_alu instid0(SALU_CYCLE_1)
	s_or_b32 exec_lo, exec_lo, s15
.LBB2_512:                              ;   in Loop: Header=BB2_352 Depth=4
	s_delay_alu instid0(SALU_CYCLE_1) | instskip(SKIP_3) | instid1(VALU_DEP_1)
	s_or_b32 exec_lo, exec_lo, s14
	v_lshrrev_b16 v56, 8, v56
	s_mov_b32 s15, 0
	s_mov_b32 s14, exec_lo
	v_cmpx_lt_i16_e32 0x7f, v56
	s_xor_b32 s14, exec_lo, s14
	s_cbranch_execz .LBB2_519
; %bb.513:                              ;   in Loop: Header=BB2_352 Depth=4
	s_mov_b32 s15, -1
	s_mov_b32 s75, exec_lo
	v_cmpx_eq_u16_e32 0x80, v56
; %bb.514:                              ;   in Loop: Header=BB2_352 Depth=4
	s_xor_b32 s15, exec_lo, -1
; %bb.515:                              ;   in Loop: Header=BB2_352 Depth=4
	s_or_b32 exec_lo, exec_lo, s75
	s_delay_alu instid0(SALU_CYCLE_1)
	s_and_b32 s15, s15, exec_lo
	s_or_saveexec_b32 s14, s14
	v_bfrev_b32_e32 v58, 1
	s_xor_b32 exec_lo, exec_lo, s14
	s_cbranch_execnz .LBB2_520
.LBB2_516:                              ;   in Loop: Header=BB2_352 Depth=4
	s_or_b32 exec_lo, exec_lo, s14
	s_and_saveexec_b32 s14, s15
	s_cbranch_execnz .LBB2_521
	s_branch .LBB2_524
.LBB2_517:                              ;   in Loop: Header=BB2_352 Depth=4
	s_or_saveexec_b32 s15, s15
	v_bfrev_b32_e32 v59, 1
	s_xor_b32 exec_lo, exec_lo, s15
	s_cbranch_execz .LBB2_486
.LBB2_518:                              ;   in Loop: Header=BB2_352 Depth=4
	v_cmp_ne_u16_e64 s13, 0, v57
	v_mov_b32_e32 v59, 0
	s_and_not1_b32 s14, s14, exec_lo
	s_and_b32 s13, s13, exec_lo
	s_delay_alu instid0(SALU_CYCLE_1)
	s_or_b32 s14, s14, s13
	s_or_b32 exec_lo, exec_lo, s15
	v_mov_b32_e32 v57, v3
	s_and_saveexec_b32 s15, s14
	s_cbranch_execnz .LBB2_487
	s_branch .LBB2_488
.LBB2_519:                              ;   in Loop: Header=BB2_352 Depth=4
	s_or_saveexec_b32 s14, s14
	v_bfrev_b32_e32 v58, 1
	s_xor_b32 exec_lo, exec_lo, s14
	s_cbranch_execz .LBB2_516
.LBB2_520:                              ;   in Loop: Header=BB2_352 Depth=4
	v_cmp_ne_u16_e64 s13, 0, v56
	v_mov_b32_e32 v58, 0
	s_and_not1_b32 s15, s15, exec_lo
	s_and_b32 s13, s13, exec_lo
	s_delay_alu instid0(SALU_CYCLE_1)
	s_or_b32 s15, s15, s13
	s_or_b32 exec_lo, exec_lo, s14
	s_and_saveexec_b32 s14, s15
	s_cbranch_execz .LBB2_524
.LBB2_521:                              ;   in Loop: Header=BB2_352 Depth=4
	v_and_b32_e32 v2, 0xffff, v56
	v_mov_b32_e32 v58, 0x7f800001
	s_mov_b32 s15, exec_lo
	s_delay_alu instid0(VALU_DEP_2) | instskip(NEXT) | instid1(VALU_DEP_1)
	v_and_b32_e32 v59, 0x7f, v2
	v_cmpx_ne_u32_e32 0x7f, v59
	s_cbranch_execz .LBB2_523
; %bb.522:                              ;   in Loop: Header=BB2_352 Depth=4
	v_and_b32_e32 v58, 7, v2
	v_cmp_gt_u32_e64 s13, 8, v59
	s_delay_alu instid0(VALU_DEP_2) | instskip(NEXT) | instid1(VALU_DEP_1)
	v_clz_i32_u32_e32 v18, v58
	v_min_u32_e32 v61, 32, v18
	s_delay_alu instid0(VALU_DEP_1) | instskip(NEXT) | instid1(VALU_DEP_1)
	v_subrev_nc_u32_e32 v18, 28, v61
	v_lshlrev_b64_e32 v[18:19], v18, v[2:3]
	v_dual_lshrrev_b32 v2, 3, v59 :: v_dual_sub_nc_u32 v19, 29, v61
	s_delay_alu instid0(VALU_DEP_2) | instskip(NEXT) | instid1(VALU_DEP_2)
	v_dual_lshlrev_b32 v56, 24, v56 :: v_dual_bitop2_b32 v18, 7, v18 bitop3:0x40
	v_cndmask_b32_e64 v2, v2, v19, s13
	s_delay_alu instid0(VALU_DEP_2) | instskip(NEXT) | instid1(VALU_DEP_3)
	v_cndmask_b32_e64 v18, v58, v18, s13
	v_and_b32_e32 v19, 0x80000000, v56
	s_delay_alu instid0(VALU_DEP_3) | instskip(NEXT) | instid1(VALU_DEP_3)
	v_lshl_add_u32 v2, v2, 23, 0x3c000000
	v_lshlrev_b32_e32 v18, 20, v18
	s_delay_alu instid0(VALU_DEP_1)
	v_or3_b32 v58, v18, v19, v2
.LBB2_523:                              ;   in Loop: Header=BB2_352 Depth=4
	s_or_b32 exec_lo, exec_lo, s15
.LBB2_524:                              ;   in Loop: Header=BB2_352 Depth=4
	s_delay_alu instid0(SALU_CYCLE_1) | instskip(NEXT) | instid1(VALU_DEP_1)
	s_or_b32 exec_lo, exec_lo, s14
	v_add_f32_e32 v56, v57, v58
                                        ; implicit-def: $vgpr61
	s_mov_b32 s14, exec_lo
	s_delay_alu instid0(VALU_DEP_1) | instskip(SKIP_1) | instid1(VALU_DEP_2)
	v_and_b32_e32 v2, 0x7f800000, v56
	v_lshrrev_b32_e32 v57, 24, v56
	v_cmpx_ne_u64_e32 0x7f800000, v[2:3]
	s_xor_b32 s15, exec_lo, s14
	s_cbranch_execz .LBB2_538
; %bb.525:                              ;   in Loop: Header=BB2_352 Depth=4
	v_and_b32_e32 v2, 0x7fffffff, v56
	v_and_b32_e32 v94, 0x80, v57
                                        ; implicit-def: $vgpr61
	s_mov_b32 s14, exec_lo
	s_delay_alu instid0(VALU_DEP_2)
	v_cmpx_gt_u64_e32 0x43e00001, v[2:3]
	s_xor_b32 s75, exec_lo, s14
	s_cbranch_execz .LBB2_535
; %bb.526:                              ;   in Loop: Header=BB2_352 Depth=4
	v_mov_b32_e32 v61, 0
	s_mov_b32 s76, exec_lo
	v_cmpx_ne_u32_e32 0, v56
	s_cbranch_execz .LBB2_534
; %bb.527:                              ;   in Loop: Header=BB2_352 Depth=4
	v_bfe_u32 v61, v56, 23, 8
	s_delay_alu instid0(VALU_DEP_1) | instskip(SKIP_1) | instid1(VALU_DEP_1)
	v_sub_nc_u32_e32 v2, 0x79, v61
	v_cmp_gt_u32_e64 s13, 0x7a, v61
	v_cndmask_b32_e64 v2, 0, v2, s13
	v_cmp_eq_u32_e64 s13, 0, v61
	s_delay_alu instid0(VALU_DEP_1) | instskip(SKIP_1) | instid1(VALU_DEP_2)
	v_cndmask_b32_e64 v95, v2, 0x78, s13
	v_and_b32_e32 v2, 0x7fffff, v56
	v_add_nc_u32_e32 v18, 20, v95
	s_delay_alu instid0(VALU_DEP_2) | instskip(SKIP_1) | instid1(VALU_DEP_3)
	v_or_b32_e32 v56, 0x800000, v2
	v_add_nc_u32_e32 v57, 19, v95
	v_lshlrev_b64_e64 v[18:19], v18, -1
	s_delay_alu instid0(VALU_DEP_3) | instskip(NEXT) | instid1(VALU_DEP_3)
	v_cndmask_b32_e64 v2, v56, v2, s13
	v_lshlrev_b64_e64 v[58:59], v57, 1
	s_delay_alu instid0(VALU_DEP_2) | instskip(NEXT) | instid1(VALU_DEP_4)
	v_lshrrev_b64 v[56:57], v95, v[2:3]
	v_bfi_b32 v19, v19, 0, 0
	v_bfi_b32 v18, v18, 0, v2
	s_delay_alu instid0(VALU_DEP_1) | instskip(NEXT) | instid1(VALU_DEP_4)
	v_cmp_eq_u64_e64 s14, v[18:19], v[58:59]
	v_mov_b64_e32 v[58:59], v[56:57]
	s_and_saveexec_b32 s77, s14
; %bb.528:                              ;   in Loop: Header=BB2_352 Depth=4
	v_bfe_u32 v2, v56, 20, 1
	s_delay_alu instid0(VALU_DEP_1) | instskip(NEXT) | instid1(VALU_DEP_1)
	v_add_nc_u64_e32 v[18:19], v[56:57], v[2:3]
	v_add_nc_u64_e32 v[58:59], -1, v[18:19]
; %bb.529:                              ;   in Loop: Header=BB2_352 Depth=4
	s_or_b32 exec_lo, exec_lo, s77
	v_add_nc_u32_e32 v2, 0xffffff81, v61
	v_lshrrev_b32_e32 v18, 23, v56
	s_mov_b32 s14, exec_lo
	s_delay_alu instid0(VALU_DEP_2) | instskip(NEXT) | instid1(VALU_DEP_1)
	v_cndmask_b32_e64 v2, v2, 0xffffff82, s13
	v_add3_u32 v59, v95, v2, v18
	v_and_b32_e32 v2, 0xfffff, v58
                                        ; implicit-def: $vgpr58
	s_delay_alu instid0(VALU_DEP_1) | instskip(NEXT) | instid1(VALU_DEP_1)
	v_dual_add_nc_u32 v61, 6, v59 :: v_dual_add_nc_u32 v2, v2, v56
                                        ; implicit-def: $vgpr56_vgpr57
	v_cmpx_ne_u32_e32 0, v61
	s_xor_b32 s14, exec_lo, s14
; %bb.530:                              ;   in Loop: Header=BB2_352 Depth=4
	s_delay_alu instid0(VALU_DEP_2) | instskip(SKIP_1) | instid1(VALU_DEP_1)
	v_cmp_lt_u64_e64 s13, 0xffffff, v[2:3]
	v_add_nc_u32_e32 v18, 7, v59
	v_cndmask_b32_e64 v58, v61, v18, s13
	v_cndmask_b32_e64 v18, 0, 1, s13
	s_delay_alu instid0(VALU_DEP_1)
	v_lshrrev_b64 v[56:57], v18, v[2:3]
; %bb.531:                              ;   in Loop: Header=BB2_352 Depth=4
	s_and_not1_saveexec_b32 s13, s14
; %bb.532:                              ;   in Loop: Header=BB2_352 Depth=4
	v_mov_b64_e32 v[56:57], v[2:3]
	v_bfe_u32 v58, v2, 23, 1
; %bb.533:                              ;   in Loop: Header=BB2_352 Depth=4
	s_or_b32 exec_lo, exec_lo, s13
	s_delay_alu instid0(VALU_DEP_2) | instskip(NEXT) | instid1(VALU_DEP_2)
	v_lshrrev_b64 v[18:19], 20, v[56:57]
	v_cmp_gt_i32_e64 s13, 16, v58
	v_min_i32_e32 v2, 15, v58
	v_cmp_eq_u32_e64 s14, 0, v58
	s_delay_alu instid0(VALU_DEP_2) | instskip(SKIP_1) | instid1(VALU_DEP_2)
	v_dual_cndmask_b32 v19, 0, v19, s13 :: v_dual_lshlrev_b32 v2, 3, v2
	v_cndmask_b32_e64 v18, 7, v18, s13
	v_and_b32_e32 v2, 0xf8, v2
	s_delay_alu instid0(VALU_DEP_2) | instskip(NEXT) | instid1(VALU_DEP_2)
	v_cmp_eq_u64_e64 s13, 0, v[18:19]
	v_and_or_b32 v2, v18, 7, v2
	s_and_b32 s13, s14, s13
	s_delay_alu instid0(VALU_DEP_1) | instid1(SALU_CYCLE_1)
	v_cndmask_b32_e64 v2, v2, 0, s13
	s_delay_alu instid0(VALU_DEP_1)
	v_or_b32_e32 v61, v2, v94
.LBB2_534:                              ;   in Loop: Header=BB2_352 Depth=4
	s_or_b32 exec_lo, exec_lo, s76
                                        ; implicit-def: $vgpr94
.LBB2_535:                              ;   in Loop: Header=BB2_352 Depth=4
	s_and_not1_saveexec_b32 s13, s75
; %bb.536:                              ;   in Loop: Header=BB2_352 Depth=4
	v_or_b32_e32 v61, 0x7e, v94
; %bb.537:                              ;   in Loop: Header=BB2_352 Depth=4
	s_or_b32 exec_lo, exec_lo, s13
                                        ; implicit-def: $vgpr57
.LBB2_538:                              ;   in Loop: Header=BB2_352 Depth=4
	s_and_not1_saveexec_b32 s13, s15
; %bb.539:                              ;   in Loop: Header=BB2_352 Depth=4
	v_or_b32_e32 v61, 0x7f, v57
; %bb.540:                              ;   in Loop: Header=BB2_352 Depth=4
	s_or_b32 exec_lo, exec_lo, s13
	v_dual_mov_b32 v56, 0 :: v_dual_lshrrev_b32 v57, 16, v13
	s_mov_b32 s14, exec_lo
	s_delay_alu instid0(VALU_DEP_1) | instskip(NEXT) | instid1(VALU_DEP_1)
	v_and_b32_e32 v2, 0xff, v57
	v_cmpx_ne_u16_e32 0, v2
	s_cbranch_execz .LBB2_548
; %bb.541:                              ;   in Loop: Header=BB2_352 Depth=4
	v_bfrev_b32_e32 v56, 1
	s_mov_b32 s15, exec_lo
	v_cmpx_ne_u16_e32 0x80, v2
	s_cbranch_execz .LBB2_547
; %bb.542:                              ;   in Loop: Header=BB2_352 Depth=4
	v_bfe_u32 v58, v13, 16, 7
	v_mov_b32_e32 v56, 0x7f800001
	s_mov_b32 s75, exec_lo
	s_delay_alu instid0(VALU_DEP_2)
	v_cmpx_ne_u32_e32 0x7f, v58
	s_cbranch_execz .LBB2_546
; %bb.543:                              ;   in Loop: Header=BB2_352 Depth=4
	v_dual_lshrrev_b32 v56, 3, v58 :: v_dual_bitop2_b32 v2, 7, v57 bitop3:0x40
	s_mov_b32 s76, exec_lo
	v_cmpx_gt_u32_e32 8, v58
; %bb.544:                              ;   in Loop: Header=BB2_352 Depth=4
	s_delay_alu instid0(VALU_DEP_2) | instskip(NEXT) | instid1(VALU_DEP_1)
	v_clz_i32_u32_e32 v18, v2
	v_min_u32_e32 v56, 32, v18
	s_delay_alu instid0(VALU_DEP_1) | instskip(NEXT) | instid1(VALU_DEP_1)
	v_subrev_nc_u32_e32 v18, 28, v56
	v_lshlrev_b64_e32 v[18:19], v18, v[2:3]
	s_delay_alu instid0(VALU_DEP_1)
	v_dual_sub_nc_u32 v56, 29, v56 :: v_dual_bitop2_b32 v2, 7, v18 bitop3:0x40
; %bb.545:                              ;   in Loop: Header=BB2_352 Depth=4
	s_or_b32 exec_lo, exec_lo, s76
	s_delay_alu instid0(VALU_DEP_1) | instskip(NEXT) | instid1(VALU_DEP_2)
	v_dual_lshlrev_b32 v18, 24, v57 :: v_dual_lshlrev_b32 v2, 20, v2
	v_lshl_add_u32 v19, v56, 23, 0x3c000000
	s_delay_alu instid0(VALU_DEP_2) | instskip(NEXT) | instid1(VALU_DEP_1)
	v_and_b32_e32 v18, 0x80000000, v18
	v_or3_b32 v56, v2, v18, v19
.LBB2_546:                              ;   in Loop: Header=BB2_352 Depth=4
	s_or_b32 exec_lo, exec_lo, s75
.LBB2_547:                              ;   in Loop: Header=BB2_352 Depth=4
	s_delay_alu instid0(SALU_CYCLE_1)
	s_or_b32 exec_lo, exec_lo, s15
.LBB2_548:                              ;   in Loop: Header=BB2_352 Depth=4
	s_delay_alu instid0(SALU_CYCLE_1) | instskip(SKIP_3) | instid1(VALU_DEP_1)
	s_or_b32 exec_lo, exec_lo, s14
	v_lshrrev_b32_e32 v2, 16, v9
	s_mov_b32 s15, 0
	s_mov_b32 s14, exec_lo
	v_and_b32_e32 v58, 0xff, v2
	s_delay_alu instid0(VALU_DEP_1)
	v_cmpx_lt_i16_e32 0x7f, v58
	s_xor_b32 s14, exec_lo, s14
	s_cbranch_execz .LBB2_553
; %bb.549:                              ;   in Loop: Header=BB2_352 Depth=4
	s_mov_b32 s15, -1
	s_mov_b32 s75, exec_lo
	v_cmpx_eq_u16_e32 0x80, v58
; %bb.550:                              ;   in Loop: Header=BB2_352 Depth=4
	s_xor_b32 s15, exec_lo, -1
; %bb.551:                              ;   in Loop: Header=BB2_352 Depth=4
	s_or_b32 exec_lo, exec_lo, s75
	s_delay_alu instid0(SALU_CYCLE_1)
	s_and_b32 s15, s15, exec_lo
                                        ; implicit-def: $vgpr58
	s_or_saveexec_b32 s14, s14
	v_bfrev_b32_e32 v57, 1
	s_xor_b32 exec_lo, exec_lo, s14
	s_cbranch_execnz .LBB2_554
.LBB2_552:                              ;   in Loop: Header=BB2_352 Depth=4
	s_or_b32 exec_lo, exec_lo, s14
	s_and_saveexec_b32 s14, s15
	s_cbranch_execnz .LBB2_555
	s_branch .LBB2_558
.LBB2_553:                              ;   in Loop: Header=BB2_352 Depth=4
	s_or_saveexec_b32 s14, s14
	v_bfrev_b32_e32 v57, 1
	s_xor_b32 exec_lo, exec_lo, s14
	s_cbranch_execz .LBB2_552
.LBB2_554:                              ;   in Loop: Header=BB2_352 Depth=4
	v_cmp_ne_u16_e64 s13, 0, v58
	v_mov_b32_e32 v57, 0
	s_and_not1_b32 s15, s15, exec_lo
	s_and_b32 s13, s13, exec_lo
	s_delay_alu instid0(SALU_CYCLE_1)
	s_or_b32 s15, s15, s13
	s_or_b32 exec_lo, exec_lo, s14
	s_and_saveexec_b32 s14, s15
	s_cbranch_execz .LBB2_558
.LBB2_555:                              ;   in Loop: Header=BB2_352 Depth=4
	v_and_b32_e32 v58, 0x7f, v2
	v_mov_b32_e32 v57, 0x7f800001
	s_mov_b32 s15, exec_lo
	s_delay_alu instid0(VALU_DEP_2)
	v_cmpx_ne_u32_e32 0x7f, v58
	s_cbranch_execz .LBB2_557
; %bb.556:                              ;   in Loop: Header=BB2_352 Depth=4
	v_and_b32_e32 v57, 7, v2
	v_cmp_gt_u32_e64 s13, 8, v58
	s_delay_alu instid0(VALU_DEP_2) | instskip(NEXT) | instid1(VALU_DEP_1)
	v_clz_i32_u32_e32 v18, v57
	v_min_u32_e32 v59, 32, v18
	s_delay_alu instid0(VALU_DEP_1) | instskip(SKIP_1) | instid1(VALU_DEP_2)
	v_subrev_nc_u32_e32 v18, 28, v59
	v_sub_nc_u32_e32 v59, 29, v59
	v_lshlrev_b64_e32 v[18:19], v18, v[2:3]
	v_lshrrev_b32_e32 v19, 3, v58
	s_delay_alu instid0(VALU_DEP_1) | instskip(NEXT) | instid1(VALU_DEP_3)
	v_dual_lshlrev_b32 v2, 24, v2 :: v_dual_cndmask_b32 v19, v19, v59, s13
	v_and_b32_e32 v18, 7, v18
	s_delay_alu instid0(VALU_DEP_2) | instskip(NEXT) | instid1(VALU_DEP_3)
	v_and_b32_e32 v2, 0x80000000, v2
	v_lshl_add_u32 v19, v19, 23, 0x3c000000
	s_delay_alu instid0(VALU_DEP_3) | instskip(NEXT) | instid1(VALU_DEP_1)
	v_cndmask_b32_e64 v18, v57, v18, s13
	v_lshlrev_b32_e32 v18, 20, v18
	s_delay_alu instid0(VALU_DEP_1)
	v_or3_b32 v57, v18, v2, v19
.LBB2_557:                              ;   in Loop: Header=BB2_352 Depth=4
	s_or_b32 exec_lo, exec_lo, s15
.LBB2_558:                              ;   in Loop: Header=BB2_352 Depth=4
	s_delay_alu instid0(SALU_CYCLE_1) | instskip(NEXT) | instid1(VALU_DEP_1)
	s_or_b32 exec_lo, exec_lo, s14
	v_add_f32_e32 v56, v56, v57
                                        ; implicit-def: $vgpr58
	s_mov_b32 s14, exec_lo
	s_delay_alu instid0(VALU_DEP_1) | instskip(SKIP_1) | instid1(VALU_DEP_2)
	v_and_b32_e32 v2, 0x7f800000, v56
	v_lshrrev_b32_e32 v57, 24, v56
	v_cmpx_ne_u64_e32 0x7f800000, v[2:3]
	s_xor_b32 s15, exec_lo, s14
	s_cbranch_execz .LBB2_572
; %bb.559:                              ;   in Loop: Header=BB2_352 Depth=4
	v_and_b32_e32 v2, 0x7fffffff, v56
	v_and_b32_e32 v94, 0x80, v57
                                        ; implicit-def: $vgpr58
	s_mov_b32 s14, exec_lo
	s_delay_alu instid0(VALU_DEP_2)
	v_cmpx_gt_u64_e32 0x43e00001, v[2:3]
	s_xor_b32 s75, exec_lo, s14
	s_cbranch_execz .LBB2_569
; %bb.560:                              ;   in Loop: Header=BB2_352 Depth=4
	v_mov_b32_e32 v58, 0
	s_mov_b32 s76, exec_lo
	v_cmpx_ne_u32_e32 0, v56
	s_cbranch_execz .LBB2_568
; %bb.561:                              ;   in Loop: Header=BB2_352 Depth=4
	v_bfe_u32 v95, v56, 23, 8
	s_delay_alu instid0(VALU_DEP_1) | instskip(SKIP_1) | instid1(VALU_DEP_1)
	v_sub_nc_u32_e32 v2, 0x79, v95
	v_cmp_gt_u32_e64 s13, 0x7a, v95
	v_cndmask_b32_e64 v2, 0, v2, s13
	v_cmp_eq_u32_e64 s13, 0, v95
	s_delay_alu instid0(VALU_DEP_1) | instskip(SKIP_1) | instid1(VALU_DEP_2)
	v_cndmask_b32_e64 v104, v2, 0x78, s13
	v_and_b32_e32 v2, 0x7fffff, v56
	v_add_nc_u32_e32 v18, 20, v104
	s_delay_alu instid0(VALU_DEP_2) | instskip(SKIP_1) | instid1(VALU_DEP_3)
	v_or_b32_e32 v56, 0x800000, v2
	v_add_nc_u32_e32 v57, 19, v104
	v_lshlrev_b64_e64 v[18:19], v18, -1
	s_delay_alu instid0(VALU_DEP_3) | instskip(NEXT) | instid1(VALU_DEP_3)
	v_cndmask_b32_e64 v2, v56, v2, s13
	v_lshlrev_b64_e64 v[58:59], v57, 1
	s_delay_alu instid0(VALU_DEP_2) | instskip(NEXT) | instid1(VALU_DEP_4)
	v_lshrrev_b64 v[56:57], v104, v[2:3]
	v_bfi_b32 v19, v19, 0, 0
	v_bfi_b32 v18, v18, 0, v2
	s_delay_alu instid0(VALU_DEP_1) | instskip(NEXT) | instid1(VALU_DEP_4)
	v_cmp_eq_u64_e64 s14, v[18:19], v[58:59]
	v_mov_b64_e32 v[58:59], v[56:57]
	s_and_saveexec_b32 s77, s14
; %bb.562:                              ;   in Loop: Header=BB2_352 Depth=4
	v_bfe_u32 v2, v56, 20, 1
	s_delay_alu instid0(VALU_DEP_1) | instskip(NEXT) | instid1(VALU_DEP_1)
	v_add_nc_u64_e32 v[18:19], v[56:57], v[2:3]
	v_add_nc_u64_e32 v[58:59], -1, v[18:19]
; %bb.563:                              ;   in Loop: Header=BB2_352 Depth=4
	s_or_b32 exec_lo, exec_lo, s77
	v_add_nc_u32_e32 v2, 0xffffff81, v95
	v_lshrrev_b32_e32 v18, 23, v56
	s_mov_b32 s14, exec_lo
	s_delay_alu instid0(VALU_DEP_2) | instskip(NEXT) | instid1(VALU_DEP_1)
	v_cndmask_b32_e64 v2, v2, 0xffffff82, s13
	v_add3_u32 v59, v104, v2, v18
	v_and_b32_e32 v2, 0xfffff, v58
                                        ; implicit-def: $vgpr58
	s_delay_alu instid0(VALU_DEP_1) | instskip(NEXT) | instid1(VALU_DEP_1)
	v_dual_add_nc_u32 v95, 6, v59 :: v_dual_add_nc_u32 v2, v2, v56
                                        ; implicit-def: $vgpr56_vgpr57
	v_cmpx_ne_u32_e32 0, v95
	s_xor_b32 s14, exec_lo, s14
; %bb.564:                              ;   in Loop: Header=BB2_352 Depth=4
	s_delay_alu instid0(VALU_DEP_2) | instskip(SKIP_1) | instid1(VALU_DEP_1)
	v_cmp_lt_u64_e64 s13, 0xffffff, v[2:3]
	v_add_nc_u32_e32 v18, 7, v59
	v_cndmask_b32_e64 v58, v95, v18, s13
	v_cndmask_b32_e64 v18, 0, 1, s13
	s_delay_alu instid0(VALU_DEP_1)
	v_lshrrev_b64 v[56:57], v18, v[2:3]
; %bb.565:                              ;   in Loop: Header=BB2_352 Depth=4
	s_and_not1_saveexec_b32 s13, s14
; %bb.566:                              ;   in Loop: Header=BB2_352 Depth=4
	v_mov_b64_e32 v[56:57], v[2:3]
	v_bfe_u32 v58, v2, 23, 1
; %bb.567:                              ;   in Loop: Header=BB2_352 Depth=4
	s_or_b32 exec_lo, exec_lo, s13
	s_delay_alu instid0(VALU_DEP_2) | instskip(NEXT) | instid1(VALU_DEP_2)
	v_lshrrev_b64 v[18:19], 20, v[56:57]
	v_cmp_gt_i32_e64 s13, 16, v58
	v_min_i32_e32 v2, 15, v58
	v_cmp_eq_u32_e64 s14, 0, v58
	s_delay_alu instid0(VALU_DEP_2) | instskip(SKIP_1) | instid1(VALU_DEP_2)
	v_dual_cndmask_b32 v19, 0, v19, s13 :: v_dual_lshlrev_b32 v2, 3, v2
	v_cndmask_b32_e64 v18, 7, v18, s13
	v_and_b32_e32 v2, 0xf8, v2
	s_delay_alu instid0(VALU_DEP_2) | instskip(NEXT) | instid1(VALU_DEP_2)
	v_cmp_eq_u64_e64 s13, 0, v[18:19]
	v_and_or_b32 v2, v18, 7, v2
	s_and_b32 s13, s14, s13
	s_delay_alu instid0(VALU_DEP_1) | instid1(SALU_CYCLE_1)
	v_cndmask_b32_e64 v2, v2, 0, s13
	s_delay_alu instid0(VALU_DEP_1)
	v_or_b32_e32 v58, v2, v94
.LBB2_568:                              ;   in Loop: Header=BB2_352 Depth=4
	s_or_b32 exec_lo, exec_lo, s76
                                        ; implicit-def: $vgpr94
.LBB2_569:                              ;   in Loop: Header=BB2_352 Depth=4
	s_and_not1_saveexec_b32 s13, s75
; %bb.570:                              ;   in Loop: Header=BB2_352 Depth=4
	v_or_b32_e32 v58, 0x7e, v94
; %bb.571:                              ;   in Loop: Header=BB2_352 Depth=4
	s_or_b32 exec_lo, exec_lo, s13
                                        ; implicit-def: $vgpr57
.LBB2_572:                              ;   in Loop: Header=BB2_352 Depth=4
	s_and_not1_saveexec_b32 s13, s15
; %bb.573:                              ;   in Loop: Header=BB2_352 Depth=4
	v_or_b32_e32 v58, 0x7f, v57
; %bb.574:                              ;   in Loop: Header=BB2_352 Depth=4
	s_or_b32 exec_lo, exec_lo, s13
	v_cmp_lt_u64_e64 s13, s[22:23], v[12:13]
	v_mov_b32_e32 v12, 0
	s_and_saveexec_b32 s14, s13
	s_cbranch_execz .LBB2_582
; %bb.575:                              ;   in Loop: Header=BB2_352 Depth=4
	v_lshrrev_b32_e32 v56, 24, v13
	v_bfrev_b32_e32 v12, 1
	s_mov_b32 s15, exec_lo
	s_delay_alu instid0(VALU_DEP_2)
	v_cmpx_ne_u32_e32 0x80, v56
	s_cbranch_execz .LBB2_581
; %bb.576:                              ;   in Loop: Header=BB2_352 Depth=4
	v_bfe_u32 v13, v13, 24, 7
	v_mov_b32_e32 v12, 0x7f800001
	s_mov_b32 s75, exec_lo
	s_delay_alu instid0(VALU_DEP_2)
	v_cmpx_ne_u32_e32 0x7f, v13
	s_cbranch_execz .LBB2_580
; %bb.577:                              ;   in Loop: Header=BB2_352 Depth=4
	v_dual_lshrrev_b32 v12, 3, v13 :: v_dual_bitop2_b32 v2, 7, v56 bitop3:0x40
	s_mov_b32 s76, exec_lo
	v_cmpx_gt_u32_e32 8, v13
; %bb.578:                              ;   in Loop: Header=BB2_352 Depth=4
	s_delay_alu instid0(VALU_DEP_2) | instskip(NEXT) | instid1(VALU_DEP_1)
	v_clz_i32_u32_e32 v12, v2
	v_min_u32_e32 v12, 32, v12
	s_delay_alu instid0(VALU_DEP_1) | instskip(NEXT) | instid1(VALU_DEP_1)
	v_subrev_nc_u32_e32 v13, 28, v12
	v_lshlrev_b64_e32 v[18:19], v13, v[2:3]
	s_delay_alu instid0(VALU_DEP_1)
	v_dual_sub_nc_u32 v12, 29, v12 :: v_dual_bitop2_b32 v2, 7, v18 bitop3:0x40
; %bb.579:                              ;   in Loop: Header=BB2_352 Depth=4
	s_or_b32 exec_lo, exec_lo, s76
	s_delay_alu instid0(VALU_DEP_1) | instskip(NEXT) | instid1(VALU_DEP_2)
	v_dual_lshlrev_b32 v13, 24, v56 :: v_dual_lshlrev_b32 v2, 20, v2
	v_lshl_add_u32 v12, v12, 23, 0x3c000000
	s_delay_alu instid0(VALU_DEP_2) | instskip(NEXT) | instid1(VALU_DEP_1)
	v_and_b32_e32 v13, 0x80000000, v13
	v_or3_b32 v12, v2, v13, v12
.LBB2_580:                              ;   in Loop: Header=BB2_352 Depth=4
	s_or_b32 exec_lo, exec_lo, s75
.LBB2_581:                              ;   in Loop: Header=BB2_352 Depth=4
	s_delay_alu instid0(SALU_CYCLE_1)
	s_or_b32 exec_lo, exec_lo, s15
.LBB2_582:                              ;   in Loop: Header=BB2_352 Depth=4
	s_delay_alu instid0(SALU_CYCLE_1) | instskip(SKIP_3) | instid1(VALU_DEP_3)
	s_or_b32 exec_lo, exec_lo, s14
	v_lshrrev_b32_e32 v2, 24, v9
	v_bfe_u32 v13, v9, 24, 7
	v_cmp_gt_u64_e64 s15, s[24:25], v[8:9]
	v_cmp_eq_u32_e64 s14, 0x80, v2
	s_delay_alu instid0(VALU_DEP_3) | instskip(NEXT) | instid1(VALU_DEP_2)
	v_cmp_eq_u32_e64 s13, 0x7f, v13
	v_cndmask_b32_e64 v18, 0x7f800001, v77, s14
	s_or_b32 s13, s14, s13
	s_delay_alu instid0(SALU_CYCLE_1) | instskip(NEXT) | instid1(VALU_DEP_1)
	s_nor_b32 s13, s15, s13
	v_cndmask_b32_e64 v8, v18, 0, s15
	s_and_saveexec_b32 s14, s13
	s_cbranch_execz .LBB2_584
; %bb.583:                              ;   in Loop: Header=BB2_352 Depth=4
	v_and_b32_e32 v18, 7, v2
	v_cmp_gt_u32_e64 s13, 8, v13
	s_delay_alu instid0(VALU_DEP_2) | instskip(NEXT) | instid1(VALU_DEP_1)
	v_clz_i32_u32_e32 v8, v18
	v_min_u32_e32 v19, 32, v8
	s_delay_alu instid0(VALU_DEP_1) | instskip(NEXT) | instid1(VALU_DEP_1)
	v_subrev_nc_u32_e32 v8, 28, v19
	v_lshlrev_b64_e32 v[8:9], v8, v[2:3]
	v_dual_lshrrev_b32 v9, 3, v13 :: v_dual_sub_nc_u32 v19, 29, v19
	s_delay_alu instid0(VALU_DEP_2) | instskip(NEXT) | instid1(VALU_DEP_1)
	v_dual_lshlrev_b32 v2, 24, v2 :: v_dual_bitop2_b32 v8, 7, v8 bitop3:0x40
	v_dual_cndmask_b32 v9, v9, v19, s13 :: v_dual_cndmask_b32 v8, v18, v8, s13
	s_delay_alu instid0(VALU_DEP_2) | instskip(NEXT) | instid1(VALU_DEP_2)
	v_and_b32_e32 v2, 0x80000000, v2
	v_lshl_add_u32 v9, v9, 23, 0x3c000000
	s_delay_alu instid0(VALU_DEP_3) | instskip(NEXT) | instid1(VALU_DEP_1)
	v_lshlrev_b32_e32 v8, 20, v8
	v_or3_b32 v8, v8, v2, v9
.LBB2_584:                              ;   in Loop: Header=BB2_352 Depth=4
	s_or_b32 exec_lo, exec_lo, s14
	s_delay_alu instid0(VALU_DEP_1) | instskip(SKIP_1) | instid1(VALU_DEP_1)
	v_add_f32_e32 v8, v12, v8
                                        ; implicit-def: $vgpr59
	s_mov_b32 s14, exec_lo
	v_and_b32_e32 v2, 0x7f800000, v8
	v_lshrrev_b32_e32 v9, 24, v8
	s_delay_alu instid0(VALU_DEP_2)
	v_cmpx_ne_u64_e32 0x7f800000, v[2:3]
	s_xor_b32 s15, exec_lo, s14
	s_cbranch_execz .LBB2_598
; %bb.585:                              ;   in Loop: Header=BB2_352 Depth=4
	v_and_b32_e32 v2, 0x7fffffff, v8
	v_and_b32_e32 v56, 0x80, v9
                                        ; implicit-def: $vgpr59
	s_mov_b32 s14, exec_lo
	s_delay_alu instid0(VALU_DEP_2)
	v_cmpx_gt_u64_e32 0x43e00001, v[2:3]
	s_xor_b32 s75, exec_lo, s14
	s_cbranch_execz .LBB2_595
; %bb.586:                              ;   in Loop: Header=BB2_352 Depth=4
	v_mov_b32_e32 v59, 0
	s_mov_b32 s76, exec_lo
	v_cmpx_ne_u32_e32 0, v8
	s_cbranch_execz .LBB2_594
; %bb.587:                              ;   in Loop: Header=BB2_352 Depth=4
	v_bfe_u32 v57, v8, 23, 8
	s_delay_alu instid0(VALU_DEP_1) | instskip(SKIP_1) | instid1(VALU_DEP_1)
	v_sub_nc_u32_e32 v2, 0x79, v57
	v_cmp_gt_u32_e64 s13, 0x7a, v57
	v_cndmask_b32_e64 v2, 0, v2, s13
	v_cmp_eq_u32_e64 s13, 0, v57
	s_delay_alu instid0(VALU_DEP_1) | instskip(SKIP_1) | instid1(VALU_DEP_2)
	v_cndmask_b32_e64 v59, v2, 0x78, s13
	v_and_b32_e32 v2, 0x7fffff, v8
	v_add_nc_u32_e32 v8, 20, v59
	s_delay_alu instid0(VALU_DEP_2) | instskip(SKIP_1) | instid1(VALU_DEP_3)
	v_or_b32_e32 v12, 0x800000, v2
	v_add_nc_u32_e32 v13, 19, v59
	v_lshlrev_b64_e64 v[8:9], v8, -1
	s_delay_alu instid0(VALU_DEP_3) | instskip(NEXT) | instid1(VALU_DEP_3)
	v_cndmask_b32_e64 v2, v12, v2, s13
	v_lshlrev_b64_e64 v[12:13], v13, 1
	s_delay_alu instid0(VALU_DEP_3) | instskip(NEXT) | instid1(VALU_DEP_3)
	v_bfi_b32 v19, v9, 0, 0
	v_bfi_b32 v18, v8, 0, v2
	v_lshrrev_b64 v[8:9], v59, v[2:3]
	s_delay_alu instid0(VALU_DEP_2) | instskip(NEXT) | instid1(VALU_DEP_2)
	v_cmp_eq_u64_e64 s14, v[18:19], v[12:13]
	v_mov_b64_e32 v[12:13], v[8:9]
	s_and_saveexec_b32 s77, s14
; %bb.588:                              ;   in Loop: Header=BB2_352 Depth=4
	v_bfe_u32 v2, v8, 20, 1
	s_delay_alu instid0(VALU_DEP_1) | instskip(NEXT) | instid1(VALU_DEP_1)
	v_add_nc_u64_e32 v[12:13], v[8:9], v[2:3]
	v_add_nc_u64_e32 v[12:13], -1, v[12:13]
; %bb.589:                              ;   in Loop: Header=BB2_352 Depth=4
	s_or_b32 exec_lo, exec_lo, s77
	v_add_nc_u32_e32 v2, 0xffffff81, v57
	v_lshrrev_b32_e32 v9, 23, v8
	s_mov_b32 s14, exec_lo
	s_delay_alu instid0(VALU_DEP_2) | instskip(NEXT) | instid1(VALU_DEP_1)
	v_cndmask_b32_e64 v2, v2, 0xffffff82, s13
	v_add3_u32 v13, v59, v2, v9
	v_and_b32_e32 v2, 0xfffff, v12
                                        ; implicit-def: $vgpr12
	s_delay_alu instid0(VALU_DEP_1) | instskip(NEXT) | instid1(VALU_DEP_1)
	v_dual_add_nc_u32 v57, 6, v13 :: v_dual_add_nc_u32 v2, v2, v8
                                        ; implicit-def: $vgpr8_vgpr9
	v_cmpx_ne_u32_e32 0, v57
	s_xor_b32 s14, exec_lo, s14
; %bb.590:                              ;   in Loop: Header=BB2_352 Depth=4
	s_delay_alu instid0(VALU_DEP_2) | instskip(SKIP_1) | instid1(VALU_DEP_1)
	v_cmp_lt_u64_e64 s13, 0xffffff, v[2:3]
	v_add_nc_u32_e32 v8, 7, v13
	v_cndmask_b32_e64 v12, v57, v8, s13
	v_cndmask_b32_e64 v8, 0, 1, s13
	s_delay_alu instid0(VALU_DEP_1)
	v_lshrrev_b64 v[8:9], v8, v[2:3]
; %bb.591:                              ;   in Loop: Header=BB2_352 Depth=4
	s_and_not1_saveexec_b32 s13, s14
; %bb.592:                              ;   in Loop: Header=BB2_352 Depth=4
	v_mov_b64_e32 v[8:9], v[2:3]
	v_bfe_u32 v12, v2, 23, 1
; %bb.593:                              ;   in Loop: Header=BB2_352 Depth=4
	s_or_b32 exec_lo, exec_lo, s13
	s_delay_alu instid0(VALU_DEP_2) | instskip(NEXT) | instid1(VALU_DEP_2)
	v_lshrrev_b64 v[8:9], 20, v[8:9]
	v_cmp_gt_i32_e64 s13, 16, v12
	v_min_i32_e32 v2, 15, v12
	v_cmp_eq_u32_e64 s14, 0, v12
	s_delay_alu instid0(VALU_DEP_2) | instskip(SKIP_1) | instid1(VALU_DEP_2)
	v_dual_cndmask_b32 v9, 0, v9, s13 :: v_dual_lshlrev_b32 v2, 3, v2
	v_cndmask_b32_e64 v8, 7, v8, s13
	v_and_b32_e32 v2, 0xf8, v2
	s_delay_alu instid0(VALU_DEP_2) | instskip(NEXT) | instid1(VALU_DEP_2)
	v_cmp_eq_u64_e64 s13, 0, v[8:9]
	v_and_or_b32 v2, v8, 7, v2
	s_and_b32 s13, s14, s13
	s_delay_alu instid0(VALU_DEP_1) | instid1(SALU_CYCLE_1)
	v_cndmask_b32_e64 v2, v2, 0, s13
	s_delay_alu instid0(VALU_DEP_1)
	v_or_b32_e32 v59, v2, v56
.LBB2_594:                              ;   in Loop: Header=BB2_352 Depth=4
	s_or_b32 exec_lo, exec_lo, s76
                                        ; implicit-def: $vgpr56
.LBB2_595:                              ;   in Loop: Header=BB2_352 Depth=4
	s_and_not1_saveexec_b32 s13, s75
; %bb.596:                              ;   in Loop: Header=BB2_352 Depth=4
	v_or_b32_e32 v59, 0x7e, v56
; %bb.597:                              ;   in Loop: Header=BB2_352 Depth=4
	s_or_b32 exec_lo, exec_lo, s13
                                        ; implicit-def: $vgpr9
.LBB2_598:                              ;   in Loop: Header=BB2_352 Depth=4
	s_and_not1_saveexec_b32 s13, s15
; %bb.599:                              ;   in Loop: Header=BB2_352 Depth=4
	v_or_b32_e32 v59, 0x7f, v9
; %bb.600:                              ;   in Loop: Header=BB2_352 Depth=4
	s_or_b32 exec_lo, exec_lo, s13
	v_and_b32_e32 v8, 0xff, v14
	v_mov_b32_e32 v2, 0
	s_mov_b32 s14, exec_lo
	s_delay_alu instid0(VALU_DEP_2)
	v_cmpx_ne_u16_e32 0, v8
	s_cbranch_execz .LBB2_606
; %bb.601:                              ;   in Loop: Header=BB2_352 Depth=4
	v_bfrev_b32_e32 v2, 1
	s_mov_b32 s15, exec_lo
	v_cmpx_ne_u16_e32 0x80, v8
	s_cbranch_execz .LBB2_605
; %bb.602:                              ;   in Loop: Header=BB2_352 Depth=4
	v_and_b32_e32 v8, 0x7f, v14
	v_mov_b32_e32 v2, 0x7f800001
	s_mov_b32 s75, exec_lo
	s_delay_alu instid0(VALU_DEP_2)
	v_cmpx_ne_u32_e32 0x7f, v8
	s_cbranch_execz .LBB2_604
; %bb.603:                              ;   in Loop: Header=BB2_352 Depth=4
	v_dual_lshrrev_b32 v9, 3, v8 :: v_dual_bitop2_b32 v2, 7, v14 bitop3:0x40
	v_cmp_gt_u32_e64 s13, 8, v8
	s_delay_alu instid0(VALU_DEP_2) | instskip(NEXT) | instid1(VALU_DEP_1)
	v_clz_i32_u32_e32 v2, v2
	v_min_u32_e32 v2, 32, v2
	s_delay_alu instid0(VALU_DEP_1) | instskip(NEXT) | instid1(VALU_DEP_1)
	v_subrev_nc_u32_e32 v12, 28, v2
	v_dual_sub_nc_u32 v2, 29, v2 :: v_dual_cndmask_b32 v8, 0, v12, s13
	s_delay_alu instid0(VALU_DEP_1) | instskip(NEXT) | instid1(VALU_DEP_2)
	v_cndmask_b32_e64 v2, v9, v2, s13
	v_lshlrev_b64_e32 v[8:9], v8, v[14:15]
	v_lshlrev_b32_e32 v9, 24, v14
	s_delay_alu instid0(VALU_DEP_1) | instskip(NEXT) | instid1(VALU_DEP_3)
	v_and_b32_e32 v9, 0x80000000, v9
	v_lshlrev_b32_e32 v8, 20, v8
	v_lshl_add_u32 v2, v2, 23, 0x3c000000
	s_delay_alu instid0(VALU_DEP_2) | instskip(NEXT) | instid1(VALU_DEP_1)
	v_and_b32_e32 v8, 0x700000, v8
	v_or3_b32 v2, v8, v9, v2
.LBB2_604:                              ;   in Loop: Header=BB2_352 Depth=4
	s_or_b32 exec_lo, exec_lo, s75
.LBB2_605:                              ;   in Loop: Header=BB2_352 Depth=4
	s_delay_alu instid0(SALU_CYCLE_1)
	s_or_b32 exec_lo, exec_lo, s15
.LBB2_606:                              ;   in Loop: Header=BB2_352 Depth=4
	s_delay_alu instid0(SALU_CYCLE_1) | instskip(SKIP_3) | instid1(VALU_DEP_1)
	s_or_b32 exec_lo, exec_lo, s14
	v_and_b32_e32 v9, 0xff, v10
	s_mov_b32 s14, 0
	s_mov_b32 s15, exec_lo
	v_cmpx_lt_i16_e32 0x7f, v9
	s_xor_b32 s15, exec_lo, s15
	s_cbranch_execz .LBB2_641
; %bb.607:                              ;   in Loop: Header=BB2_352 Depth=4
	s_mov_b32 s14, -1
	s_mov_b32 s75, exec_lo
	v_cmpx_eq_u16_e32 0x80, v9
; %bb.608:                              ;   in Loop: Header=BB2_352 Depth=4
	s_xor_b32 s14, exec_lo, -1
; %bb.609:                              ;   in Loop: Header=BB2_352 Depth=4
	s_or_b32 exec_lo, exec_lo, s75
	s_delay_alu instid0(SALU_CYCLE_1)
	s_and_b32 s14, s14, exec_lo
                                        ; implicit-def: $vgpr9
	s_or_saveexec_b32 s15, s15
	v_bfrev_b32_e32 v8, 1
	s_xor_b32 exec_lo, exec_lo, s15
	s_cbranch_execnz .LBB2_642
.LBB2_610:                              ;   in Loop: Header=BB2_352 Depth=4
	s_or_b32 exec_lo, exec_lo, s15
	s_and_saveexec_b32 s15, s14
	s_cbranch_execz .LBB2_612
.LBB2_611:                              ;   in Loop: Header=BB2_352 Depth=4
	v_and_b32_e32 v8, 7, v10
	v_and_b32_e32 v12, 0x7f, v10
	v_bfe_u32 v9, v10, 3, 4
	s_delay_alu instid0(VALU_DEP_3) | instskip(NEXT) | instid1(VALU_DEP_3)
	v_clz_i32_u32_e32 v8, v8
	v_cmp_gt_u32_e64 s13, 8, v12
	s_delay_alu instid0(VALU_DEP_2) | instskip(NEXT) | instid1(VALU_DEP_1)
	v_min_u32_e32 v8, 32, v8
	v_subrev_nc_u32_e32 v13, 28, v8
	v_sub_nc_u32_e32 v8, 29, v8
	s_delay_alu instid0(VALU_DEP_1) | instskip(SKIP_1) | instid1(VALU_DEP_2)
	v_dual_cndmask_b32 v18, v9, v8, s13 :: v_dual_cndmask_b32 v8, 0, v13, s13
	v_cmp_ne_u32_e64 s13, 0x7f, v12
	v_lshl_add_u32 v13, v18, 23, 0x3c000000
	s_delay_alu instid0(VALU_DEP_3) | instskip(SKIP_1) | instid1(VALU_DEP_1)
	v_lshlrev_b64_e32 v[8:9], v8, v[10:11]
	v_lshlrev_b32_e32 v9, 24, v10
	v_and_b32_e32 v9, 0x80000000, v9
	s_delay_alu instid0(VALU_DEP_3) | instskip(NEXT) | instid1(VALU_DEP_1)
	v_lshlrev_b32_e32 v8, 20, v8
	v_and_b32_e32 v8, 0x700000, v8
	s_delay_alu instid0(VALU_DEP_1) | instskip(NEXT) | instid1(VALU_DEP_1)
	v_or3_b32 v8, v8, v9, v13
	v_cndmask_b32_e64 v8, 0x7f800001, v8, s13
.LBB2_612:                              ;   in Loop: Header=BB2_352 Depth=4
	s_or_b32 exec_lo, exec_lo, s15
	s_delay_alu instid0(VALU_DEP_1) | instskip(SKIP_1) | instid1(VALU_DEP_1)
	v_add_f32_e32 v8, v2, v8
                                        ; implicit-def: $vgpr94
	s_mov_b32 s14, exec_lo
	v_and_b32_e32 v2, 0x7f800000, v8
	v_lshrrev_b32_e32 v9, 24, v8
	s_delay_alu instid0(VALU_DEP_2)
	v_cmpx_ne_u64_e32 0x7f800000, v[2:3]
	s_xor_b32 s15, exec_lo, s14
	s_cbranch_execz .LBB2_626
; %bb.613:                              ;   in Loop: Header=BB2_352 Depth=4
	v_and_b32_e32 v2, 0x7fffffff, v8
	v_and_b32_e32 v56, 0x80, v9
                                        ; implicit-def: $vgpr94
	s_mov_b32 s14, exec_lo
	s_delay_alu instid0(VALU_DEP_2)
	v_cmpx_gt_u64_e32 0x43e00001, v[2:3]
	s_xor_b32 s75, exec_lo, s14
	s_cbranch_execz .LBB2_623
; %bb.614:                              ;   in Loop: Header=BB2_352 Depth=4
	v_mov_b32_e32 v94, 0
	s_mov_b32 s76, exec_lo
	v_cmpx_ne_u32_e32 0, v8
	s_cbranch_execz .LBB2_622
; %bb.615:                              ;   in Loop: Header=BB2_352 Depth=4
	v_bfe_u32 v57, v8, 23, 8
	s_delay_alu instid0(VALU_DEP_1) | instskip(SKIP_1) | instid1(VALU_DEP_1)
	v_sub_nc_u32_e32 v2, 0x79, v57
	v_cmp_gt_u32_e64 s13, 0x7a, v57
	v_cndmask_b32_e64 v2, 0, v2, s13
	v_cmp_eq_u32_e64 s13, 0, v57
	s_delay_alu instid0(VALU_DEP_1) | instskip(SKIP_1) | instid1(VALU_DEP_2)
	v_cndmask_b32_e64 v94, v2, 0x78, s13
	v_and_b32_e32 v2, 0x7fffff, v8
	v_dual_add_nc_u32 v8, 20, v94 :: v_dual_add_nc_u32 v13, 19, v94
	s_delay_alu instid0(VALU_DEP_2) | instskip(NEXT) | instid1(VALU_DEP_2)
	v_or_b32_e32 v12, 0x800000, v2
	v_lshlrev_b64_e64 v[8:9], v8, -1
	s_delay_alu instid0(VALU_DEP_2) | instskip(NEXT) | instid1(VALU_DEP_4)
	v_cndmask_b32_e64 v2, v12, v2, s13
	v_lshlrev_b64_e64 v[12:13], v13, 1
	s_delay_alu instid0(VALU_DEP_3) | instskip(NEXT) | instid1(VALU_DEP_3)
	v_bfi_b32 v19, v9, 0, 0
	v_bfi_b32 v18, v8, 0, v2
	v_lshrrev_b64 v[8:9], v94, v[2:3]
	s_delay_alu instid0(VALU_DEP_2) | instskip(NEXT) | instid1(VALU_DEP_2)
	v_cmp_eq_u64_e64 s14, v[18:19], v[12:13]
	v_mov_b64_e32 v[12:13], v[8:9]
	s_and_saveexec_b32 s77, s14
; %bb.616:                              ;   in Loop: Header=BB2_352 Depth=4
	v_bfe_u32 v2, v8, 20, 1
	s_delay_alu instid0(VALU_DEP_1) | instskip(NEXT) | instid1(VALU_DEP_1)
	v_add_nc_u64_e32 v[12:13], v[8:9], v[2:3]
	v_add_nc_u64_e32 v[12:13], -1, v[12:13]
; %bb.617:                              ;   in Loop: Header=BB2_352 Depth=4
	s_or_b32 exec_lo, exec_lo, s77
	v_add_nc_u32_e32 v2, 0xffffff81, v57
	v_lshrrev_b32_e32 v9, 23, v8
	s_mov_b32 s14, exec_lo
	s_delay_alu instid0(VALU_DEP_2) | instskip(NEXT) | instid1(VALU_DEP_1)
	v_cndmask_b32_e64 v2, v2, 0xffffff82, s13
	v_add3_u32 v13, v94, v2, v9
	v_and_b32_e32 v2, 0xfffff, v12
                                        ; implicit-def: $vgpr12
	s_delay_alu instid0(VALU_DEP_1) | instskip(NEXT) | instid1(VALU_DEP_1)
	v_dual_add_nc_u32 v57, 6, v13 :: v_dual_add_nc_u32 v2, v2, v8
                                        ; implicit-def: $vgpr8_vgpr9
	v_cmpx_ne_u32_e32 0, v57
	s_xor_b32 s14, exec_lo, s14
; %bb.618:                              ;   in Loop: Header=BB2_352 Depth=4
	s_delay_alu instid0(VALU_DEP_2) | instskip(SKIP_1) | instid1(VALU_DEP_1)
	v_cmp_lt_u64_e64 s13, 0xffffff, v[2:3]
	v_add_nc_u32_e32 v8, 7, v13
	v_cndmask_b32_e64 v12, v57, v8, s13
	v_cndmask_b32_e64 v8, 0, 1, s13
	s_delay_alu instid0(VALU_DEP_1)
	v_lshrrev_b64 v[8:9], v8, v[2:3]
; %bb.619:                              ;   in Loop: Header=BB2_352 Depth=4
	s_and_not1_saveexec_b32 s13, s14
; %bb.620:                              ;   in Loop: Header=BB2_352 Depth=4
	v_mov_b64_e32 v[8:9], v[2:3]
	v_bfe_u32 v12, v2, 23, 1
; %bb.621:                              ;   in Loop: Header=BB2_352 Depth=4
	s_or_b32 exec_lo, exec_lo, s13
	s_delay_alu instid0(VALU_DEP_2) | instskip(NEXT) | instid1(VALU_DEP_2)
	v_lshrrev_b64 v[8:9], 20, v[8:9]
	v_cmp_gt_i32_e64 s13, 16, v12
	v_min_i32_e32 v2, 15, v12
	v_cmp_eq_u32_e64 s14, 0, v12
	s_delay_alu instid0(VALU_DEP_2) | instskip(SKIP_1) | instid1(VALU_DEP_2)
	v_dual_cndmask_b32 v9, 0, v9, s13 :: v_dual_lshlrev_b32 v2, 3, v2
	v_cndmask_b32_e64 v8, 7, v8, s13
	v_and_b32_e32 v2, 0xf8, v2
	s_delay_alu instid0(VALU_DEP_2) | instskip(NEXT) | instid1(VALU_DEP_2)
	v_cmp_eq_u64_e64 s13, 0, v[8:9]
	v_and_or_b32 v2, v8, 7, v2
	s_and_b32 s13, s14, s13
	s_delay_alu instid0(VALU_DEP_1) | instid1(SALU_CYCLE_1)
	v_cndmask_b32_e64 v2, v2, 0, s13
	s_delay_alu instid0(VALU_DEP_1)
	v_or_b32_e32 v94, v2, v56
.LBB2_622:                              ;   in Loop: Header=BB2_352 Depth=4
	s_or_b32 exec_lo, exec_lo, s76
                                        ; implicit-def: $vgpr56
.LBB2_623:                              ;   in Loop: Header=BB2_352 Depth=4
	s_and_not1_saveexec_b32 s13, s75
; %bb.624:                              ;   in Loop: Header=BB2_352 Depth=4
	v_or_b32_e32 v94, 0x7e, v56
; %bb.625:                              ;   in Loop: Header=BB2_352 Depth=4
	s_or_b32 exec_lo, exec_lo, s13
                                        ; implicit-def: $vgpr9
.LBB2_626:                              ;   in Loop: Header=BB2_352 Depth=4
	s_and_not1_saveexec_b32 s13, s15
; %bb.627:                              ;   in Loop: Header=BB2_352 Depth=4
	v_or_b32_e32 v94, 0x7f, v9
; %bb.628:                              ;   in Loop: Header=BB2_352 Depth=4
	s_or_b32 exec_lo, exec_lo, s13
	v_lshrrev_b16 v2, 8, v14
	v_mov_b32_e32 v8, 0
	s_mov_b32 s14, exec_lo
	s_delay_alu instid0(VALU_DEP_2)
	v_cmpx_ne_u16_e32 0, v2
	s_cbranch_execz .LBB2_636
; %bb.629:                              ;   in Loop: Header=BB2_352 Depth=4
	v_bfrev_b32_e32 v8, 1
	s_mov_b32 s15, exec_lo
	v_cmpx_ne_u16_e32 0x80, v2
	s_cbranch_execz .LBB2_635
; %bb.630:                              ;   in Loop: Header=BB2_352 Depth=4
	v_and_b32_e32 v2, 0xffff, v2
	v_mov_b32_e32 v8, 0x7f800001
	s_mov_b32 s75, exec_lo
	s_delay_alu instid0(VALU_DEP_2) | instskip(NEXT) | instid1(VALU_DEP_1)
	v_and_b32_e32 v9, 0x7f, v2
	v_cmpx_ne_u32_e32 0x7f, v9
	s_cbranch_execz .LBB2_634
; %bb.631:                              ;   in Loop: Header=BB2_352 Depth=4
	v_dual_lshrrev_b32 v8, 3, v9 :: v_dual_bitop2_b32 v2, 7, v2 bitop3:0x40
	s_mov_b32 s76, exec_lo
	v_cmpx_gt_u32_e32 8, v9
; %bb.632:                              ;   in Loop: Header=BB2_352 Depth=4
	s_delay_alu instid0(VALU_DEP_2) | instskip(NEXT) | instid1(VALU_DEP_1)
	v_clz_i32_u32_e32 v8, v2
	v_min_u32_e32 v8, 32, v8
	s_delay_alu instid0(VALU_DEP_1) | instskip(SKIP_1) | instid1(VALU_DEP_2)
	v_subrev_nc_u32_e32 v9, 28, v8
	v_sub_nc_u32_e32 v8, 29, v8
	v_lshlrev_b64_e32 v[12:13], v9, v[2:3]
	s_delay_alu instid0(VALU_DEP_1)
	v_and_b32_e32 v2, 7, v12
; %bb.633:                              ;   in Loop: Header=BB2_352 Depth=4
	s_or_b32 exec_lo, exec_lo, s76
	v_lshlrev_b32_e32 v9, 16, v14
	s_delay_alu instid0(VALU_DEP_2) | instskip(SKIP_1) | instid1(VALU_DEP_3)
	v_lshlrev_b32_e32 v2, 20, v2
	v_lshl_add_u32 v8, v8, 23, 0x3c000000
	v_and_b32_e32 v9, 0x80000000, v9
	s_delay_alu instid0(VALU_DEP_1)
	v_or3_b32 v8, v2, v9, v8
.LBB2_634:                              ;   in Loop: Header=BB2_352 Depth=4
	s_or_b32 exec_lo, exec_lo, s75
.LBB2_635:                              ;   in Loop: Header=BB2_352 Depth=4
	s_delay_alu instid0(SALU_CYCLE_1)
	s_or_b32 exec_lo, exec_lo, s15
.LBB2_636:                              ;   in Loop: Header=BB2_352 Depth=4
	s_delay_alu instid0(SALU_CYCLE_1) | instskip(SKIP_3) | instid1(VALU_DEP_1)
	s_or_b32 exec_lo, exec_lo, s14
	v_lshrrev_b16 v9, 8, v10
	s_mov_b32 s15, 0
	s_mov_b32 s14, exec_lo
	v_cmpx_lt_i16_e32 0x7f, v9
	s_xor_b32 s14, exec_lo, s14
	s_cbranch_execz .LBB2_643
; %bb.637:                              ;   in Loop: Header=BB2_352 Depth=4
	s_mov_b32 s15, -1
	s_mov_b32 s75, exec_lo
	v_cmpx_eq_u16_e32 0x80, v9
; %bb.638:                              ;   in Loop: Header=BB2_352 Depth=4
	s_xor_b32 s15, exec_lo, -1
; %bb.639:                              ;   in Loop: Header=BB2_352 Depth=4
	s_or_b32 exec_lo, exec_lo, s75
	s_delay_alu instid0(SALU_CYCLE_1)
	s_and_b32 s15, s15, exec_lo
	s_or_saveexec_b32 s14, s14
	v_bfrev_b32_e32 v12, 1
	s_xor_b32 exec_lo, exec_lo, s14
	s_cbranch_execnz .LBB2_644
.LBB2_640:                              ;   in Loop: Header=BB2_352 Depth=4
	s_or_b32 exec_lo, exec_lo, s14
	s_and_saveexec_b32 s14, s15
	s_cbranch_execnz .LBB2_645
	s_branch .LBB2_648
.LBB2_641:                              ;   in Loop: Header=BB2_352 Depth=4
	s_or_saveexec_b32 s15, s15
	v_bfrev_b32_e32 v8, 1
	s_xor_b32 exec_lo, exec_lo, s15
	s_cbranch_execz .LBB2_610
.LBB2_642:                              ;   in Loop: Header=BB2_352 Depth=4
	v_cmp_ne_u16_e64 s13, 0, v9
	v_mov_b32_e32 v8, 0
	s_and_not1_b32 s14, s14, exec_lo
	s_and_b32 s13, s13, exec_lo
	s_delay_alu instid0(SALU_CYCLE_1)
	s_or_b32 s14, s14, s13
	s_or_b32 exec_lo, exec_lo, s15
	s_and_saveexec_b32 s15, s14
	s_cbranch_execnz .LBB2_611
	s_branch .LBB2_612
.LBB2_643:                              ;   in Loop: Header=BB2_352 Depth=4
	s_or_saveexec_b32 s14, s14
	v_bfrev_b32_e32 v12, 1
	s_xor_b32 exec_lo, exec_lo, s14
	s_cbranch_execz .LBB2_640
.LBB2_644:                              ;   in Loop: Header=BB2_352 Depth=4
	v_cmp_ne_u16_e64 s13, 0, v9
	v_mov_b32_e32 v12, 0
	s_and_not1_b32 s15, s15, exec_lo
	s_and_b32 s13, s13, exec_lo
	s_delay_alu instid0(SALU_CYCLE_1)
	s_or_b32 s15, s15, s13
	s_or_b32 exec_lo, exec_lo, s14
	s_and_saveexec_b32 s14, s15
	s_cbranch_execz .LBB2_648
.LBB2_645:                              ;   in Loop: Header=BB2_352 Depth=4
	v_and_b32_e32 v2, 0xffff, v9
	v_mov_b32_e32 v12, 0x7f800001
	s_mov_b32 s15, exec_lo
	s_delay_alu instid0(VALU_DEP_2) | instskip(NEXT) | instid1(VALU_DEP_1)
	v_and_b32_e32 v13, 0x7f, v2
	v_cmpx_ne_u32_e32 0x7f, v13
	s_cbranch_execz .LBB2_647
; %bb.646:                              ;   in Loop: Header=BB2_352 Depth=4
	v_and_b32_e32 v12, 7, v2
	v_cmp_gt_u32_e64 s13, 8, v13
	s_delay_alu instid0(VALU_DEP_2) | instskip(NEXT) | instid1(VALU_DEP_1)
	v_clz_i32_u32_e32 v18, v12
	v_min_u32_e32 v56, 32, v18
	s_delay_alu instid0(VALU_DEP_1) | instskip(NEXT) | instid1(VALU_DEP_1)
	v_subrev_nc_u32_e32 v18, 28, v56
	v_lshlrev_b64_e32 v[18:19], v18, v[2:3]
	v_dual_lshrrev_b32 v2, 3, v13 :: v_dual_sub_nc_u32 v19, 29, v56
	s_delay_alu instid0(VALU_DEP_2) | instskip(NEXT) | instid1(VALU_DEP_1)
	v_dual_lshlrev_b32 v9, 24, v9 :: v_dual_bitop2_b32 v13, 7, v18 bitop3:0x40
	v_dual_cndmask_b32 v2, v2, v19, s13 :: v_dual_cndmask_b32 v12, v12, v13, s13
	s_delay_alu instid0(VALU_DEP_2) | instskip(NEXT) | instid1(VALU_DEP_2)
	v_and_b32_e32 v9, 0x80000000, v9
	v_lshl_add_u32 v2, v2, 23, 0x3c000000
	s_delay_alu instid0(VALU_DEP_3) | instskip(NEXT) | instid1(VALU_DEP_1)
	v_lshlrev_b32_e32 v12, 20, v12
	v_or3_b32 v12, v12, v9, v2
.LBB2_647:                              ;   in Loop: Header=BB2_352 Depth=4
	s_or_b32 exec_lo, exec_lo, s15
.LBB2_648:                              ;   in Loop: Header=BB2_352 Depth=4
	s_delay_alu instid0(SALU_CYCLE_1) | instskip(NEXT) | instid1(VALU_DEP_1)
	s_or_b32 exec_lo, exec_lo, s14
	v_add_f32_e32 v8, v8, v12
                                        ; implicit-def: $vgpr95
	s_mov_b32 s14, exec_lo
	s_delay_alu instid0(VALU_DEP_1) | instskip(SKIP_1) | instid1(VALU_DEP_2)
	v_and_b32_e32 v2, 0x7f800000, v8
	v_lshrrev_b32_e32 v9, 24, v8
	v_cmpx_ne_u64_e32 0x7f800000, v[2:3]
	s_xor_b32 s15, exec_lo, s14
	s_cbranch_execz .LBB2_662
; %bb.649:                              ;   in Loop: Header=BB2_352 Depth=4
	v_and_b32_e32 v2, 0x7fffffff, v8
	v_and_b32_e32 v56, 0x80, v9
                                        ; implicit-def: $vgpr95
	s_mov_b32 s14, exec_lo
	s_delay_alu instid0(VALU_DEP_2)
	v_cmpx_gt_u64_e32 0x43e00001, v[2:3]
	s_xor_b32 s75, exec_lo, s14
	s_cbranch_execz .LBB2_659
; %bb.650:                              ;   in Loop: Header=BB2_352 Depth=4
	v_mov_b32_e32 v95, 0
	s_mov_b32 s76, exec_lo
	v_cmpx_ne_u32_e32 0, v8
	s_cbranch_execz .LBB2_658
; %bb.651:                              ;   in Loop: Header=BB2_352 Depth=4
	v_bfe_u32 v57, v8, 23, 8
	s_delay_alu instid0(VALU_DEP_1) | instskip(SKIP_1) | instid1(VALU_DEP_1)
	v_sub_nc_u32_e32 v2, 0x79, v57
	v_cmp_gt_u32_e64 s13, 0x7a, v57
	v_cndmask_b32_e64 v2, 0, v2, s13
	v_cmp_eq_u32_e64 s13, 0, v57
	s_delay_alu instid0(VALU_DEP_1) | instskip(SKIP_1) | instid1(VALU_DEP_2)
	v_cndmask_b32_e64 v95, v2, 0x78, s13
	v_and_b32_e32 v2, 0x7fffff, v8
	v_add_nc_u32_e32 v8, 20, v95
	s_delay_alu instid0(VALU_DEP_2) | instskip(SKIP_1) | instid1(VALU_DEP_3)
	v_or_b32_e32 v12, 0x800000, v2
	v_add_nc_u32_e32 v13, 19, v95
	v_lshlrev_b64_e64 v[8:9], v8, -1
	s_delay_alu instid0(VALU_DEP_3) | instskip(NEXT) | instid1(VALU_DEP_3)
	v_cndmask_b32_e64 v2, v12, v2, s13
	v_lshlrev_b64_e64 v[12:13], v13, 1
	s_delay_alu instid0(VALU_DEP_3) | instskip(NEXT) | instid1(VALU_DEP_3)
	v_bfi_b32 v19, v9, 0, 0
	v_bfi_b32 v18, v8, 0, v2
	v_lshrrev_b64 v[8:9], v95, v[2:3]
	s_delay_alu instid0(VALU_DEP_2) | instskip(NEXT) | instid1(VALU_DEP_2)
	v_cmp_eq_u64_e64 s14, v[18:19], v[12:13]
	v_mov_b64_e32 v[12:13], v[8:9]
	s_and_saveexec_b32 s77, s14
; %bb.652:                              ;   in Loop: Header=BB2_352 Depth=4
	v_bfe_u32 v2, v8, 20, 1
	s_delay_alu instid0(VALU_DEP_1) | instskip(NEXT) | instid1(VALU_DEP_1)
	v_add_nc_u64_e32 v[12:13], v[8:9], v[2:3]
	v_add_nc_u64_e32 v[12:13], -1, v[12:13]
; %bb.653:                              ;   in Loop: Header=BB2_352 Depth=4
	s_or_b32 exec_lo, exec_lo, s77
	v_add_nc_u32_e32 v2, 0xffffff81, v57
	v_lshrrev_b32_e32 v9, 23, v8
	s_mov_b32 s14, exec_lo
	s_delay_alu instid0(VALU_DEP_2) | instskip(NEXT) | instid1(VALU_DEP_1)
	v_cndmask_b32_e64 v2, v2, 0xffffff82, s13
	v_add3_u32 v13, v95, v2, v9
	v_and_b32_e32 v2, 0xfffff, v12
                                        ; implicit-def: $vgpr12
	s_delay_alu instid0(VALU_DEP_1) | instskip(NEXT) | instid1(VALU_DEP_1)
	v_dual_add_nc_u32 v57, 6, v13 :: v_dual_add_nc_u32 v2, v2, v8
                                        ; implicit-def: $vgpr8_vgpr9
	v_cmpx_ne_u32_e32 0, v57
	s_xor_b32 s14, exec_lo, s14
; %bb.654:                              ;   in Loop: Header=BB2_352 Depth=4
	s_delay_alu instid0(VALU_DEP_2) | instskip(SKIP_1) | instid1(VALU_DEP_1)
	v_cmp_lt_u64_e64 s13, 0xffffff, v[2:3]
	v_add_nc_u32_e32 v8, 7, v13
	v_cndmask_b32_e64 v12, v57, v8, s13
	v_cndmask_b32_e64 v8, 0, 1, s13
	s_delay_alu instid0(VALU_DEP_1)
	v_lshrrev_b64 v[8:9], v8, v[2:3]
; %bb.655:                              ;   in Loop: Header=BB2_352 Depth=4
	s_and_not1_saveexec_b32 s13, s14
; %bb.656:                              ;   in Loop: Header=BB2_352 Depth=4
	v_mov_b64_e32 v[8:9], v[2:3]
	v_bfe_u32 v12, v2, 23, 1
; %bb.657:                              ;   in Loop: Header=BB2_352 Depth=4
	s_or_b32 exec_lo, exec_lo, s13
	s_delay_alu instid0(VALU_DEP_2) | instskip(NEXT) | instid1(VALU_DEP_2)
	v_lshrrev_b64 v[8:9], 20, v[8:9]
	v_cmp_gt_i32_e64 s13, 16, v12
	v_min_i32_e32 v2, 15, v12
	v_cmp_eq_u32_e64 s14, 0, v12
	s_delay_alu instid0(VALU_DEP_2) | instskip(SKIP_1) | instid1(VALU_DEP_2)
	v_dual_cndmask_b32 v9, 0, v9, s13 :: v_dual_lshlrev_b32 v2, 3, v2
	v_cndmask_b32_e64 v8, 7, v8, s13
	v_and_b32_e32 v2, 0xf8, v2
	s_delay_alu instid0(VALU_DEP_2) | instskip(NEXT) | instid1(VALU_DEP_2)
	v_cmp_eq_u64_e64 s13, 0, v[8:9]
	v_and_or_b32 v2, v8, 7, v2
	s_and_b32 s13, s14, s13
	s_delay_alu instid0(VALU_DEP_1) | instid1(SALU_CYCLE_1)
	v_cndmask_b32_e64 v2, v2, 0, s13
	s_delay_alu instid0(VALU_DEP_1)
	v_or_b32_e32 v95, v2, v56
.LBB2_658:                              ;   in Loop: Header=BB2_352 Depth=4
	s_or_b32 exec_lo, exec_lo, s76
                                        ; implicit-def: $vgpr56
.LBB2_659:                              ;   in Loop: Header=BB2_352 Depth=4
	s_and_not1_saveexec_b32 s13, s75
; %bb.660:                              ;   in Loop: Header=BB2_352 Depth=4
	v_or_b32_e32 v95, 0x7e, v56
; %bb.661:                              ;   in Loop: Header=BB2_352 Depth=4
	s_or_b32 exec_lo, exec_lo, s13
                                        ; implicit-def: $vgpr9
.LBB2_662:                              ;   in Loop: Header=BB2_352 Depth=4
	s_and_not1_saveexec_b32 s13, s15
; %bb.663:                              ;   in Loop: Header=BB2_352 Depth=4
	v_or_b32_e32 v95, 0x7f, v9
; %bb.664:                              ;   in Loop: Header=BB2_352 Depth=4
	s_or_b32 exec_lo, exec_lo, s13
	v_dual_mov_b32 v8, 0 :: v_dual_lshrrev_b32 v9, 16, v14
	s_mov_b32 s14, exec_lo
	s_delay_alu instid0(VALU_DEP_1) | instskip(NEXT) | instid1(VALU_DEP_1)
	v_and_b32_e32 v2, 0xff, v9
	v_cmpx_ne_u16_e32 0, v2
	s_cbranch_execz .LBB2_672
; %bb.665:                              ;   in Loop: Header=BB2_352 Depth=4
	v_bfrev_b32_e32 v8, 1
	s_mov_b32 s15, exec_lo
	v_cmpx_ne_u16_e32 0x80, v2
	s_cbranch_execz .LBB2_671
; %bb.666:                              ;   in Loop: Header=BB2_352 Depth=4
	v_bfe_u32 v12, v14, 16, 7
	v_mov_b32_e32 v8, 0x7f800001
	s_mov_b32 s75, exec_lo
	s_delay_alu instid0(VALU_DEP_2)
	v_cmpx_ne_u32_e32 0x7f, v12
	s_cbranch_execz .LBB2_670
; %bb.667:                              ;   in Loop: Header=BB2_352 Depth=4
	v_dual_lshrrev_b32 v8, 3, v12 :: v_dual_bitop2_b32 v2, 7, v9 bitop3:0x40
	s_mov_b32 s76, exec_lo
	v_cmpx_gt_u32_e32 8, v12
; %bb.668:                              ;   in Loop: Header=BB2_352 Depth=4
	s_delay_alu instid0(VALU_DEP_2) | instskip(NEXT) | instid1(VALU_DEP_1)
	v_clz_i32_u32_e32 v8, v2
	v_min_u32_e32 v8, 32, v8
	s_delay_alu instid0(VALU_DEP_1) | instskip(SKIP_1) | instid1(VALU_DEP_2)
	v_subrev_nc_u32_e32 v12, 28, v8
	v_sub_nc_u32_e32 v8, 29, v8
	v_lshlrev_b64_e32 v[12:13], v12, v[2:3]
	s_delay_alu instid0(VALU_DEP_1)
	v_and_b32_e32 v2, 7, v12
; %bb.669:                              ;   in Loop: Header=BB2_352 Depth=4
	s_or_b32 exec_lo, exec_lo, s76
	s_delay_alu instid0(VALU_DEP_1) | instskip(SKIP_1) | instid1(VALU_DEP_2)
	v_dual_lshlrev_b32 v9, 24, v9 :: v_dual_lshlrev_b32 v2, 20, v2
	v_lshl_add_u32 v8, v8, 23, 0x3c000000
	v_and_b32_e32 v9, 0x80000000, v9
	s_delay_alu instid0(VALU_DEP_1)
	v_or3_b32 v8, v2, v9, v8
.LBB2_670:                              ;   in Loop: Header=BB2_352 Depth=4
	s_or_b32 exec_lo, exec_lo, s75
.LBB2_671:                              ;   in Loop: Header=BB2_352 Depth=4
	s_delay_alu instid0(SALU_CYCLE_1)
	s_or_b32 exec_lo, exec_lo, s15
.LBB2_672:                              ;   in Loop: Header=BB2_352 Depth=4
	s_delay_alu instid0(SALU_CYCLE_1) | instskip(SKIP_3) | instid1(VALU_DEP_1)
	s_or_b32 exec_lo, exec_lo, s14
	v_lshrrev_b32_e32 v2, 16, v10
	s_mov_b32 s15, 0
	s_mov_b32 s14, exec_lo
	v_and_b32_e32 v12, 0xff, v2
	s_delay_alu instid0(VALU_DEP_1)
	v_cmpx_lt_i16_e32 0x7f, v12
	s_xor_b32 s14, exec_lo, s14
	s_cbranch_execz .LBB2_677
; %bb.673:                              ;   in Loop: Header=BB2_352 Depth=4
	s_mov_b32 s15, -1
	s_mov_b32 s75, exec_lo
	v_cmpx_eq_u16_e32 0x80, v12
; %bb.674:                              ;   in Loop: Header=BB2_352 Depth=4
	s_xor_b32 s15, exec_lo, -1
; %bb.675:                              ;   in Loop: Header=BB2_352 Depth=4
	s_or_b32 exec_lo, exec_lo, s75
	s_delay_alu instid0(SALU_CYCLE_1)
	s_and_b32 s15, s15, exec_lo
                                        ; implicit-def: $vgpr12
	s_or_saveexec_b32 s14, s14
	v_bfrev_b32_e32 v9, 1
	s_xor_b32 exec_lo, exec_lo, s14
	s_cbranch_execnz .LBB2_678
.LBB2_676:                              ;   in Loop: Header=BB2_352 Depth=4
	s_or_b32 exec_lo, exec_lo, s14
	s_and_saveexec_b32 s14, s15
	s_cbranch_execnz .LBB2_679
	s_branch .LBB2_682
.LBB2_677:                              ;   in Loop: Header=BB2_352 Depth=4
	s_or_saveexec_b32 s14, s14
	v_bfrev_b32_e32 v9, 1
	s_xor_b32 exec_lo, exec_lo, s14
	s_cbranch_execz .LBB2_676
.LBB2_678:                              ;   in Loop: Header=BB2_352 Depth=4
	v_cmp_ne_u16_e64 s13, 0, v12
	v_mov_b32_e32 v9, 0
	s_and_not1_b32 s15, s15, exec_lo
	s_and_b32 s13, s13, exec_lo
	s_delay_alu instid0(SALU_CYCLE_1)
	s_or_b32 s15, s15, s13
	s_or_b32 exec_lo, exec_lo, s14
	s_and_saveexec_b32 s14, s15
	s_cbranch_execz .LBB2_682
.LBB2_679:                              ;   in Loop: Header=BB2_352 Depth=4
	v_and_b32_e32 v12, 0x7f, v2
	v_mov_b32_e32 v9, 0x7f800001
	s_mov_b32 s15, exec_lo
	s_delay_alu instid0(VALU_DEP_2)
	v_cmpx_ne_u32_e32 0x7f, v12
	s_cbranch_execz .LBB2_681
; %bb.680:                              ;   in Loop: Header=BB2_352 Depth=4
	v_and_b32_e32 v9, 7, v2
	v_cmp_gt_u32_e64 s13, 8, v12
	s_delay_alu instid0(VALU_DEP_2) | instskip(NEXT) | instid1(VALU_DEP_1)
	v_clz_i32_u32_e32 v13, v9
	v_min_u32_e32 v13, 32, v13
	s_delay_alu instid0(VALU_DEP_1) | instskip(NEXT) | instid1(VALU_DEP_1)
	v_subrev_nc_u32_e32 v18, 28, v13
	v_lshlrev_b64_e32 v[18:19], v18, v[2:3]
	v_dual_lshrrev_b32 v19, 3, v12 :: v_dual_sub_nc_u32 v13, 29, v13
	s_delay_alu instid0(VALU_DEP_2) | instskip(NEXT) | instid1(VALU_DEP_2)
	v_and_b32_e32 v12, 7, v18
	v_dual_lshlrev_b32 v2, 24, v2 :: v_dual_cndmask_b32 v13, v19, v13, s13
	s_delay_alu instid0(VALU_DEP_2) | instskip(NEXT) | instid1(VALU_DEP_2)
	v_cndmask_b32_e64 v9, v9, v12, s13
	v_and_b32_e32 v2, 0x80000000, v2
	s_delay_alu instid0(VALU_DEP_3) | instskip(NEXT) | instid1(VALU_DEP_3)
	v_lshl_add_u32 v12, v13, 23, 0x3c000000
	v_lshlrev_b32_e32 v9, 20, v9
	s_delay_alu instid0(VALU_DEP_1)
	v_or3_b32 v9, v9, v2, v12
.LBB2_681:                              ;   in Loop: Header=BB2_352 Depth=4
	s_or_b32 exec_lo, exec_lo, s15
.LBB2_682:                              ;   in Loop: Header=BB2_352 Depth=4
	s_delay_alu instid0(SALU_CYCLE_1) | instskip(NEXT) | instid1(VALU_DEP_1)
	s_or_b32 exec_lo, exec_lo, s14
	v_add_f32_e32 v8, v8, v9
                                        ; implicit-def: $vgpr104
	s_mov_b32 s14, exec_lo
	s_delay_alu instid0(VALU_DEP_1) | instskip(SKIP_1) | instid1(VALU_DEP_2)
	v_and_b32_e32 v2, 0x7f800000, v8
	v_lshrrev_b32_e32 v9, 24, v8
	v_cmpx_ne_u64_e32 0x7f800000, v[2:3]
	s_xor_b32 s15, exec_lo, s14
	s_cbranch_execz .LBB2_696
; %bb.683:                              ;   in Loop: Header=BB2_352 Depth=4
	v_and_b32_e32 v2, 0x7fffffff, v8
	v_and_b32_e32 v56, 0x80, v9
                                        ; implicit-def: $vgpr104
	s_mov_b32 s14, exec_lo
	s_delay_alu instid0(VALU_DEP_2)
	v_cmpx_gt_u64_e32 0x43e00001, v[2:3]
	s_xor_b32 s75, exec_lo, s14
	s_cbranch_execz .LBB2_693
; %bb.684:                              ;   in Loop: Header=BB2_352 Depth=4
	v_mov_b32_e32 v104, 0
	s_mov_b32 s76, exec_lo
	v_cmpx_ne_u32_e32 0, v8
	s_cbranch_execz .LBB2_692
; %bb.685:                              ;   in Loop: Header=BB2_352 Depth=4
	v_bfe_u32 v57, v8, 23, 8
	s_delay_alu instid0(VALU_DEP_1) | instskip(SKIP_1) | instid1(VALU_DEP_1)
	v_sub_nc_u32_e32 v2, 0x79, v57
	v_cmp_gt_u32_e64 s13, 0x7a, v57
	v_cndmask_b32_e64 v2, 0, v2, s13
	v_cmp_eq_u32_e64 s13, 0, v57
	s_delay_alu instid0(VALU_DEP_1) | instskip(SKIP_1) | instid1(VALU_DEP_2)
	v_cndmask_b32_e64 v104, v2, 0x78, s13
	v_and_b32_e32 v2, 0x7fffff, v8
	v_add_nc_u32_e32 v8, 20, v104
	s_delay_alu instid0(VALU_DEP_2) | instskip(SKIP_1) | instid1(VALU_DEP_3)
	v_or_b32_e32 v12, 0x800000, v2
	v_add_nc_u32_e32 v13, 19, v104
	v_lshlrev_b64_e64 v[8:9], v8, -1
	s_delay_alu instid0(VALU_DEP_3) | instskip(NEXT) | instid1(VALU_DEP_3)
	v_cndmask_b32_e64 v2, v12, v2, s13
	v_lshlrev_b64_e64 v[12:13], v13, 1
	s_delay_alu instid0(VALU_DEP_3) | instskip(NEXT) | instid1(VALU_DEP_3)
	v_bfi_b32 v19, v9, 0, 0
	v_bfi_b32 v18, v8, 0, v2
	v_lshrrev_b64 v[8:9], v104, v[2:3]
	s_delay_alu instid0(VALU_DEP_2) | instskip(NEXT) | instid1(VALU_DEP_2)
	v_cmp_eq_u64_e64 s14, v[18:19], v[12:13]
	v_mov_b64_e32 v[12:13], v[8:9]
	s_and_saveexec_b32 s77, s14
; %bb.686:                              ;   in Loop: Header=BB2_352 Depth=4
	v_bfe_u32 v2, v8, 20, 1
	s_delay_alu instid0(VALU_DEP_1) | instskip(NEXT) | instid1(VALU_DEP_1)
	v_add_nc_u64_e32 v[12:13], v[8:9], v[2:3]
	v_add_nc_u64_e32 v[12:13], -1, v[12:13]
; %bb.687:                              ;   in Loop: Header=BB2_352 Depth=4
	s_or_b32 exec_lo, exec_lo, s77
	v_add_nc_u32_e32 v2, 0xffffff81, v57
	v_lshrrev_b32_e32 v9, 23, v8
	s_mov_b32 s14, exec_lo
	s_delay_alu instid0(VALU_DEP_2) | instskip(NEXT) | instid1(VALU_DEP_1)
	v_cndmask_b32_e64 v2, v2, 0xffffff82, s13
	v_add3_u32 v13, v104, v2, v9
	v_and_b32_e32 v2, 0xfffff, v12
                                        ; implicit-def: $vgpr12
	s_delay_alu instid0(VALU_DEP_1) | instskip(NEXT) | instid1(VALU_DEP_1)
	v_dual_add_nc_u32 v57, 6, v13 :: v_dual_add_nc_u32 v2, v2, v8
                                        ; implicit-def: $vgpr8_vgpr9
	v_cmpx_ne_u32_e32 0, v57
	s_xor_b32 s14, exec_lo, s14
; %bb.688:                              ;   in Loop: Header=BB2_352 Depth=4
	s_delay_alu instid0(VALU_DEP_2) | instskip(SKIP_1) | instid1(VALU_DEP_1)
	v_cmp_lt_u64_e64 s13, 0xffffff, v[2:3]
	v_add_nc_u32_e32 v8, 7, v13
	v_cndmask_b32_e64 v12, v57, v8, s13
	v_cndmask_b32_e64 v8, 0, 1, s13
	s_delay_alu instid0(VALU_DEP_1)
	v_lshrrev_b64 v[8:9], v8, v[2:3]
; %bb.689:                              ;   in Loop: Header=BB2_352 Depth=4
	s_and_not1_saveexec_b32 s13, s14
; %bb.690:                              ;   in Loop: Header=BB2_352 Depth=4
	v_mov_b64_e32 v[8:9], v[2:3]
	v_bfe_u32 v12, v2, 23, 1
; %bb.691:                              ;   in Loop: Header=BB2_352 Depth=4
	s_or_b32 exec_lo, exec_lo, s13
	s_delay_alu instid0(VALU_DEP_2) | instskip(NEXT) | instid1(VALU_DEP_2)
	v_lshrrev_b64 v[8:9], 20, v[8:9]
	v_cmp_gt_i32_e64 s13, 16, v12
	v_min_i32_e32 v2, 15, v12
	v_cmp_eq_u32_e64 s14, 0, v12
	s_delay_alu instid0(VALU_DEP_2) | instskip(SKIP_1) | instid1(VALU_DEP_2)
	v_dual_cndmask_b32 v9, 0, v9, s13 :: v_dual_lshlrev_b32 v2, 3, v2
	v_cndmask_b32_e64 v8, 7, v8, s13
	v_and_b32_e32 v2, 0xf8, v2
	s_delay_alu instid0(VALU_DEP_2) | instskip(NEXT) | instid1(VALU_DEP_2)
	v_cmp_eq_u64_e64 s13, 0, v[8:9]
	v_and_or_b32 v2, v8, 7, v2
	s_and_b32 s13, s14, s13
	s_delay_alu instid0(VALU_DEP_1) | instid1(SALU_CYCLE_1)
	v_cndmask_b32_e64 v2, v2, 0, s13
	s_delay_alu instid0(VALU_DEP_1)
	v_or_b32_e32 v104, v2, v56
.LBB2_692:                              ;   in Loop: Header=BB2_352 Depth=4
	s_or_b32 exec_lo, exec_lo, s76
                                        ; implicit-def: $vgpr56
.LBB2_693:                              ;   in Loop: Header=BB2_352 Depth=4
	s_and_not1_saveexec_b32 s13, s75
; %bb.694:                              ;   in Loop: Header=BB2_352 Depth=4
	v_or_b32_e32 v104, 0x7e, v56
; %bb.695:                              ;   in Loop: Header=BB2_352 Depth=4
	s_or_b32 exec_lo, exec_lo, s13
                                        ; implicit-def: $vgpr9
.LBB2_696:                              ;   in Loop: Header=BB2_352 Depth=4
	s_and_not1_saveexec_b32 s13, s15
; %bb.697:                              ;   in Loop: Header=BB2_352 Depth=4
	v_or_b32_e32 v104, 0x7f, v9
; %bb.698:                              ;   in Loop: Header=BB2_352 Depth=4
	s_or_b32 exec_lo, exec_lo, s13
	v_mov_b32_e32 v8, 0
	s_mov_b32 s14, exec_lo
	v_cmpx_lt_u32_e32 0xffffff, v14
	s_cbranch_execz .LBB2_706
; %bb.699:                              ;   in Loop: Header=BB2_352 Depth=4
	v_lshrrev_b32_e32 v9, 24, v14
	v_bfrev_b32_e32 v8, 1
	s_mov_b32 s15, exec_lo
	s_delay_alu instid0(VALU_DEP_2)
	v_cmpx_ne_u32_e32 0x80, v9
	s_cbranch_execz .LBB2_705
; %bb.700:                              ;   in Loop: Header=BB2_352 Depth=4
	v_bfe_u32 v12, v14, 24, 7
	v_mov_b32_e32 v8, 0x7f800001
	s_mov_b32 s75, exec_lo
	s_delay_alu instid0(VALU_DEP_2)
	v_cmpx_ne_u32_e32 0x7f, v12
	s_cbranch_execz .LBB2_704
; %bb.701:                              ;   in Loop: Header=BB2_352 Depth=4
	v_dual_lshrrev_b32 v8, 3, v12 :: v_dual_bitop2_b32 v2, 7, v9 bitop3:0x40
	s_mov_b32 s76, exec_lo
	v_cmpx_gt_u32_e32 8, v12
; %bb.702:                              ;   in Loop: Header=BB2_352 Depth=4
	s_delay_alu instid0(VALU_DEP_2) | instskip(NEXT) | instid1(VALU_DEP_1)
	v_clz_i32_u32_e32 v8, v2
	v_min_u32_e32 v8, 32, v8
	s_delay_alu instid0(VALU_DEP_1) | instskip(SKIP_1) | instid1(VALU_DEP_2)
	v_subrev_nc_u32_e32 v12, 28, v8
	v_sub_nc_u32_e32 v8, 29, v8
	v_lshlrev_b64_e32 v[12:13], v12, v[2:3]
	s_delay_alu instid0(VALU_DEP_1)
	v_and_b32_e32 v2, 7, v12
; %bb.703:                              ;   in Loop: Header=BB2_352 Depth=4
	s_or_b32 exec_lo, exec_lo, s76
	s_delay_alu instid0(VALU_DEP_1) | instskip(SKIP_1) | instid1(VALU_DEP_2)
	v_dual_lshlrev_b32 v9, 24, v9 :: v_dual_lshlrev_b32 v2, 20, v2
	v_lshl_add_u32 v8, v8, 23, 0x3c000000
	v_and_b32_e32 v9, 0x80000000, v9
	s_delay_alu instid0(VALU_DEP_1)
	v_or3_b32 v8, v2, v9, v8
.LBB2_704:                              ;   in Loop: Header=BB2_352 Depth=4
	s_or_b32 exec_lo, exec_lo, s75
.LBB2_705:                              ;   in Loop: Header=BB2_352 Depth=4
	s_delay_alu instid0(SALU_CYCLE_1)
	s_or_b32 exec_lo, exec_lo, s15
.LBB2_706:                              ;   in Loop: Header=BB2_352 Depth=4
	s_delay_alu instid0(SALU_CYCLE_1) | instskip(SKIP_3) | instid1(VALU_DEP_3)
	s_or_b32 exec_lo, exec_lo, s14
	v_lshrrev_b32_e32 v2, 24, v10
	v_bfe_u32 v9, v10, 24, 7
	v_cmp_gt_u32_e64 s15, 0x1000000, v10
	v_cmp_eq_u32_e64 s13, 0x80, v2
	s_delay_alu instid0(VALU_DEP_3) | instskip(NEXT) | instid1(VALU_DEP_2)
	v_cmp_eq_u32_e64 s14, 0x7f, v9
	v_cndmask_b32_e64 v12, 0x7f800001, v77, s13
	s_or_b32 s13, s13, s14
	s_delay_alu instid0(SALU_CYCLE_1) | instskip(NEXT) | instid1(VALU_DEP_1)
	s_nor_b32 s13, s15, s13
	v_cndmask_b32_e64 v12, v12, 0, s15
	s_and_saveexec_b32 s14, s13
	s_cbranch_execz .LBB2_708
; %bb.707:                              ;   in Loop: Header=BB2_352 Depth=4
	v_and_b32_e32 v18, 7, v2
	v_cmp_gt_u32_e64 s13, 8, v9
	s_delay_alu instid0(VALU_DEP_2) | instskip(NEXT) | instid1(VALU_DEP_1)
	v_clz_i32_u32_e32 v12, v18
	v_min_u32_e32 v19, 32, v12
	s_delay_alu instid0(VALU_DEP_1) | instskip(NEXT) | instid1(VALU_DEP_1)
	v_subrev_nc_u32_e32 v12, 28, v19
	v_lshlrev_b64_e32 v[12:13], v12, v[2:3]
	v_dual_lshrrev_b32 v13, 3, v9 :: v_dual_sub_nc_u32 v19, 29, v19
	s_delay_alu instid0(VALU_DEP_2) | instskip(NEXT) | instid1(VALU_DEP_2)
	v_dual_lshlrev_b32 v2, 24, v2 :: v_dual_bitop2_b32 v9, 7, v12 bitop3:0x40
	v_cndmask_b32_e64 v12, v13, v19, s13
	s_delay_alu instid0(VALU_DEP_2) | instskip(NEXT) | instid1(VALU_DEP_3)
	v_and_b32_e32 v2, 0x80000000, v2
	v_cndmask_b32_e64 v9, v18, v9, s13
	s_delay_alu instid0(VALU_DEP_3) | instskip(NEXT) | instid1(VALU_DEP_2)
	v_lshl_add_u32 v12, v12, 23, 0x3c000000
	v_lshlrev_b32_e32 v9, 20, v9
	s_delay_alu instid0(VALU_DEP_1)
	v_or3_b32 v12, v9, v2, v12
.LBB2_708:                              ;   in Loop: Header=BB2_352 Depth=4
	s_or_b32 exec_lo, exec_lo, s14
	s_delay_alu instid0(VALU_DEP_1) | instskip(SKIP_1) | instid1(VALU_DEP_1)
	v_add_f32_e32 v8, v8, v12
                                        ; implicit-def: $vgpr105
	s_mov_b32 s14, exec_lo
	v_and_b32_e32 v2, 0x7f800000, v8
	v_lshrrev_b32_e32 v9, 24, v8
	s_delay_alu instid0(VALU_DEP_2)
	v_cmpx_ne_u64_e32 0x7f800000, v[2:3]
	s_xor_b32 s15, exec_lo, s14
	s_cbranch_execz .LBB2_722
; %bb.709:                              ;   in Loop: Header=BB2_352 Depth=4
	v_and_b32_e32 v2, 0x7fffffff, v8
	v_and_b32_e32 v56, 0x80, v9
                                        ; implicit-def: $vgpr105
	s_mov_b32 s14, exec_lo
	s_delay_alu instid0(VALU_DEP_2)
	v_cmpx_gt_u64_e32 0x43e00001, v[2:3]
	s_xor_b32 s75, exec_lo, s14
	s_cbranch_execz .LBB2_719
; %bb.710:                              ;   in Loop: Header=BB2_352 Depth=4
	v_mov_b32_e32 v105, 0
	s_mov_b32 s76, exec_lo
	v_cmpx_ne_u32_e32 0, v8
	s_cbranch_execz .LBB2_718
; %bb.711:                              ;   in Loop: Header=BB2_352 Depth=4
	v_bfe_u32 v57, v8, 23, 8
	s_delay_alu instid0(VALU_DEP_1) | instskip(SKIP_1) | instid1(VALU_DEP_1)
	v_sub_nc_u32_e32 v2, 0x79, v57
	v_cmp_gt_u32_e64 s13, 0x7a, v57
	v_cndmask_b32_e64 v2, 0, v2, s13
	v_cmp_eq_u32_e64 s13, 0, v57
	s_delay_alu instid0(VALU_DEP_1) | instskip(SKIP_1) | instid1(VALU_DEP_2)
	v_cndmask_b32_e64 v105, v2, 0x78, s13
	v_and_b32_e32 v2, 0x7fffff, v8
	v_add_nc_u32_e32 v8, 20, v105
	s_delay_alu instid0(VALU_DEP_2) | instskip(SKIP_1) | instid1(VALU_DEP_3)
	v_or_b32_e32 v12, 0x800000, v2
	v_add_nc_u32_e32 v13, 19, v105
	v_lshlrev_b64_e64 v[8:9], v8, -1
	s_delay_alu instid0(VALU_DEP_3) | instskip(NEXT) | instid1(VALU_DEP_3)
	v_cndmask_b32_e64 v2, v12, v2, s13
	v_lshlrev_b64_e64 v[12:13], v13, 1
	s_delay_alu instid0(VALU_DEP_3) | instskip(NEXT) | instid1(VALU_DEP_3)
	v_bfi_b32 v19, v9, 0, 0
	v_bfi_b32 v18, v8, 0, v2
	v_lshrrev_b64 v[8:9], v105, v[2:3]
	s_delay_alu instid0(VALU_DEP_2) | instskip(NEXT) | instid1(VALU_DEP_2)
	v_cmp_eq_u64_e64 s14, v[18:19], v[12:13]
	v_mov_b64_e32 v[12:13], v[8:9]
	s_and_saveexec_b32 s77, s14
; %bb.712:                              ;   in Loop: Header=BB2_352 Depth=4
	v_bfe_u32 v2, v8, 20, 1
	s_delay_alu instid0(VALU_DEP_1) | instskip(NEXT) | instid1(VALU_DEP_1)
	v_add_nc_u64_e32 v[12:13], v[8:9], v[2:3]
	v_add_nc_u64_e32 v[12:13], -1, v[12:13]
; %bb.713:                              ;   in Loop: Header=BB2_352 Depth=4
	s_or_b32 exec_lo, exec_lo, s77
	v_add_nc_u32_e32 v2, 0xffffff81, v57
	v_lshrrev_b32_e32 v9, 23, v8
	s_mov_b32 s14, exec_lo
	s_delay_alu instid0(VALU_DEP_2) | instskip(NEXT) | instid1(VALU_DEP_1)
	v_cndmask_b32_e64 v2, v2, 0xffffff82, s13
	v_add3_u32 v13, v105, v2, v9
	v_and_b32_e32 v2, 0xfffff, v12
                                        ; implicit-def: $vgpr12
	s_delay_alu instid0(VALU_DEP_1) | instskip(NEXT) | instid1(VALU_DEP_1)
	v_dual_add_nc_u32 v57, 6, v13 :: v_dual_add_nc_u32 v2, v2, v8
                                        ; implicit-def: $vgpr8_vgpr9
	v_cmpx_ne_u32_e32 0, v57
	s_xor_b32 s14, exec_lo, s14
; %bb.714:                              ;   in Loop: Header=BB2_352 Depth=4
	s_delay_alu instid0(VALU_DEP_2) | instskip(SKIP_1) | instid1(VALU_DEP_1)
	v_cmp_lt_u64_e64 s13, 0xffffff, v[2:3]
	v_add_nc_u32_e32 v8, 7, v13
	v_cndmask_b32_e64 v12, v57, v8, s13
	v_cndmask_b32_e64 v8, 0, 1, s13
	s_delay_alu instid0(VALU_DEP_1)
	v_lshrrev_b64 v[8:9], v8, v[2:3]
; %bb.715:                              ;   in Loop: Header=BB2_352 Depth=4
	s_and_not1_saveexec_b32 s13, s14
; %bb.716:                              ;   in Loop: Header=BB2_352 Depth=4
	v_mov_b64_e32 v[8:9], v[2:3]
	v_bfe_u32 v12, v2, 23, 1
; %bb.717:                              ;   in Loop: Header=BB2_352 Depth=4
	s_or_b32 exec_lo, exec_lo, s13
	s_delay_alu instid0(VALU_DEP_2) | instskip(NEXT) | instid1(VALU_DEP_2)
	v_lshrrev_b64 v[8:9], 20, v[8:9]
	v_cmp_gt_i32_e64 s13, 16, v12
	v_min_i32_e32 v2, 15, v12
	v_cmp_eq_u32_e64 s14, 0, v12
	s_delay_alu instid0(VALU_DEP_2) | instskip(SKIP_1) | instid1(VALU_DEP_2)
	v_dual_cndmask_b32 v9, 0, v9, s13 :: v_dual_lshlrev_b32 v2, 3, v2
	v_cndmask_b32_e64 v8, 7, v8, s13
	v_and_b32_e32 v2, 0xf8, v2
	s_delay_alu instid0(VALU_DEP_2) | instskip(NEXT) | instid1(VALU_DEP_2)
	v_cmp_eq_u64_e64 s13, 0, v[8:9]
	v_and_or_b32 v2, v8, 7, v2
	s_and_b32 s13, s14, s13
	s_delay_alu instid0(VALU_DEP_1) | instid1(SALU_CYCLE_1)
	v_cndmask_b32_e64 v2, v2, 0, s13
	s_delay_alu instid0(VALU_DEP_1)
	v_or_b32_e32 v105, v2, v56
.LBB2_718:                              ;   in Loop: Header=BB2_352 Depth=4
	s_or_b32 exec_lo, exec_lo, s76
                                        ; implicit-def: $vgpr56
.LBB2_719:                              ;   in Loop: Header=BB2_352 Depth=4
	s_and_not1_saveexec_b32 s13, s75
; %bb.720:                              ;   in Loop: Header=BB2_352 Depth=4
	v_or_b32_e32 v105, 0x7e, v56
; %bb.721:                              ;   in Loop: Header=BB2_352 Depth=4
	s_or_b32 exec_lo, exec_lo, s13
                                        ; implicit-def: $vgpr9
.LBB2_722:                              ;   in Loop: Header=BB2_352 Depth=4
	s_and_not1_saveexec_b32 s13, s15
; %bb.723:                              ;   in Loop: Header=BB2_352 Depth=4
	v_or_b32_e32 v105, 0x7f, v9
; %bb.724:                              ;   in Loop: Header=BB2_352 Depth=4
	s_or_b32 exec_lo, exec_lo, s13
	v_and_b32_e32 v8, 0xff, v15
	v_dual_mov_b32 v2, v15 :: v_dual_mov_b32 v12, 0
	s_mov_b32 s14, exec_lo
	s_delay_alu instid0(VALU_DEP_2)
	v_cmpx_ne_u16_e32 0, v8
	s_cbranch_execz .LBB2_730
; %bb.725:                              ;   in Loop: Header=BB2_352 Depth=4
	v_bfrev_b32_e32 v12, 1
	s_mov_b32 s15, exec_lo
	v_cmpx_ne_u16_e32 0x80, v8
	s_cbranch_execz .LBB2_729
; %bb.726:                              ;   in Loop: Header=BB2_352 Depth=4
	v_and_b32_e32 v8, 0x7f, v15
	v_mov_b32_e32 v12, 0x7f800001
	s_mov_b32 s75, exec_lo
	s_delay_alu instid0(VALU_DEP_2)
	v_cmpx_ne_u32_e32 0x7f, v8
	s_cbranch_execz .LBB2_728
; %bb.727:                              ;   in Loop: Header=BB2_352 Depth=4
	v_dual_lshrrev_b32 v12, 3, v8 :: v_dual_bitop2_b32 v9, 7, v15 bitop3:0x40
	v_cmp_gt_u32_e64 s13, 8, v8
	s_delay_alu instid0(VALU_DEP_2) | instskip(NEXT) | instid1(VALU_DEP_1)
	v_clz_i32_u32_e32 v9, v9
	v_min_u32_e32 v9, 32, v9
	s_delay_alu instid0(VALU_DEP_1) | instskip(SKIP_1) | instid1(VALU_DEP_2)
	v_subrev_nc_u32_e32 v13, 28, v9
	v_sub_nc_u32_e32 v9, 29, v9
	v_cndmask_b32_e64 v8, 0, v13, s13
	s_delay_alu instid0(VALU_DEP_2) | instskip(NEXT) | instid1(VALU_DEP_2)
	v_cndmask_b32_e64 v12, v12, v9, s13
	v_lshlrev_b64_e32 v[8:9], v8, v[2:3]
	v_lshlrev_b32_e32 v9, 24, v2
	s_delay_alu instid0(VALU_DEP_3) | instskip(NEXT) | instid1(VALU_DEP_2)
	v_lshl_add_u32 v12, v12, 23, 0x3c000000
	v_and_b32_e32 v9, 0x80000000, v9
	s_delay_alu instid0(VALU_DEP_4) | instskip(NEXT) | instid1(VALU_DEP_1)
	v_lshlrev_b32_e32 v8, 20, v8
	v_and_b32_e32 v8, 0x700000, v8
	s_delay_alu instid0(VALU_DEP_1)
	v_or3_b32 v12, v8, v9, v12
.LBB2_728:                              ;   in Loop: Header=BB2_352 Depth=4
	s_or_b32 exec_lo, exec_lo, s75
.LBB2_729:                              ;   in Loop: Header=BB2_352 Depth=4
	s_delay_alu instid0(SALU_CYCLE_1)
	s_or_b32 exec_lo, exec_lo, s15
.LBB2_730:                              ;   in Loop: Header=BB2_352 Depth=4
	s_delay_alu instid0(SALU_CYCLE_1) | instskip(SKIP_4) | instid1(VALU_DEP_2)
	s_or_b32 exec_lo, exec_lo, s14
	v_and_b32_e32 v9, 0xff, v11
	v_mov_b32_e32 v8, v11
	s_mov_b32 s14, 0
	s_mov_b32 s15, exec_lo
	v_cmpx_lt_i16_e32 0x7f, v9
	s_xor_b32 s15, exec_lo, s15
	s_cbranch_execz .LBB2_765
; %bb.731:                              ;   in Loop: Header=BB2_352 Depth=4
	s_mov_b32 s14, -1
	s_mov_b32 s75, exec_lo
	v_cmpx_eq_u16_e32 0x80, v9
; %bb.732:                              ;   in Loop: Header=BB2_352 Depth=4
	s_xor_b32 s14, exec_lo, -1
; %bb.733:                              ;   in Loop: Header=BB2_352 Depth=4
	s_or_b32 exec_lo, exec_lo, s75
	s_delay_alu instid0(SALU_CYCLE_1)
	s_and_b32 s14, s14, exec_lo
                                        ; implicit-def: $vgpr9
	s_or_saveexec_b32 s15, s15
	v_bfrev_b32_e32 v13, 1
	s_xor_b32 exec_lo, exec_lo, s15
	s_cbranch_execnz .LBB2_766
.LBB2_734:                              ;   in Loop: Header=BB2_352 Depth=4
	s_or_b32 exec_lo, exec_lo, s15
	v_mov_b32_e32 v9, v3
	s_and_saveexec_b32 s15, s14
	s_cbranch_execz .LBB2_736
.LBB2_735:                              ;   in Loop: Header=BB2_352 Depth=4
	v_and_b32_e32 v13, 7, v11
	v_and_b32_e32 v56, 0x7f, v11
	v_bfe_u32 v18, v11, 3, 4
	s_delay_alu instid0(VALU_DEP_3) | instskip(NEXT) | instid1(VALU_DEP_3)
	v_clz_i32_u32_e32 v13, v13
	v_cmp_gt_u32_e64 s13, 8, v56
	s_delay_alu instid0(VALU_DEP_2) | instskip(NEXT) | instid1(VALU_DEP_1)
	v_min_u32_e32 v13, 32, v13
	v_subrev_nc_u32_e32 v19, 28, v13
	v_sub_nc_u32_e32 v13, 29, v13
	s_delay_alu instid0(VALU_DEP_1) | instskip(SKIP_1) | instid1(VALU_DEP_2)
	v_dual_cndmask_b32 v13, v18, v13, s13 :: v_dual_cndmask_b32 v18, 0, v19, s13
	v_cmp_ne_u32_e64 s13, 0x7f, v56
	v_lshlrev_b64_e32 v[18:19], v18, v[8:9]
	v_lshlrev_b32_e32 v9, 24, v8
	s_delay_alu instid0(VALU_DEP_1) | instskip(NEXT) | instid1(VALU_DEP_3)
	v_and_b32_e32 v9, 0x80000000, v9
	v_lshlrev_b32_e32 v18, 20, v18
	v_lshl_add_u32 v13, v13, 23, 0x3c000000
	s_delay_alu instid0(VALU_DEP_2) | instskip(NEXT) | instid1(VALU_DEP_1)
	v_and_b32_e32 v18, 0x700000, v18
	v_or3_b32 v9, v18, v9, v13
	s_delay_alu instid0(VALU_DEP_1)
	v_cndmask_b32_e64 v13, 0x7f800001, v9, s13
.LBB2_736:                              ;   in Loop: Header=BB2_352 Depth=4
	s_or_b32 exec_lo, exec_lo, s15
	s_delay_alu instid0(VALU_DEP_1) | instskip(SKIP_1) | instid1(VALU_DEP_1)
	v_dual_add_f32 v12, v12, v13 :: v_dual_mov_b32 v19, v3
                                        ; implicit-def: $vgpr56
	s_mov_b32 s14, exec_lo
	v_and_b32_e32 v18, 0x7f800000, v12
	v_lshrrev_b32_e32 v9, 24, v12
	s_delay_alu instid0(VALU_DEP_2)
	v_cmpx_ne_u64_e32 0x7f800000, v[18:19]
	s_xor_b32 s15, exec_lo, s14
	s_cbranch_execz .LBB2_750
; %bb.737:                              ;   in Loop: Header=BB2_352 Depth=4
	v_and_b32_e32 v18, 0x7fffffff, v12
	v_mov_b32_e32 v19, v3
	v_and_b32_e32 v9, 0x80, v9
                                        ; implicit-def: $vgpr56
	s_mov_b32 s14, exec_lo
	s_delay_alu instid0(VALU_DEP_2)
	v_cmpx_gt_u64_e32 0x43e00001, v[18:19]
	s_xor_b32 s75, exec_lo, s14
	s_cbranch_execz .LBB2_747
; %bb.738:                              ;   in Loop: Header=BB2_352 Depth=4
	v_mov_b32_e32 v56, 0
	s_mov_b32 s76, exec_lo
	v_cmpx_ne_u32_e32 0, v12
	s_cbranch_execz .LBB2_746
; %bb.739:                              ;   in Loop: Header=BB2_352 Depth=4
	v_bfe_u32 v106, v12, 23, 8
	v_and_b32_e32 v18, 0x7fffff, v12
	s_delay_alu instid0(VALU_DEP_2) | instskip(SKIP_1) | instid1(VALU_DEP_3)
	v_sub_nc_u32_e32 v13, 0x79, v106
	v_cmp_gt_u32_e64 s13, 0x7a, v106
	v_or_b32_e32 v19, 0x800000, v18
	s_delay_alu instid0(VALU_DEP_2) | instskip(SKIP_1) | instid1(VALU_DEP_1)
	v_cndmask_b32_e64 v13, 0, v13, s13
	v_cmp_eq_u32_e64 s13, 0, v106
	v_cndmask_b32_e64 v107, v13, 0x78, s13
	s_delay_alu instid0(VALU_DEP_4) | instskip(NEXT) | instid1(VALU_DEP_2)
	v_cndmask_b32_e64 v18, v19, v18, s13
	v_dual_mov_b32 v19, v3 :: v_dual_add_nc_u32 v12, 20, v107
	v_add_nc_u32_e32 v56, 19, v107
	s_delay_alu instid0(VALU_DEP_2) | instskip(NEXT) | instid1(VALU_DEP_2)
	v_lshlrev_b64_e64 v[12:13], v12, -1
	v_lshlrev_b64_e64 v[56:57], v56, 1
	s_delay_alu instid0(VALU_DEP_2) | instskip(NEXT) | instid1(VALU_DEP_3)
	v_bfi_b32 v109, v13, 0, 0
	v_bfi_b32 v108, v12, 0, v18
	v_lshrrev_b64 v[12:13], v107, v[18:19]
	s_delay_alu instid0(VALU_DEP_2) | instskip(NEXT) | instid1(VALU_DEP_2)
	v_cmp_eq_u64_e64 s14, v[108:109], v[56:57]
	v_mov_b64_e32 v[56:57], v[12:13]
	s_and_saveexec_b32 s77, s14
; %bb.740:                              ;   in Loop: Header=BB2_352 Depth=4
	v_bfe_u32 v18, v12, 20, 1
	v_mov_b32_e32 v19, v3
	s_delay_alu instid0(VALU_DEP_1) | instskip(NEXT) | instid1(VALU_DEP_1)
	v_add_nc_u64_e32 v[18:19], v[12:13], v[18:19]
	v_add_nc_u64_e32 v[56:57], -1, v[18:19]
; %bb.741:                              ;   in Loop: Header=BB2_352 Depth=4
	s_or_b32 exec_lo, exec_lo, s77
	v_add_nc_u32_e32 v13, 0xffffff81, v106
	v_lshrrev_b32_e32 v18, 23, v12
	s_mov_b32 s14, exec_lo
	s_delay_alu instid0(VALU_DEP_2) | instskip(NEXT) | instid1(VALU_DEP_1)
	v_cndmask_b32_e64 v13, v13, 0xffffff82, s13
	v_add3_u32 v57, v107, v13, v18
	v_and_b32_e32 v13, 0xfffff, v56
                                        ; implicit-def: $vgpr56
	s_delay_alu instid0(VALU_DEP_1) | instskip(SKIP_1) | instid1(VALU_DEP_2)
	v_dual_add_nc_u32 v106, 6, v57 :: v_dual_add_nc_u32 v12, v13, v12
	v_mov_b32_e32 v13, v3
	v_cmpx_ne_u32_e32 0, v106
	s_xor_b32 s14, exec_lo, s14
; %bb.742:                              ;   in Loop: Header=BB2_352 Depth=4
	s_delay_alu instid0(VALU_DEP_2) | instskip(SKIP_1) | instid1(VALU_DEP_1)
	v_cmp_lt_u64_e64 s13, 0xffffff, v[12:13]
	v_add_nc_u32_e32 v18, 7, v57
	v_cndmask_b32_e64 v56, v106, v18, s13
	v_cndmask_b32_e64 v18, 0, 1, s13
	s_delay_alu instid0(VALU_DEP_1)
	v_lshrrev_b64 v[12:13], v18, v[12:13]
; %bb.743:                              ;   in Loop: Header=BB2_352 Depth=4
	s_and_not1_saveexec_b32 s13, s14
; %bb.744:                              ;   in Loop: Header=BB2_352 Depth=4
	s_delay_alu instid0(VALU_DEP_1)
	v_bfe_u32 v56, v12, 23, 1
; %bb.745:                              ;   in Loop: Header=BB2_352 Depth=4
	s_or_b32 exec_lo, exec_lo, s13
	s_delay_alu instid0(VALU_DEP_2) | instskip(NEXT) | instid1(VALU_DEP_2)
	v_lshrrev_b64 v[12:13], 20, v[12:13]
	v_cmp_gt_i32_e64 s13, 16, v56
	v_min_i32_e32 v18, 15, v56
	v_cmp_eq_u32_e64 s14, 0, v56
	s_delay_alu instid0(VALU_DEP_2) | instskip(SKIP_1) | instid1(VALU_DEP_2)
	v_dual_cndmask_b32 v13, 0, v13, s13 :: v_dual_lshlrev_b32 v18, 3, v18
	v_cndmask_b32_e64 v12, 7, v12, s13
	v_and_b32_e32 v18, 0xf8, v18
	s_delay_alu instid0(VALU_DEP_2) | instskip(NEXT) | instid1(VALU_DEP_2)
	v_cmp_eq_u64_e64 s13, 0, v[12:13]
	v_and_or_b32 v12, v12, 7, v18
	s_and_b32 s13, s14, s13
	s_delay_alu instid0(VALU_DEP_1) | instid1(SALU_CYCLE_1)
	v_cndmask_b32_e64 v12, v12, 0, s13
	s_delay_alu instid0(VALU_DEP_1)
	v_or_b32_e32 v56, v12, v9
.LBB2_746:                              ;   in Loop: Header=BB2_352 Depth=4
	s_or_b32 exec_lo, exec_lo, s76
                                        ; implicit-def: $vgpr9
.LBB2_747:                              ;   in Loop: Header=BB2_352 Depth=4
	s_and_not1_saveexec_b32 s13, s75
; %bb.748:                              ;   in Loop: Header=BB2_352 Depth=4
	v_or_b32_e32 v56, 0x7e, v9
; %bb.749:                              ;   in Loop: Header=BB2_352 Depth=4
	s_or_b32 exec_lo, exec_lo, s13
                                        ; implicit-def: $vgpr9
.LBB2_750:                              ;   in Loop: Header=BB2_352 Depth=4
	s_and_not1_saveexec_b32 s13, s15
; %bb.751:                              ;   in Loop: Header=BB2_352 Depth=4
	v_or_b32_e32 v56, 0x7f, v9
; %bb.752:                              ;   in Loop: Header=BB2_352 Depth=4
	s_or_b32 exec_lo, exec_lo, s13
	v_lshrrev_b16 v12, 8, v2
	v_mov_b32_e32 v9, 0
	s_mov_b32 s14, exec_lo
	s_delay_alu instid0(VALU_DEP_2)
	v_cmpx_ne_u16_e32 0, v12
	s_cbranch_execz .LBB2_760
; %bb.753:                              ;   in Loop: Header=BB2_352 Depth=4
	v_bfrev_b32_e32 v9, 1
	s_mov_b32 s15, exec_lo
	v_cmpx_ne_u16_e32 0x80, v12
	s_cbranch_execz .LBB2_759
; %bb.754:                              ;   in Loop: Header=BB2_352 Depth=4
	v_and_b32_e32 v12, 0xffff, v12
	v_mov_b32_e32 v9, 0x7f800001
	s_mov_b32 s75, exec_lo
	s_delay_alu instid0(VALU_DEP_2) | instskip(NEXT) | instid1(VALU_DEP_1)
	v_and_b32_e32 v57, 0x7f, v12
	v_cmpx_ne_u32_e32 0x7f, v57
	s_cbranch_execz .LBB2_758
; %bb.755:                              ;   in Loop: Header=BB2_352 Depth=4
	v_dual_mov_b32 v13, v3 :: v_dual_bitop2_b32 v12, 7, v12 bitop3:0x40
	v_lshrrev_b32_e32 v9, 3, v57
	s_mov_b32 s76, exec_lo
	v_cmpx_gt_u32_e32 8, v57
; %bb.756:                              ;   in Loop: Header=BB2_352 Depth=4
	s_delay_alu instid0(VALU_DEP_3) | instskip(NEXT) | instid1(VALU_DEP_1)
	v_clz_i32_u32_e32 v9, v12
	v_min_u32_e32 v9, 32, v9
	s_delay_alu instid0(VALU_DEP_1) | instskip(NEXT) | instid1(VALU_DEP_1)
	v_subrev_nc_u32_e32 v18, 28, v9
	v_lshlrev_b64_e32 v[12:13], v18, v[12:13]
	s_delay_alu instid0(VALU_DEP_1)
	v_dual_sub_nc_u32 v9, 29, v9 :: v_dual_bitop2_b32 v12, 7, v12 bitop3:0x40
; %bb.757:                              ;   in Loop: Header=BB2_352 Depth=4
	s_or_b32 exec_lo, exec_lo, s76
	s_delay_alu instid0(VALU_DEP_1) | instskip(NEXT) | instid1(VALU_DEP_2)
	v_dual_lshlrev_b32 v2, 16, v2 :: v_dual_lshlrev_b32 v12, 20, v12
	v_lshl_add_u32 v9, v9, 23, 0x3c000000
	s_delay_alu instid0(VALU_DEP_2) | instskip(NEXT) | instid1(VALU_DEP_1)
	v_and_b32_e32 v2, 0x80000000, v2
	v_or3_b32 v9, v12, v2, v9
.LBB2_758:                              ;   in Loop: Header=BB2_352 Depth=4
	s_or_b32 exec_lo, exec_lo, s75
.LBB2_759:                              ;   in Loop: Header=BB2_352 Depth=4
	s_delay_alu instid0(SALU_CYCLE_1)
	s_or_b32 exec_lo, exec_lo, s15
.LBB2_760:                              ;   in Loop: Header=BB2_352 Depth=4
	s_delay_alu instid0(SALU_CYCLE_1) | instskip(SKIP_3) | instid1(VALU_DEP_1)
	s_or_b32 exec_lo, exec_lo, s14
	v_lshrrev_b16 v8, 8, v8
	s_mov_b32 s15, 0
	s_mov_b32 s14, exec_lo
	v_cmpx_lt_i16_e32 0x7f, v8
	s_xor_b32 s14, exec_lo, s14
	s_cbranch_execz .LBB2_767
; %bb.761:                              ;   in Loop: Header=BB2_352 Depth=4
	s_mov_b32 s15, -1
	s_mov_b32 s75, exec_lo
	v_cmpx_eq_u16_e32 0x80, v8
; %bb.762:                              ;   in Loop: Header=BB2_352 Depth=4
	s_xor_b32 s15, exec_lo, -1
; %bb.763:                              ;   in Loop: Header=BB2_352 Depth=4
	s_or_b32 exec_lo, exec_lo, s75
	s_delay_alu instid0(SALU_CYCLE_1)
	s_and_b32 s15, s15, exec_lo
	s_or_saveexec_b32 s14, s14
	v_bfrev_b32_e32 v12, 1
	s_xor_b32 exec_lo, exec_lo, s14
	s_cbranch_execnz .LBB2_768
.LBB2_764:                              ;   in Loop: Header=BB2_352 Depth=4
	s_or_b32 exec_lo, exec_lo, s14
	s_and_saveexec_b32 s14, s15
	s_cbranch_execnz .LBB2_769
	s_branch .LBB2_772
.LBB2_765:                              ;   in Loop: Header=BB2_352 Depth=4
	s_or_saveexec_b32 s15, s15
	v_bfrev_b32_e32 v13, 1
	s_xor_b32 exec_lo, exec_lo, s15
	s_cbranch_execz .LBB2_734
.LBB2_766:                              ;   in Loop: Header=BB2_352 Depth=4
	v_cmp_ne_u16_e64 s13, 0, v9
	v_mov_b32_e32 v13, 0
	s_and_not1_b32 s14, s14, exec_lo
	s_and_b32 s13, s13, exec_lo
	s_delay_alu instid0(SALU_CYCLE_1)
	s_or_b32 s14, s14, s13
	s_or_b32 exec_lo, exec_lo, s15
	v_mov_b32_e32 v9, v3
	s_and_saveexec_b32 s15, s14
	s_cbranch_execnz .LBB2_735
	s_branch .LBB2_736
.LBB2_767:                              ;   in Loop: Header=BB2_352 Depth=4
	s_or_saveexec_b32 s14, s14
	v_bfrev_b32_e32 v12, 1
	s_xor_b32 exec_lo, exec_lo, s14
	s_cbranch_execz .LBB2_764
.LBB2_768:                              ;   in Loop: Header=BB2_352 Depth=4
	v_cmp_ne_u16_e64 s13, 0, v8
	v_mov_b32_e32 v12, 0
	s_and_not1_b32 s15, s15, exec_lo
	s_and_b32 s13, s13, exec_lo
	s_delay_alu instid0(SALU_CYCLE_1)
	s_or_b32 s15, s15, s13
	s_or_b32 exec_lo, exec_lo, s14
	s_and_saveexec_b32 s14, s15
	s_cbranch_execz .LBB2_772
.LBB2_769:                              ;   in Loop: Header=BB2_352 Depth=4
	v_and_b32_e32 v2, 0xffff, v8
	v_mov_b32_e32 v12, 0x7f800001
	s_mov_b32 s15, exec_lo
	s_delay_alu instid0(VALU_DEP_2) | instskip(NEXT) | instid1(VALU_DEP_1)
	v_and_b32_e32 v13, 0x7f, v2
	v_cmpx_ne_u32_e32 0x7f, v13
	s_cbranch_execz .LBB2_771
; %bb.770:                              ;   in Loop: Header=BB2_352 Depth=4
	v_and_b32_e32 v12, 7, v2
	v_cmp_gt_u32_e64 s13, 8, v13
	s_delay_alu instid0(VALU_DEP_2) | instskip(NEXT) | instid1(VALU_DEP_1)
	v_clz_i32_u32_e32 v18, v12
	v_min_u32_e32 v57, 32, v18
	s_delay_alu instid0(VALU_DEP_1) | instskip(NEXT) | instid1(VALU_DEP_1)
	v_subrev_nc_u32_e32 v18, 28, v57
	v_lshlrev_b64_e32 v[18:19], v18, v[2:3]
	v_lshrrev_b32_e32 v2, 3, v13
	s_delay_alu instid0(VALU_DEP_2) | instskip(NEXT) | instid1(VALU_DEP_1)
	v_dual_sub_nc_u32 v19, 29, v57 :: v_dual_bitop2_b32 v13, 7, v18 bitop3:0x40
	v_dual_lshlrev_b32 v8, 24, v8 :: v_dual_cndmask_b32 v2, v2, v19, s13
	s_delay_alu instid0(VALU_DEP_2) | instskip(NEXT) | instid1(VALU_DEP_2)
	v_cndmask_b32_e64 v12, v12, v13, s13
	v_and_b32_e32 v8, 0x80000000, v8
	s_delay_alu instid0(VALU_DEP_3) | instskip(NEXT) | instid1(VALU_DEP_3)
	v_lshl_add_u32 v2, v2, 23, 0x3c000000
	v_lshlrev_b32_e32 v12, 20, v12
	s_delay_alu instid0(VALU_DEP_1)
	v_or3_b32 v12, v12, v8, v2
.LBB2_771:                              ;   in Loop: Header=BB2_352 Depth=4
	s_or_b32 exec_lo, exec_lo, s15
.LBB2_772:                              ;   in Loop: Header=BB2_352 Depth=4
	s_delay_alu instid0(SALU_CYCLE_1) | instskip(NEXT) | instid1(VALU_DEP_1)
	s_or_b32 exec_lo, exec_lo, s14
	v_add_f32_e32 v8, v9, v12
                                        ; implicit-def: $vgpr57
	s_mov_b32 s14, exec_lo
	s_delay_alu instid0(VALU_DEP_1) | instskip(SKIP_1) | instid1(VALU_DEP_2)
	v_and_b32_e32 v2, 0x7f800000, v8
	v_lshrrev_b32_e32 v9, 24, v8
	v_cmpx_ne_u64_e32 0x7f800000, v[2:3]
	s_xor_b32 s15, exec_lo, s14
	s_cbranch_execz .LBB2_786
; %bb.773:                              ;   in Loop: Header=BB2_352 Depth=4
	v_and_b32_e32 v2, 0x7fffffff, v8
	v_and_b32_e32 v106, 0x80, v9
                                        ; implicit-def: $vgpr57
	s_mov_b32 s14, exec_lo
	s_delay_alu instid0(VALU_DEP_2)
	v_cmpx_gt_u64_e32 0x43e00001, v[2:3]
	s_xor_b32 s75, exec_lo, s14
	s_cbranch_execz .LBB2_783
; %bb.774:                              ;   in Loop: Header=BB2_352 Depth=4
	v_mov_b32_e32 v57, 0
	s_mov_b32 s76, exec_lo
	v_cmpx_ne_u32_e32 0, v8
	s_cbranch_execz .LBB2_782
; %bb.775:                              ;   in Loop: Header=BB2_352 Depth=4
	v_bfe_u32 v57, v8, 23, 8
	s_delay_alu instid0(VALU_DEP_1) | instskip(SKIP_1) | instid1(VALU_DEP_1)
	v_sub_nc_u32_e32 v2, 0x79, v57
	v_cmp_gt_u32_e64 s13, 0x7a, v57
	v_cndmask_b32_e64 v2, 0, v2, s13
	v_cmp_eq_u32_e64 s13, 0, v57
	s_delay_alu instid0(VALU_DEP_1) | instskip(SKIP_1) | instid1(VALU_DEP_2)
	v_cndmask_b32_e64 v107, v2, 0x78, s13
	v_and_b32_e32 v2, 0x7fffff, v8
	v_add_nc_u32_e32 v8, 20, v107
	s_delay_alu instid0(VALU_DEP_2) | instskip(SKIP_1) | instid1(VALU_DEP_3)
	v_or_b32_e32 v12, 0x800000, v2
	v_add_nc_u32_e32 v13, 19, v107
	v_lshlrev_b64_e64 v[8:9], v8, -1
	s_delay_alu instid0(VALU_DEP_3) | instskip(NEXT) | instid1(VALU_DEP_3)
	v_cndmask_b32_e64 v2, v12, v2, s13
	v_lshlrev_b64_e64 v[12:13], v13, 1
	s_delay_alu instid0(VALU_DEP_3) | instskip(NEXT) | instid1(VALU_DEP_3)
	v_bfi_b32 v19, v9, 0, 0
	v_bfi_b32 v18, v8, 0, v2
	v_lshrrev_b64 v[8:9], v107, v[2:3]
	s_delay_alu instid0(VALU_DEP_2) | instskip(NEXT) | instid1(VALU_DEP_2)
	v_cmp_eq_u64_e64 s14, v[18:19], v[12:13]
	v_mov_b64_e32 v[12:13], v[8:9]
	s_and_saveexec_b32 s77, s14
; %bb.776:                              ;   in Loop: Header=BB2_352 Depth=4
	v_bfe_u32 v2, v8, 20, 1
	s_delay_alu instid0(VALU_DEP_1) | instskip(NEXT) | instid1(VALU_DEP_1)
	v_add_nc_u64_e32 v[12:13], v[8:9], v[2:3]
	v_add_nc_u64_e32 v[12:13], -1, v[12:13]
; %bb.777:                              ;   in Loop: Header=BB2_352 Depth=4
	s_or_b32 exec_lo, exec_lo, s77
	v_add_nc_u32_e32 v2, 0xffffff81, v57
	v_lshrrev_b32_e32 v9, 23, v8
	s_mov_b32 s14, exec_lo
	s_delay_alu instid0(VALU_DEP_2) | instskip(NEXT) | instid1(VALU_DEP_1)
	v_cndmask_b32_e64 v2, v2, 0xffffff82, s13
	v_add3_u32 v13, v107, v2, v9
	v_and_b32_e32 v2, 0xfffff, v12
                                        ; implicit-def: $vgpr12
	s_delay_alu instid0(VALU_DEP_1) | instskip(NEXT) | instid1(VALU_DEP_1)
	v_dual_add_nc_u32 v57, 6, v13 :: v_dual_add_nc_u32 v2, v2, v8
                                        ; implicit-def: $vgpr8_vgpr9
	v_cmpx_ne_u32_e32 0, v57
	s_xor_b32 s14, exec_lo, s14
; %bb.778:                              ;   in Loop: Header=BB2_352 Depth=4
	s_delay_alu instid0(VALU_DEP_2) | instskip(SKIP_1) | instid1(VALU_DEP_1)
	v_cmp_lt_u64_e64 s13, 0xffffff, v[2:3]
	v_add_nc_u32_e32 v8, 7, v13
	v_cndmask_b32_e64 v12, v57, v8, s13
	v_cndmask_b32_e64 v8, 0, 1, s13
	s_delay_alu instid0(VALU_DEP_1)
	v_lshrrev_b64 v[8:9], v8, v[2:3]
; %bb.779:                              ;   in Loop: Header=BB2_352 Depth=4
	s_and_not1_saveexec_b32 s13, s14
; %bb.780:                              ;   in Loop: Header=BB2_352 Depth=4
	v_mov_b64_e32 v[8:9], v[2:3]
	v_bfe_u32 v12, v2, 23, 1
; %bb.781:                              ;   in Loop: Header=BB2_352 Depth=4
	s_or_b32 exec_lo, exec_lo, s13
	s_delay_alu instid0(VALU_DEP_2) | instskip(NEXT) | instid1(VALU_DEP_2)
	v_lshrrev_b64 v[8:9], 20, v[8:9]
	v_cmp_gt_i32_e64 s13, 16, v12
	v_min_i32_e32 v2, 15, v12
	v_cmp_eq_u32_e64 s14, 0, v12
	s_delay_alu instid0(VALU_DEP_2) | instskip(SKIP_1) | instid1(VALU_DEP_2)
	v_dual_cndmask_b32 v9, 0, v9, s13 :: v_dual_lshlrev_b32 v2, 3, v2
	v_cndmask_b32_e64 v8, 7, v8, s13
	v_and_b32_e32 v2, 0xf8, v2
	s_delay_alu instid0(VALU_DEP_2) | instskip(NEXT) | instid1(VALU_DEP_2)
	v_cmp_eq_u64_e64 s13, 0, v[8:9]
	v_and_or_b32 v2, v8, 7, v2
	s_and_b32 s13, s14, s13
	s_delay_alu instid0(VALU_DEP_1) | instid1(SALU_CYCLE_1)
	v_cndmask_b32_e64 v2, v2, 0, s13
	s_delay_alu instid0(VALU_DEP_1)
	v_or_b32_e32 v57, v2, v106
.LBB2_782:                              ;   in Loop: Header=BB2_352 Depth=4
	s_or_b32 exec_lo, exec_lo, s76
                                        ; implicit-def: $vgpr106
.LBB2_783:                              ;   in Loop: Header=BB2_352 Depth=4
	s_and_not1_saveexec_b32 s13, s75
; %bb.784:                              ;   in Loop: Header=BB2_352 Depth=4
	v_or_b32_e32 v57, 0x7e, v106
; %bb.785:                              ;   in Loop: Header=BB2_352 Depth=4
	s_or_b32 exec_lo, exec_lo, s13
                                        ; implicit-def: $vgpr9
.LBB2_786:                              ;   in Loop: Header=BB2_352 Depth=4
	s_and_not1_saveexec_b32 s13, s15
; %bb.787:                              ;   in Loop: Header=BB2_352 Depth=4
	v_or_b32_e32 v57, 0x7f, v9
; %bb.788:                              ;   in Loop: Header=BB2_352 Depth=4
	s_or_b32 exec_lo, exec_lo, s13
	v_dual_mov_b32 v8, 0 :: v_dual_lshrrev_b32 v9, 16, v15
	s_mov_b32 s14, exec_lo
	s_delay_alu instid0(VALU_DEP_1) | instskip(NEXT) | instid1(VALU_DEP_1)
	v_and_b32_e32 v2, 0xff, v9
	v_cmpx_ne_u16_e32 0, v2
	s_cbranch_execz .LBB2_796
; %bb.789:                              ;   in Loop: Header=BB2_352 Depth=4
	v_bfrev_b32_e32 v8, 1
	s_mov_b32 s15, exec_lo
	v_cmpx_ne_u16_e32 0x80, v2
	s_cbranch_execz .LBB2_795
; %bb.790:                              ;   in Loop: Header=BB2_352 Depth=4
	v_bfe_u32 v12, v15, 16, 7
	v_mov_b32_e32 v8, 0x7f800001
	s_mov_b32 s75, exec_lo
	s_delay_alu instid0(VALU_DEP_2)
	v_cmpx_ne_u32_e32 0x7f, v12
	s_cbranch_execz .LBB2_794
; %bb.791:                              ;   in Loop: Header=BB2_352 Depth=4
	v_dual_lshrrev_b32 v8, 3, v12 :: v_dual_bitop2_b32 v2, 7, v9 bitop3:0x40
	s_mov_b32 s76, exec_lo
	v_cmpx_gt_u32_e32 8, v12
; %bb.792:                              ;   in Loop: Header=BB2_352 Depth=4
	s_delay_alu instid0(VALU_DEP_2) | instskip(NEXT) | instid1(VALU_DEP_1)
	v_clz_i32_u32_e32 v8, v2
	v_min_u32_e32 v8, 32, v8
	s_delay_alu instid0(VALU_DEP_1) | instskip(SKIP_1) | instid1(VALU_DEP_2)
	v_subrev_nc_u32_e32 v12, 28, v8
	v_sub_nc_u32_e32 v8, 29, v8
	v_lshlrev_b64_e32 v[12:13], v12, v[2:3]
	s_delay_alu instid0(VALU_DEP_1)
	v_and_b32_e32 v2, 7, v12
; %bb.793:                              ;   in Loop: Header=BB2_352 Depth=4
	s_or_b32 exec_lo, exec_lo, s76
	s_delay_alu instid0(VALU_DEP_1) | instskip(SKIP_1) | instid1(VALU_DEP_2)
	v_dual_lshlrev_b32 v9, 24, v9 :: v_dual_lshlrev_b32 v2, 20, v2
	v_lshl_add_u32 v8, v8, 23, 0x3c000000
	v_and_b32_e32 v9, 0x80000000, v9
	s_delay_alu instid0(VALU_DEP_1)
	v_or3_b32 v8, v2, v9, v8
.LBB2_794:                              ;   in Loop: Header=BB2_352 Depth=4
	s_or_b32 exec_lo, exec_lo, s75
.LBB2_795:                              ;   in Loop: Header=BB2_352 Depth=4
	s_delay_alu instid0(SALU_CYCLE_1)
	s_or_b32 exec_lo, exec_lo, s15
.LBB2_796:                              ;   in Loop: Header=BB2_352 Depth=4
	s_delay_alu instid0(SALU_CYCLE_1) | instskip(SKIP_3) | instid1(VALU_DEP_1)
	s_or_b32 exec_lo, exec_lo, s14
	v_lshrrev_b32_e32 v2, 16, v11
	s_mov_b32 s15, 0
	s_mov_b32 s14, exec_lo
	v_and_b32_e32 v12, 0xff, v2
	s_delay_alu instid0(VALU_DEP_1)
	v_cmpx_lt_i16_e32 0x7f, v12
	s_xor_b32 s14, exec_lo, s14
	s_cbranch_execz .LBB2_801
; %bb.797:                              ;   in Loop: Header=BB2_352 Depth=4
	s_mov_b32 s15, -1
	s_mov_b32 s75, exec_lo
	v_cmpx_eq_u16_e32 0x80, v12
; %bb.798:                              ;   in Loop: Header=BB2_352 Depth=4
	s_xor_b32 s15, exec_lo, -1
; %bb.799:                              ;   in Loop: Header=BB2_352 Depth=4
	s_or_b32 exec_lo, exec_lo, s75
	s_delay_alu instid0(SALU_CYCLE_1)
	s_and_b32 s15, s15, exec_lo
                                        ; implicit-def: $vgpr12
	s_or_saveexec_b32 s14, s14
	v_bfrev_b32_e32 v9, 1
	s_xor_b32 exec_lo, exec_lo, s14
	s_cbranch_execnz .LBB2_802
.LBB2_800:                              ;   in Loop: Header=BB2_352 Depth=4
	s_or_b32 exec_lo, exec_lo, s14
	s_and_saveexec_b32 s14, s15
	s_cbranch_execnz .LBB2_803
	s_branch .LBB2_806
.LBB2_801:                              ;   in Loop: Header=BB2_352 Depth=4
	s_or_saveexec_b32 s14, s14
	v_bfrev_b32_e32 v9, 1
	s_xor_b32 exec_lo, exec_lo, s14
	s_cbranch_execz .LBB2_800
.LBB2_802:                              ;   in Loop: Header=BB2_352 Depth=4
	v_cmp_ne_u16_e64 s13, 0, v12
	v_mov_b32_e32 v9, 0
	s_and_not1_b32 s15, s15, exec_lo
	s_and_b32 s13, s13, exec_lo
	s_delay_alu instid0(SALU_CYCLE_1)
	s_or_b32 s15, s15, s13
	s_or_b32 exec_lo, exec_lo, s14
	s_and_saveexec_b32 s14, s15
	s_cbranch_execz .LBB2_806
.LBB2_803:                              ;   in Loop: Header=BB2_352 Depth=4
	v_and_b32_e32 v12, 0x7f, v2
	v_mov_b32_e32 v9, 0x7f800001
	s_mov_b32 s15, exec_lo
	s_delay_alu instid0(VALU_DEP_2)
	v_cmpx_ne_u32_e32 0x7f, v12
	s_cbranch_execz .LBB2_805
; %bb.804:                              ;   in Loop: Header=BB2_352 Depth=4
	v_and_b32_e32 v9, 7, v2
	v_cmp_gt_u32_e64 s13, 8, v12
	s_delay_alu instid0(VALU_DEP_2) | instskip(NEXT) | instid1(VALU_DEP_1)
	v_clz_i32_u32_e32 v13, v9
	v_min_u32_e32 v13, 32, v13
	s_delay_alu instid0(VALU_DEP_1) | instskip(NEXT) | instid1(VALU_DEP_1)
	v_subrev_nc_u32_e32 v18, 28, v13
	v_lshlrev_b64_e32 v[18:19], v18, v[2:3]
	v_dual_lshrrev_b32 v19, 3, v12 :: v_dual_sub_nc_u32 v13, 29, v13
	s_delay_alu instid0(VALU_DEP_2) | instskip(NEXT) | instid1(VALU_DEP_2)
	v_and_b32_e32 v12, 7, v18
	v_dual_lshlrev_b32 v2, 24, v2 :: v_dual_cndmask_b32 v13, v19, v13, s13
	s_delay_alu instid0(VALU_DEP_2) | instskip(NEXT) | instid1(VALU_DEP_2)
	v_cndmask_b32_e64 v9, v9, v12, s13
	v_and_b32_e32 v2, 0x80000000, v2
	s_delay_alu instid0(VALU_DEP_3) | instskip(NEXT) | instid1(VALU_DEP_3)
	v_lshl_add_u32 v12, v13, 23, 0x3c000000
	v_lshlrev_b32_e32 v9, 20, v9
	s_delay_alu instid0(VALU_DEP_1)
	v_or3_b32 v9, v9, v2, v12
.LBB2_805:                              ;   in Loop: Header=BB2_352 Depth=4
	s_or_b32 exec_lo, exec_lo, s15
.LBB2_806:                              ;   in Loop: Header=BB2_352 Depth=4
	s_delay_alu instid0(SALU_CYCLE_1) | instskip(NEXT) | instid1(VALU_DEP_1)
	s_or_b32 exec_lo, exec_lo, s14
	v_add_f32_e32 v8, v8, v9
                                        ; implicit-def: $vgpr12
	s_mov_b32 s14, exec_lo
	s_delay_alu instid0(VALU_DEP_1) | instskip(SKIP_1) | instid1(VALU_DEP_2)
	v_and_b32_e32 v2, 0x7f800000, v8
	v_lshrrev_b32_e32 v9, 24, v8
	v_cmpx_ne_u64_e32 0x7f800000, v[2:3]
	s_xor_b32 s15, exec_lo, s14
	s_cbranch_execz .LBB2_820
; %bb.807:                              ;   in Loop: Header=BB2_352 Depth=4
	v_and_b32_e32 v2, 0x7fffffff, v8
	v_and_b32_e32 v106, 0x80, v9
                                        ; implicit-def: $vgpr12
	s_mov_b32 s14, exec_lo
	s_delay_alu instid0(VALU_DEP_2)
	v_cmpx_gt_u64_e32 0x43e00001, v[2:3]
	s_xor_b32 s75, exec_lo, s14
	s_cbranch_execz .LBB2_817
; %bb.808:                              ;   in Loop: Header=BB2_352 Depth=4
	v_mov_b32_e32 v12, 0
	s_mov_b32 s76, exec_lo
	v_cmpx_ne_u32_e32 0, v8
	s_cbranch_execz .LBB2_816
; %bb.809:                              ;   in Loop: Header=BB2_352 Depth=4
	v_bfe_u32 v107, v8, 23, 8
	s_delay_alu instid0(VALU_DEP_1) | instskip(SKIP_1) | instid1(VALU_DEP_1)
	v_sub_nc_u32_e32 v2, 0x79, v107
	v_cmp_gt_u32_e64 s13, 0x7a, v107
	v_cndmask_b32_e64 v2, 0, v2, s13
	v_cmp_eq_u32_e64 s13, 0, v107
	s_delay_alu instid0(VALU_DEP_1) | instskip(SKIP_1) | instid1(VALU_DEP_2)
	v_cndmask_b32_e64 v108, v2, 0x78, s13
	v_and_b32_e32 v2, 0x7fffff, v8
	v_add_nc_u32_e32 v8, 20, v108
	s_delay_alu instid0(VALU_DEP_2) | instskip(SKIP_1) | instid1(VALU_DEP_3)
	v_or_b32_e32 v12, 0x800000, v2
	v_add_nc_u32_e32 v13, 19, v108
	v_lshlrev_b64_e64 v[8:9], v8, -1
	s_delay_alu instid0(VALU_DEP_3) | instskip(NEXT) | instid1(VALU_DEP_3)
	v_cndmask_b32_e64 v2, v12, v2, s13
	v_lshlrev_b64_e64 v[12:13], v13, 1
	s_delay_alu instid0(VALU_DEP_3) | instskip(NEXT) | instid1(VALU_DEP_3)
	v_bfi_b32 v19, v9, 0, 0
	v_bfi_b32 v18, v8, 0, v2
	v_lshrrev_b64 v[8:9], v108, v[2:3]
	s_delay_alu instid0(VALU_DEP_2) | instskip(NEXT) | instid1(VALU_DEP_2)
	v_cmp_eq_u64_e64 s14, v[18:19], v[12:13]
	v_mov_b64_e32 v[12:13], v[8:9]
	s_and_saveexec_b32 s77, s14
; %bb.810:                              ;   in Loop: Header=BB2_352 Depth=4
	v_bfe_u32 v2, v8, 20, 1
	s_delay_alu instid0(VALU_DEP_1) | instskip(NEXT) | instid1(VALU_DEP_1)
	v_add_nc_u64_e32 v[12:13], v[8:9], v[2:3]
	v_add_nc_u64_e32 v[12:13], -1, v[12:13]
; %bb.811:                              ;   in Loop: Header=BB2_352 Depth=4
	s_or_b32 exec_lo, exec_lo, s77
	v_add_nc_u32_e32 v2, 0xffffff81, v107
	v_lshrrev_b32_e32 v9, 23, v8
	s_mov_b32 s14, exec_lo
	s_delay_alu instid0(VALU_DEP_2) | instskip(NEXT) | instid1(VALU_DEP_1)
	v_cndmask_b32_e64 v2, v2, 0xffffff82, s13
	v_add3_u32 v13, v108, v2, v9
	v_and_b32_e32 v2, 0xfffff, v12
                                        ; implicit-def: $vgpr12
	s_delay_alu instid0(VALU_DEP_1) | instskip(NEXT) | instid1(VALU_DEP_1)
	v_dual_add_nc_u32 v107, 6, v13 :: v_dual_add_nc_u32 v2, v2, v8
                                        ; implicit-def: $vgpr8_vgpr9
	v_cmpx_ne_u32_e32 0, v107
	s_xor_b32 s14, exec_lo, s14
; %bb.812:                              ;   in Loop: Header=BB2_352 Depth=4
	s_delay_alu instid0(VALU_DEP_2) | instskip(SKIP_1) | instid1(VALU_DEP_1)
	v_cmp_lt_u64_e64 s13, 0xffffff, v[2:3]
	v_add_nc_u32_e32 v8, 7, v13
	v_cndmask_b32_e64 v12, v107, v8, s13
	v_cndmask_b32_e64 v8, 0, 1, s13
	s_delay_alu instid0(VALU_DEP_1)
	v_lshrrev_b64 v[8:9], v8, v[2:3]
; %bb.813:                              ;   in Loop: Header=BB2_352 Depth=4
	s_and_not1_saveexec_b32 s13, s14
; %bb.814:                              ;   in Loop: Header=BB2_352 Depth=4
	v_mov_b64_e32 v[8:9], v[2:3]
	v_bfe_u32 v12, v2, 23, 1
; %bb.815:                              ;   in Loop: Header=BB2_352 Depth=4
	s_or_b32 exec_lo, exec_lo, s13
	s_delay_alu instid0(VALU_DEP_2) | instskip(NEXT) | instid1(VALU_DEP_2)
	v_lshrrev_b64 v[8:9], 20, v[8:9]
	v_cmp_gt_i32_e64 s13, 16, v12
	v_min_i32_e32 v2, 15, v12
	v_cmp_eq_u32_e64 s14, 0, v12
	s_delay_alu instid0(VALU_DEP_2) | instskip(SKIP_1) | instid1(VALU_DEP_2)
	v_dual_cndmask_b32 v9, 0, v9, s13 :: v_dual_lshlrev_b32 v2, 3, v2
	v_cndmask_b32_e64 v8, 7, v8, s13
	v_and_b32_e32 v2, 0xf8, v2
	s_delay_alu instid0(VALU_DEP_2) | instskip(NEXT) | instid1(VALU_DEP_2)
	v_cmp_eq_u64_e64 s13, 0, v[8:9]
	v_and_or_b32 v2, v8, 7, v2
	s_and_b32 s13, s14, s13
	s_delay_alu instid0(VALU_DEP_1) | instid1(SALU_CYCLE_1)
	v_cndmask_b32_e64 v2, v2, 0, s13
	s_delay_alu instid0(VALU_DEP_1)
	v_or_b32_e32 v12, v2, v106
.LBB2_816:                              ;   in Loop: Header=BB2_352 Depth=4
	s_or_b32 exec_lo, exec_lo, s76
                                        ; implicit-def: $vgpr106
.LBB2_817:                              ;   in Loop: Header=BB2_352 Depth=4
	s_and_not1_saveexec_b32 s13, s75
; %bb.818:                              ;   in Loop: Header=BB2_352 Depth=4
	v_or_b32_e32 v12, 0x7e, v106
; %bb.819:                              ;   in Loop: Header=BB2_352 Depth=4
	s_or_b32 exec_lo, exec_lo, s13
                                        ; implicit-def: $vgpr9
.LBB2_820:                              ;   in Loop: Header=BB2_352 Depth=4
	s_and_not1_saveexec_b32 s13, s15
; %bb.821:                              ;   in Loop: Header=BB2_352 Depth=4
	v_or_b32_e32 v12, 0x7f, v9
; %bb.822:                              ;   in Loop: Header=BB2_352 Depth=4
	s_or_b32 exec_lo, exec_lo, s13
	v_mov_b32_e32 v8, 0
	s_mov_b32 s14, exec_lo
	v_cmpx_lt_u64_e64 s[22:23], v[14:15]
	s_cbranch_execz .LBB2_830
; %bb.823:                              ;   in Loop: Header=BB2_352 Depth=4
	v_lshrrev_b32_e32 v9, 24, v15
	v_bfrev_b32_e32 v8, 1
	s_mov_b32 s15, exec_lo
	s_delay_alu instid0(VALU_DEP_2)
	v_cmpx_ne_u32_e32 0x80, v9
	s_cbranch_execz .LBB2_829
; %bb.824:                              ;   in Loop: Header=BB2_352 Depth=4
	v_bfe_u32 v13, v15, 24, 7
	v_mov_b32_e32 v8, 0x7f800001
	s_mov_b32 s75, exec_lo
	s_delay_alu instid0(VALU_DEP_2)
	v_cmpx_ne_u32_e32 0x7f, v13
	s_cbranch_execz .LBB2_828
; %bb.825:                              ;   in Loop: Header=BB2_352 Depth=4
	v_and_b32_e32 v2, 7, v9
	v_lshrrev_b32_e32 v8, 3, v13
	s_mov_b32 s76, exec_lo
	v_cmpx_gt_u32_e32 8, v13
; %bb.826:                              ;   in Loop: Header=BB2_352 Depth=4
	s_delay_alu instid0(VALU_DEP_3) | instskip(NEXT) | instid1(VALU_DEP_1)
	v_clz_i32_u32_e32 v8, v2
	v_min_u32_e32 v8, 32, v8
	s_delay_alu instid0(VALU_DEP_1) | instskip(NEXT) | instid1(VALU_DEP_1)
	v_subrev_nc_u32_e32 v13, 28, v8
	v_lshlrev_b64_e32 v[14:15], v13, v[2:3]
	s_delay_alu instid0(VALU_DEP_1)
	v_dual_sub_nc_u32 v8, 29, v8 :: v_dual_bitop2_b32 v2, 7, v14 bitop3:0x40
; %bb.827:                              ;   in Loop: Header=BB2_352 Depth=4
	s_or_b32 exec_lo, exec_lo, s76
	s_delay_alu instid0(VALU_DEP_1) | instskip(NEXT) | instid1(VALU_DEP_2)
	v_dual_lshlrev_b32 v9, 24, v9 :: v_dual_lshlrev_b32 v2, 20, v2
	v_lshl_add_u32 v8, v8, 23, 0x3c000000
	s_delay_alu instid0(VALU_DEP_2) | instskip(NEXT) | instid1(VALU_DEP_1)
	v_and_b32_e32 v9, 0x80000000, v9
	v_or3_b32 v8, v2, v9, v8
.LBB2_828:                              ;   in Loop: Header=BB2_352 Depth=4
	s_or_b32 exec_lo, exec_lo, s75
.LBB2_829:                              ;   in Loop: Header=BB2_352 Depth=4
	s_delay_alu instid0(SALU_CYCLE_1)
	s_or_b32 exec_lo, exec_lo, s15
.LBB2_830:                              ;   in Loop: Header=BB2_352 Depth=4
	s_delay_alu instid0(SALU_CYCLE_1) | instskip(SKIP_3) | instid1(VALU_DEP_3)
	s_or_b32 exec_lo, exec_lo, s14
	v_lshrrev_b32_e32 v2, 24, v11
	v_bfe_u32 v9, v11, 24, 7
	v_cmp_gt_u64_e64 s15, s[24:25], v[10:11]
	v_cmp_eq_u32_e64 s14, 0x80, v2
	s_delay_alu instid0(VALU_DEP_3) | instskip(NEXT) | instid1(VALU_DEP_2)
	v_cmp_eq_u32_e64 s13, 0x7f, v9
	v_cndmask_b32_e64 v13, 0x7f800001, v77, s14
	s_or_b32 s13, s14, s13
	s_delay_alu instid0(SALU_CYCLE_1) | instskip(NEXT) | instid1(VALU_DEP_1)
	s_nor_b32 s13, s15, s13
	v_cndmask_b32_e64 v10, v13, 0, s15
	s_and_saveexec_b32 s14, s13
	s_cbranch_execz .LBB2_832
; %bb.831:                              ;   in Loop: Header=BB2_352 Depth=4
	v_and_b32_e32 v13, 7, v2
	v_cmp_gt_u32_e64 s13, 8, v9
	s_delay_alu instid0(VALU_DEP_2) | instskip(NEXT) | instid1(VALU_DEP_1)
	v_clz_i32_u32_e32 v10, v13
	v_min_u32_e32 v14, 32, v10
	s_delay_alu instid0(VALU_DEP_1) | instskip(NEXT) | instid1(VALU_DEP_1)
	v_subrev_nc_u32_e32 v10, 28, v14
	v_lshlrev_b64_e32 v[10:11], v10, v[2:3]
	s_delay_alu instid0(VALU_DEP_1) | instskip(NEXT) | instid1(VALU_DEP_1)
	v_dual_lshrrev_b32 v11, 3, v9 :: v_dual_bitop2_b32 v9, 7, v10 bitop3:0x40
	v_dual_sub_nc_u32 v14, 29, v14 :: v_dual_cndmask_b32 v9, v13, v9, s13
	v_lshlrev_b32_e32 v2, 24, v2
	s_delay_alu instid0(VALU_DEP_2) | instskip(NEXT) | instid1(VALU_DEP_2)
	v_dual_cndmask_b32 v10, v11, v14, s13 :: v_dual_lshlrev_b32 v9, 20, v9
	v_and_b32_e32 v2, 0x80000000, v2
	s_delay_alu instid0(VALU_DEP_2) | instskip(NEXT) | instid1(VALU_DEP_1)
	v_lshl_add_u32 v10, v10, 23, 0x3c000000
	v_or3_b32 v10, v9, v2, v10
.LBB2_832:                              ;   in Loop: Header=BB2_352 Depth=4
	s_or_b32 exec_lo, exec_lo, s14
	s_delay_alu instid0(VALU_DEP_1) | instskip(NEXT) | instid1(VALU_DEP_1)
	v_add_f32_e32 v8, v8, v10
	v_and_b32_e32 v2, 0x7f800000, v8
	v_lshrrev_b32_e32 v9, 24, v8
	s_delay_alu instid0(VALU_DEP_2) | instskip(SKIP_1) | instid1(SALU_CYCLE_1)
	v_cmp_ne_u64_e64 s13, 0x7f800000, v[2:3]
                                        ; implicit-def: $vgpr2
	s_and_saveexec_b32 s14, s13
	s_xor_b32 s15, exec_lo, s14
	s_cbranch_execz .LBB2_846
; %bb.833:                              ;   in Loop: Header=BB2_352 Depth=4
	v_and_b32_e32 v2, 0x7fffffff, v8
	v_and_b32_e32 v13, 0x80, v9
	s_delay_alu instid0(VALU_DEP_2) | instskip(SKIP_1) | instid1(SALU_CYCLE_1)
	v_cmp_gt_u64_e64 s13, 0x43e00001, v[2:3]
                                        ; implicit-def: $vgpr2
	s_and_saveexec_b32 s14, s13
	s_xor_b32 s75, exec_lo, s14
	s_cbranch_execz .LBB2_843
; %bb.834:                              ;   in Loop: Header=BB2_352 Depth=4
	v_mov_b32_e32 v2, 0
	s_mov_b32 s76, exec_lo
	v_cmpx_ne_u32_e32 0, v8
	s_cbranch_execz .LBB2_842
; %bb.835:                              ;   in Loop: Header=BB2_352 Depth=4
	v_bfe_u32 v14, v8, 23, 8
	s_delay_alu instid0(VALU_DEP_1) | instskip(SKIP_1) | instid1(VALU_DEP_1)
	v_sub_nc_u32_e32 v2, 0x79, v14
	v_cmp_gt_u32_e64 s13, 0x7a, v14
	v_cndmask_b32_e64 v2, 0, v2, s13
	v_cmp_eq_u32_e64 s13, 0, v14
	s_delay_alu instid0(VALU_DEP_1) | instskip(SKIP_1) | instid1(VALU_DEP_2)
	v_cndmask_b32_e64 v15, v2, 0x78, s13
	v_and_b32_e32 v2, 0x7fffff, v8
	v_add_nc_u32_e32 v8, 20, v15
	s_delay_alu instid0(VALU_DEP_2) | instskip(SKIP_1) | instid1(VALU_DEP_3)
	v_or_b32_e32 v10, 0x800000, v2
	v_add_nc_u32_e32 v11, 19, v15
	v_lshlrev_b64_e64 v[8:9], v8, -1
	s_delay_alu instid0(VALU_DEP_3) | instskip(NEXT) | instid1(VALU_DEP_3)
	v_cndmask_b32_e64 v2, v10, v2, s13
	v_lshlrev_b64_e64 v[10:11], v11, 1
	s_delay_alu instid0(VALU_DEP_3) | instskip(NEXT) | instid1(VALU_DEP_3)
	v_bfi_b32 v19, v9, 0, 0
	v_bfi_b32 v18, v8, 0, v2
	v_lshrrev_b64 v[8:9], v15, v[2:3]
	s_delay_alu instid0(VALU_DEP_2) | instskip(NEXT) | instid1(VALU_DEP_2)
	v_cmp_eq_u64_e64 s14, v[18:19], v[10:11]
	v_mov_b64_e32 v[10:11], v[8:9]
	s_and_saveexec_b32 s77, s14
; %bb.836:                              ;   in Loop: Header=BB2_352 Depth=4
	v_bfe_u32 v2, v8, 20, 1
	s_delay_alu instid0(VALU_DEP_1) | instskip(NEXT) | instid1(VALU_DEP_1)
	v_add_nc_u64_e32 v[10:11], v[8:9], v[2:3]
	v_add_nc_u64_e32 v[10:11], -1, v[10:11]
; %bb.837:                              ;   in Loop: Header=BB2_352 Depth=4
	s_or_b32 exec_lo, exec_lo, s77
	v_add_nc_u32_e32 v2, 0xffffff81, v14
	v_lshrrev_b32_e32 v9, 23, v8
	s_mov_b32 s14, exec_lo
	s_delay_alu instid0(VALU_DEP_2) | instskip(NEXT) | instid1(VALU_DEP_1)
	v_cndmask_b32_e64 v2, v2, 0xffffff82, s13
	v_add3_u32 v11, v15, v2, v9
	v_and_b32_e32 v2, 0xfffff, v10
                                        ; implicit-def: $vgpr10
	s_delay_alu instid0(VALU_DEP_1) | instskip(NEXT) | instid1(VALU_DEP_1)
	v_dual_add_nc_u32 v14, 6, v11 :: v_dual_add_nc_u32 v2, v2, v8
                                        ; implicit-def: $vgpr8_vgpr9
	v_cmpx_ne_u32_e32 0, v14
	s_xor_b32 s14, exec_lo, s14
; %bb.838:                              ;   in Loop: Header=BB2_352 Depth=4
	s_delay_alu instid0(VALU_DEP_2) | instskip(SKIP_1) | instid1(VALU_DEP_1)
	v_cmp_lt_u64_e64 s13, 0xffffff, v[2:3]
	v_add_nc_u32_e32 v8, 7, v11
	v_cndmask_b32_e64 v10, v14, v8, s13
	v_cndmask_b32_e64 v8, 0, 1, s13
	s_delay_alu instid0(VALU_DEP_1)
	v_lshrrev_b64 v[8:9], v8, v[2:3]
; %bb.839:                              ;   in Loop: Header=BB2_352 Depth=4
	s_and_not1_saveexec_b32 s13, s14
; %bb.840:                              ;   in Loop: Header=BB2_352 Depth=4
	v_mov_b64_e32 v[8:9], v[2:3]
	v_bfe_u32 v10, v2, 23, 1
; %bb.841:                              ;   in Loop: Header=BB2_352 Depth=4
	s_or_b32 exec_lo, exec_lo, s13
	s_delay_alu instid0(VALU_DEP_2) | instskip(NEXT) | instid1(VALU_DEP_2)
	v_lshrrev_b64 v[8:9], 20, v[8:9]
	v_cmp_gt_i32_e64 s13, 16, v10
	v_min_i32_e32 v2, 15, v10
	v_cmp_eq_u32_e64 s14, 0, v10
	s_delay_alu instid0(VALU_DEP_2) | instskip(SKIP_1) | instid1(VALU_DEP_2)
	v_dual_cndmask_b32 v9, 0, v9, s13 :: v_dual_lshlrev_b32 v2, 3, v2
	v_cndmask_b32_e64 v8, 7, v8, s13
	v_and_b32_e32 v2, 0xf8, v2
	s_delay_alu instid0(VALU_DEP_2) | instskip(NEXT) | instid1(VALU_DEP_2)
	v_cmp_eq_u64_e64 s13, 0, v[8:9]
	v_and_or_b32 v2, v8, 7, v2
	s_and_b32 s13, s14, s13
	s_delay_alu instid0(VALU_DEP_1) | instid1(SALU_CYCLE_1)
	v_cndmask_b32_e64 v2, v2, 0, s13
	s_delay_alu instid0(VALU_DEP_1)
	v_or_b32_e32 v2, v2, v13
.LBB2_842:                              ;   in Loop: Header=BB2_352 Depth=4
	s_or_b32 exec_lo, exec_lo, s76
                                        ; implicit-def: $vgpr13
.LBB2_843:                              ;   in Loop: Header=BB2_352 Depth=4
	s_and_not1_saveexec_b32 s13, s75
; %bb.844:                              ;   in Loop: Header=BB2_352 Depth=4
	v_or_b32_e32 v2, 0x7e, v13
; %bb.845:                              ;   in Loop: Header=BB2_352 Depth=4
	s_or_b32 exec_lo, exec_lo, s13
                                        ; implicit-def: $vgpr9
.LBB2_846:                              ;   in Loop: Header=BB2_352 Depth=4
	s_and_not1_saveexec_b32 s13, s15
	s_cbranch_execz .LBB2_351
; %bb.847:                              ;   in Loop: Header=BB2_352 Depth=4
	v_or_b32_e32 v2, 0x7f, v9
	s_branch .LBB2_351
.LBB2_848:                              ;   in Loop: Header=BB2_274 Depth=3
	s_or_b32 exec_lo, exec_lo, s74
.LBB2_849:                              ;   in Loop: Header=BB2_274 Depth=3
	s_delay_alu instid0(SALU_CYCLE_1) | instskip(SKIP_3) | instid1(VALU_DEP_1)
	s_or_b32 exec_lo, exec_lo, s73
	v_dual_mov_b32 v42, 0 :: v_dual_bitop2_b32 v8, 15, v113 bitop3:0x40
	s_mov_b32 s15, 0
	s_mov_b32 s73, exec_lo
                                        ; implicit-def: $vgpr43
                                        ; implicit-def: $vgpr44
                                        ; implicit-def: $vgpr2
	v_cndmask_b32_e32 v115, v72, v8, vcc_lo
	s_delay_alu instid0(VALU_DEP_1)
	v_cmpx_ne_u32_e32 0, v115
	s_cbranch_execz .LBB2_1353
; %bb.850:                              ;   in Loop: Header=BB2_274 Depth=3
	v_cmp_lt_i32_e64 s13, 0, v73
	s_mov_b32 s74, exec_lo
	v_dual_ashrrev_i32 v10, 31, v115 :: v_dual_sub_nc_u32 v8, v72, v8
	s_delay_alu instid0(VALU_DEP_1) | instskip(NEXT) | instid1(VALU_DEP_1)
	v_dual_cndmask_b32 v2, 0, v36, s13 :: v_dual_lshrrev_b32 v10, 23, v10
	v_sub_nc_u32_e32 v2, v2, v73
	s_delay_alu instid0(VALU_DEP_1) | instskip(NEXT) | instid1(VALU_DEP_1)
	v_lshl_add_u32 v2, v2, 5, v88
	v_ashrrev_i32_e32 v9, 31, v2
	s_delay_alu instid0(VALU_DEP_1) | instskip(NEXT) | instid1(VALU_DEP_1)
	v_lshrrev_b32_e32 v9, 27, v9
	v_dual_add_nc_u32 v9, v2, v9 :: v_dual_add_nc_u32 v10, v115, v10
	s_delay_alu instid0(VALU_DEP_1) | instskip(SKIP_1) | instid1(VALU_DEP_3)
	v_and_b32_e32 v11, 0xffffffe0, v9
	v_ashrrev_i32_e32 v9, 5, v9
	v_and_b32_e32 v73, 0xfffffe00, v10
	s_delay_alu instid0(VALU_DEP_3) | instskip(NEXT) | instid1(VALU_DEP_1)
	v_dual_ashrrev_i32 v10, 9, v10 :: v_dual_sub_nc_u32 v90, v2, v11
	v_dual_sub_nc_u32 v72, v115, v73 :: v_dual_lshlrev_b32 v2, 4, v90
	s_delay_alu instid0(VALU_DEP_1) | instskip(SKIP_1) | instid1(VALU_DEP_3)
	v_lshl_add_u32 v2, v9, 9, v2
	v_cndmask_b32_e32 v8, 0, v8, vcc_lo
	v_cmp_lt_i32_e32 vcc_lo, 15, v72
	s_delay_alu instid0(VALU_DEP_3) | instskip(SKIP_1) | instid1(VALU_DEP_1)
	v_sub_nc_u32_e32 v92, v115, v2
	v_add_co_ci_u32_e64 v10, null, 0, v10, vcc_lo
	v_dual_add_nc_u32 v63, v8, v63 :: v_dual_sub_nc_u32 v91, v10, v9
	s_delay_alu instid0(VALU_DEP_3)
	v_cmpx_lt_i32_e32 15, v92
	s_cbranch_execz .LBB2_1350
; %bb.851:                              ;   in Loop: Header=BB2_274 Depth=3
	s_trap 2
	ds_load_b64 v[8:9], v0
	v_add_nc_u32_e32 v10, v2, v63
	s_mov_b32 s75, 0
	s_delay_alu instid0(VALU_DEP_1) | instskip(NEXT) | instid1(VALU_DEP_1)
	v_ashrrev_i32_e32 v11, 31, v10
	v_add_nc_u64_e32 v[42:43], v[10:11], v[118:119]
	v_add_nc_u64_e32 v[46:47], v[10:11], v[40:41]
	s_wait_dscnt 0x0
	v_add_nc_u64_e32 v[44:45], v[8:9], v[10:11]
	s_branch .LBB2_853
.LBB2_852:                              ;   in Loop: Header=BB2_853 Depth=4
	s_or_b32 exec_lo, exec_lo, s13
	v_lshl_or_b32 v8, v61, 8, v60
	v_dual_lshlrev_b32 v9, 16, v58 :: v_dual_lshlrev_b32 v10, 24, v59
	v_lshl_or_b32 v11, v94, 8, v93
	v_dual_lshlrev_b32 v13, 16, v95 :: v_dual_lshlrev_b32 v14, 24, v104
	;; [unrolled: 2-line block ×3, first 2 shown]
	v_dual_lshlrev_b32 v2, 24, v2 :: v_dual_lshlrev_b32 v12, 16, v12
	v_lshl_or_b32 v56, v57, 8, v56
	v_or3_b32 v9, v8, v9, v10
	v_or3_b32 v8, v11, v13, v14
	;; [unrolled: 1-line block ×3, first 2 shown]
	v_dual_sub_nc_u32 v92, v92, v66 :: v_dual_sub_nc_u32 v91, v91, v36
	v_or3_b32 v11, v56, v12, v2
	v_add_nc_u64_e32 v[42:43], v[42:43], v[66:67]
	v_add_nc_u64_e32 v[44:45], v[44:45], v[66:67]
	s_delay_alu instid0(VALU_DEP_4) | instskip(SKIP_4) | instid1(SALU_CYCLE_1)
	v_cmp_gt_i32_e64 s13, 16, v92
	global_store_b128 v[46:47], v[8:11], off th:TH_STORE_NT
	s_wait_xcnt 0x0
	v_add_nc_u64_e32 v[46:47], v[46:47], v[66:67]
	s_or_b32 s75, s13, s75
	s_and_not1_b32 exec_lo, exec_lo, s75
	s_cbranch_execz .LBB2_1349
.LBB2_853:                              ;   Parent Loop BB2_47 Depth=1
                                        ;     Parent Loop BB2_271 Depth=2
                                        ;       Parent Loop BB2_274 Depth=3
                                        ; =>      This Inner Loop Header: Depth=4
	global_load_b128 v[12:15], v[42:43], off th:TH_LOAD_NT
	global_load_b128 v[8:11], v[44:45], off th:TH_LOAD_NT
	v_mov_b32_e32 v2, 0
	s_mov_b32 s14, exec_lo
	s_wait_loadcnt 0x1
	v_and_b32_e32 v56, 0xff, v12
	s_wait_xcnt 0x0
	s_delay_alu instid0(VALU_DEP_1)
	v_cmpx_ne_u16_e32 0, v56
	s_cbranch_execz .LBB2_859
; %bb.854:                              ;   in Loop: Header=BB2_853 Depth=4
	v_bfrev_b32_e32 v2, 1
	s_mov_b32 s15, exec_lo
	v_cmpx_ne_u16_e32 0x80, v56
	s_cbranch_execz .LBB2_858
; %bb.855:                              ;   in Loop: Header=BB2_853 Depth=4
	v_and_b32_e32 v56, 0x7f, v12
	v_mov_b32_e32 v2, 0x7f800001
	s_mov_b32 s76, exec_lo
	s_delay_alu instid0(VALU_DEP_2)
	v_cmpx_ne_u32_e32 0x7f, v56
	s_cbranch_execz .LBB2_857
; %bb.856:                              ;   in Loop: Header=BB2_853 Depth=4
	v_cmp_gt_u32_e64 s13, 8, v56
	v_and_b32_e32 v2, 7, v12
	s_delay_alu instid0(VALU_DEP_1) | instskip(NEXT) | instid1(VALU_DEP_1)
	v_clz_i32_u32_e32 v2, v2
	v_min_u32_e32 v2, 32, v2
	v_lshrrev_b32_e32 v18, 3, v56
	s_delay_alu instid0(VALU_DEP_2) | instskip(SKIP_1) | instid1(VALU_DEP_1)
	v_subrev_nc_u32_e32 v19, 28, v2
	v_sub_nc_u32_e32 v2, 29, v2
	v_dual_cndmask_b32 v2, v18, v2, s13 :: v_dual_cndmask_b32 v18, 0, v19, s13
	s_delay_alu instid0(VALU_DEP_1) | instskip(SKIP_1) | instid1(VALU_DEP_3)
	v_lshlrev_b64_e32 v[18:19], v18, v[12:13]
	v_lshlrev_b32_e32 v19, 24, v12
	v_lshl_add_u32 v2, v2, 23, 0x3c000000
	s_delay_alu instid0(VALU_DEP_2) | instskip(NEXT) | instid1(VALU_DEP_4)
	v_and_b32_e32 v19, 0x80000000, v19
	v_lshlrev_b32_e32 v18, 20, v18
	s_delay_alu instid0(VALU_DEP_1) | instskip(NEXT) | instid1(VALU_DEP_1)
	v_and_b32_e32 v18, 0x700000, v18
	v_or3_b32 v2, v18, v19, v2
.LBB2_857:                              ;   in Loop: Header=BB2_853 Depth=4
	s_or_b32 exec_lo, exec_lo, s76
.LBB2_858:                              ;   in Loop: Header=BB2_853 Depth=4
	s_delay_alu instid0(SALU_CYCLE_1)
	s_or_b32 exec_lo, exec_lo, s15
.LBB2_859:                              ;   in Loop: Header=BB2_853 Depth=4
	s_delay_alu instid0(SALU_CYCLE_1) | instskip(SKIP_4) | instid1(VALU_DEP_1)
	s_or_b32 exec_lo, exec_lo, s14
	s_wait_loadcnt 0x0
	v_and_b32_e32 v57, 0xff, v8
	s_mov_b32 s14, 0
	s_mov_b32 s15, exec_lo
	v_cmpx_lt_i16_e32 0x7f, v57
	s_xor_b32 s15, exec_lo, s15
	s_cbranch_execz .LBB2_894
; %bb.860:                              ;   in Loop: Header=BB2_853 Depth=4
	s_mov_b32 s14, -1
	s_mov_b32 s76, exec_lo
	v_cmpx_eq_u16_e32 0x80, v57
; %bb.861:                              ;   in Loop: Header=BB2_853 Depth=4
	s_xor_b32 s14, exec_lo, -1
; %bb.862:                              ;   in Loop: Header=BB2_853 Depth=4
	s_or_b32 exec_lo, exec_lo, s76
	s_delay_alu instid0(SALU_CYCLE_1)
	s_and_b32 s14, s14, exec_lo
                                        ; implicit-def: $vgpr57
	s_or_saveexec_b32 s15, s15
	v_bfrev_b32_e32 v56, 1
	s_xor_b32 exec_lo, exec_lo, s15
	s_cbranch_execnz .LBB2_895
.LBB2_863:                              ;   in Loop: Header=BB2_853 Depth=4
	s_or_b32 exec_lo, exec_lo, s15
	s_and_saveexec_b32 s15, s14
	s_cbranch_execz .LBB2_865
.LBB2_864:                              ;   in Loop: Header=BB2_853 Depth=4
	v_and_b32_e32 v18, 7, v8
	v_and_b32_e32 v56, 0x7f, v8
	v_bfe_u32 v19, v8, 3, 4
	s_delay_alu instid0(VALU_DEP_3) | instskip(NEXT) | instid1(VALU_DEP_3)
	v_clz_i32_u32_e32 v18, v18
	v_cmp_gt_u32_e64 s13, 8, v56
	s_delay_alu instid0(VALU_DEP_2) | instskip(NEXT) | instid1(VALU_DEP_1)
	v_min_u32_e32 v18, 32, v18
	v_subrev_nc_u32_e32 v57, 28, v18
	v_sub_nc_u32_e32 v18, 29, v18
	s_delay_alu instid0(VALU_DEP_1) | instskip(SKIP_1) | instid1(VALU_DEP_2)
	v_dual_cndmask_b32 v58, v19, v18, s13 :: v_dual_cndmask_b32 v18, 0, v57, s13
	v_cmp_ne_u32_e64 s13, 0x7f, v56
	v_lshl_add_u32 v57, v58, 23, 0x3c000000
	s_delay_alu instid0(VALU_DEP_3) | instskip(SKIP_1) | instid1(VALU_DEP_1)
	v_lshlrev_b64_e32 v[18:19], v18, v[8:9]
	v_lshlrev_b32_e32 v19, 24, v8
	v_and_b32_e32 v19, 0x80000000, v19
	s_delay_alu instid0(VALU_DEP_3) | instskip(NEXT) | instid1(VALU_DEP_1)
	v_lshlrev_b32_e32 v18, 20, v18
	v_and_b32_e32 v18, 0x700000, v18
	s_delay_alu instid0(VALU_DEP_1) | instskip(NEXT) | instid1(VALU_DEP_1)
	v_or3_b32 v18, v18, v19, v57
	v_cndmask_b32_e64 v56, 0x7f800001, v18, s13
.LBB2_865:                              ;   in Loop: Header=BB2_853 Depth=4
	s_or_b32 exec_lo, exec_lo, s15
	s_delay_alu instid0(VALU_DEP_1) | instskip(SKIP_1) | instid1(VALU_DEP_1)
	v_add_f32_e32 v56, v2, v56
                                        ; implicit-def: $vgpr93
	s_mov_b32 s14, exec_lo
	v_and_b32_e32 v2, 0x7f800000, v56
	v_lshrrev_b32_e32 v57, 24, v56
	s_delay_alu instid0(VALU_DEP_2)
	v_cmpx_ne_u64_e32 0x7f800000, v[2:3]
	s_xor_b32 s15, exec_lo, s14
	s_cbranch_execz .LBB2_879
; %bb.866:                              ;   in Loop: Header=BB2_853 Depth=4
	v_and_b32_e32 v2, 0x7fffffff, v56
	v_and_b32_e32 v60, 0x80, v57
                                        ; implicit-def: $vgpr93
	s_mov_b32 s14, exec_lo
	s_delay_alu instid0(VALU_DEP_2)
	v_cmpx_gt_u64_e32 0x43e00001, v[2:3]
	s_xor_b32 s76, exec_lo, s14
	s_cbranch_execz .LBB2_876
; %bb.867:                              ;   in Loop: Header=BB2_853 Depth=4
	v_mov_b32_e32 v93, 0
	s_mov_b32 s77, exec_lo
	v_cmpx_ne_u32_e32 0, v56
	s_cbranch_execz .LBB2_875
; %bb.868:                              ;   in Loop: Header=BB2_853 Depth=4
	v_bfe_u32 v61, v56, 23, 8
	s_delay_alu instid0(VALU_DEP_1) | instskip(SKIP_1) | instid1(VALU_DEP_1)
	v_sub_nc_u32_e32 v2, 0x79, v61
	v_cmp_gt_u32_e64 s13, 0x7a, v61
	v_cndmask_b32_e64 v2, 0, v2, s13
	v_cmp_eq_u32_e64 s13, 0, v61
	s_delay_alu instid0(VALU_DEP_1) | instskip(SKIP_1) | instid1(VALU_DEP_2)
	v_cndmask_b32_e64 v93, v2, 0x78, s13
	v_and_b32_e32 v2, 0x7fffff, v56
	v_add_nc_u32_e32 v18, 20, v93
	s_delay_alu instid0(VALU_DEP_2) | instskip(SKIP_1) | instid1(VALU_DEP_3)
	v_or_b32_e32 v56, 0x800000, v2
	v_add_nc_u32_e32 v57, 19, v93
	v_lshlrev_b64_e64 v[18:19], v18, -1
	s_delay_alu instid0(VALU_DEP_3) | instskip(NEXT) | instid1(VALU_DEP_3)
	v_cndmask_b32_e64 v2, v56, v2, s13
	v_lshlrev_b64_e64 v[58:59], v57, 1
	s_delay_alu instid0(VALU_DEP_2) | instskip(NEXT) | instid1(VALU_DEP_4)
	v_lshrrev_b64 v[56:57], v93, v[2:3]
	v_bfi_b32 v19, v19, 0, 0
	v_bfi_b32 v18, v18, 0, v2
	s_delay_alu instid0(VALU_DEP_1) | instskip(NEXT) | instid1(VALU_DEP_4)
	v_cmp_eq_u64_e64 s14, v[18:19], v[58:59]
	v_mov_b64_e32 v[58:59], v[56:57]
	s_and_saveexec_b32 s78, s14
; %bb.869:                              ;   in Loop: Header=BB2_853 Depth=4
	v_bfe_u32 v2, v56, 20, 1
	s_delay_alu instid0(VALU_DEP_1) | instskip(NEXT) | instid1(VALU_DEP_1)
	v_add_nc_u64_e32 v[18:19], v[56:57], v[2:3]
	v_add_nc_u64_e32 v[58:59], -1, v[18:19]
; %bb.870:                              ;   in Loop: Header=BB2_853 Depth=4
	s_or_b32 exec_lo, exec_lo, s78
	v_add_nc_u32_e32 v2, 0xffffff81, v61
	v_lshrrev_b32_e32 v18, 23, v56
	s_mov_b32 s14, exec_lo
	s_delay_alu instid0(VALU_DEP_2) | instskip(NEXT) | instid1(VALU_DEP_1)
	v_cndmask_b32_e64 v2, v2, 0xffffff82, s13
	v_add3_u32 v59, v93, v2, v18
	v_and_b32_e32 v2, 0xfffff, v58
                                        ; implicit-def: $vgpr58
	s_delay_alu instid0(VALU_DEP_1) | instskip(NEXT) | instid1(VALU_DEP_1)
	v_dual_add_nc_u32 v61, 6, v59 :: v_dual_add_nc_u32 v2, v2, v56
                                        ; implicit-def: $vgpr56_vgpr57
	v_cmpx_ne_u32_e32 0, v61
	s_xor_b32 s14, exec_lo, s14
; %bb.871:                              ;   in Loop: Header=BB2_853 Depth=4
	s_delay_alu instid0(VALU_DEP_2) | instskip(SKIP_1) | instid1(VALU_DEP_1)
	v_cmp_lt_u64_e64 s13, 0xffffff, v[2:3]
	v_add_nc_u32_e32 v18, 7, v59
	v_cndmask_b32_e64 v58, v61, v18, s13
	v_cndmask_b32_e64 v18, 0, 1, s13
	s_delay_alu instid0(VALU_DEP_1)
	v_lshrrev_b64 v[56:57], v18, v[2:3]
; %bb.872:                              ;   in Loop: Header=BB2_853 Depth=4
	s_and_not1_saveexec_b32 s13, s14
; %bb.873:                              ;   in Loop: Header=BB2_853 Depth=4
	v_mov_b64_e32 v[56:57], v[2:3]
	v_bfe_u32 v58, v2, 23, 1
; %bb.874:                              ;   in Loop: Header=BB2_853 Depth=4
	s_or_b32 exec_lo, exec_lo, s13
	s_delay_alu instid0(VALU_DEP_2) | instskip(NEXT) | instid1(VALU_DEP_2)
	v_lshrrev_b64 v[18:19], 20, v[56:57]
	v_cmp_gt_i32_e64 s13, 16, v58
	v_min_i32_e32 v2, 15, v58
	v_cmp_eq_u32_e64 s14, 0, v58
	s_delay_alu instid0(VALU_DEP_2) | instskip(SKIP_1) | instid1(VALU_DEP_2)
	v_dual_cndmask_b32 v19, 0, v19, s13 :: v_dual_lshlrev_b32 v2, 3, v2
	v_cndmask_b32_e64 v18, 7, v18, s13
	v_and_b32_e32 v2, 0xf8, v2
	s_delay_alu instid0(VALU_DEP_2) | instskip(NEXT) | instid1(VALU_DEP_2)
	v_cmp_eq_u64_e64 s13, 0, v[18:19]
	v_and_or_b32 v2, v18, 7, v2
	s_and_b32 s13, s14, s13
	s_delay_alu instid0(VALU_DEP_1) | instid1(SALU_CYCLE_1)
	v_cndmask_b32_e64 v2, v2, 0, s13
	s_delay_alu instid0(VALU_DEP_1)
	v_or_b32_e32 v93, v2, v60
.LBB2_875:                              ;   in Loop: Header=BB2_853 Depth=4
	s_or_b32 exec_lo, exec_lo, s77
                                        ; implicit-def: $vgpr60
.LBB2_876:                              ;   in Loop: Header=BB2_853 Depth=4
	s_and_not1_saveexec_b32 s13, s76
; %bb.877:                              ;   in Loop: Header=BB2_853 Depth=4
	v_or_b32_e32 v93, 0x7e, v60
; %bb.878:                              ;   in Loop: Header=BB2_853 Depth=4
	s_or_b32 exec_lo, exec_lo, s13
                                        ; implicit-def: $vgpr57
.LBB2_879:                              ;   in Loop: Header=BB2_853 Depth=4
	s_and_not1_saveexec_b32 s13, s15
; %bb.880:                              ;   in Loop: Header=BB2_853 Depth=4
	v_or_b32_e32 v93, 0x7f, v57
; %bb.881:                              ;   in Loop: Header=BB2_853 Depth=4
	s_or_b32 exec_lo, exec_lo, s13
	v_lshrrev_b16 v2, 8, v12
	v_mov_b32_e32 v56, 0
	s_mov_b32 s14, exec_lo
	s_delay_alu instid0(VALU_DEP_2)
	v_cmpx_ne_u16_e32 0, v2
	s_cbranch_execz .LBB2_889
; %bb.882:                              ;   in Loop: Header=BB2_853 Depth=4
	v_bfrev_b32_e32 v56, 1
	s_mov_b32 s15, exec_lo
	v_cmpx_ne_u16_e32 0x80, v2
	s_cbranch_execz .LBB2_888
; %bb.883:                              ;   in Loop: Header=BB2_853 Depth=4
	v_and_b32_e32 v2, 0xffff, v2
	v_mov_b32_e32 v56, 0x7f800001
	s_mov_b32 s76, exec_lo
	s_delay_alu instid0(VALU_DEP_2) | instskip(NEXT) | instid1(VALU_DEP_1)
	v_and_b32_e32 v57, 0x7f, v2
	v_cmpx_ne_u32_e32 0x7f, v57
	s_cbranch_execz .LBB2_887
; %bb.884:                              ;   in Loop: Header=BB2_853 Depth=4
	v_dual_lshrrev_b32 v56, 3, v57 :: v_dual_bitop2_b32 v2, 7, v2 bitop3:0x40
	s_mov_b32 s77, exec_lo
	v_cmpx_gt_u32_e32 8, v57
; %bb.885:                              ;   in Loop: Header=BB2_853 Depth=4
	s_delay_alu instid0(VALU_DEP_2) | instskip(NEXT) | instid1(VALU_DEP_1)
	v_clz_i32_u32_e32 v18, v2
	v_min_u32_e32 v56, 32, v18
	s_delay_alu instid0(VALU_DEP_1) | instskip(NEXT) | instid1(VALU_DEP_1)
	v_subrev_nc_u32_e32 v18, 28, v56
	v_lshlrev_b64_e32 v[18:19], v18, v[2:3]
	s_delay_alu instid0(VALU_DEP_1)
	v_dual_sub_nc_u32 v56, 29, v56 :: v_dual_bitop2_b32 v2, 7, v18 bitop3:0x40
; %bb.886:                              ;   in Loop: Header=BB2_853 Depth=4
	s_or_b32 exec_lo, exec_lo, s77
	s_delay_alu instid0(VALU_DEP_1) | instskip(NEXT) | instid1(VALU_DEP_2)
	v_dual_lshlrev_b32 v18, 16, v12 :: v_dual_lshlrev_b32 v2, 20, v2
	v_lshl_add_u32 v19, v56, 23, 0x3c000000
	s_delay_alu instid0(VALU_DEP_2) | instskip(NEXT) | instid1(VALU_DEP_1)
	v_and_b32_e32 v18, 0x80000000, v18
	v_or3_b32 v56, v2, v18, v19
.LBB2_887:                              ;   in Loop: Header=BB2_853 Depth=4
	s_or_b32 exec_lo, exec_lo, s76
.LBB2_888:                              ;   in Loop: Header=BB2_853 Depth=4
	s_delay_alu instid0(SALU_CYCLE_1)
	s_or_b32 exec_lo, exec_lo, s15
.LBB2_889:                              ;   in Loop: Header=BB2_853 Depth=4
	s_delay_alu instid0(SALU_CYCLE_1) | instskip(SKIP_3) | instid1(VALU_DEP_1)
	s_or_b32 exec_lo, exec_lo, s14
	v_lshrrev_b16 v57, 8, v8
	s_mov_b32 s15, 0
	s_mov_b32 s14, exec_lo
	v_cmpx_lt_i16_e32 0x7f, v57
	s_xor_b32 s14, exec_lo, s14
	s_cbranch_execz .LBB2_896
; %bb.890:                              ;   in Loop: Header=BB2_853 Depth=4
	s_mov_b32 s15, -1
	s_mov_b32 s76, exec_lo
	v_cmpx_eq_u16_e32 0x80, v57
; %bb.891:                              ;   in Loop: Header=BB2_853 Depth=4
	s_xor_b32 s15, exec_lo, -1
; %bb.892:                              ;   in Loop: Header=BB2_853 Depth=4
	s_or_b32 exec_lo, exec_lo, s76
	s_delay_alu instid0(SALU_CYCLE_1)
	s_and_b32 s15, s15, exec_lo
	s_or_saveexec_b32 s14, s14
	v_bfrev_b32_e32 v58, 1
	s_xor_b32 exec_lo, exec_lo, s14
	s_cbranch_execnz .LBB2_897
.LBB2_893:                              ;   in Loop: Header=BB2_853 Depth=4
	s_or_b32 exec_lo, exec_lo, s14
	s_and_saveexec_b32 s14, s15
	s_cbranch_execnz .LBB2_898
	s_branch .LBB2_901
.LBB2_894:                              ;   in Loop: Header=BB2_853 Depth=4
	s_or_saveexec_b32 s15, s15
	v_bfrev_b32_e32 v56, 1
	s_xor_b32 exec_lo, exec_lo, s15
	s_cbranch_execz .LBB2_863
.LBB2_895:                              ;   in Loop: Header=BB2_853 Depth=4
	v_cmp_ne_u16_e64 s13, 0, v57
	v_mov_b32_e32 v56, 0
	s_and_not1_b32 s14, s14, exec_lo
	s_and_b32 s13, s13, exec_lo
	s_delay_alu instid0(SALU_CYCLE_1)
	s_or_b32 s14, s14, s13
	s_or_b32 exec_lo, exec_lo, s15
	s_and_saveexec_b32 s15, s14
	s_cbranch_execnz .LBB2_864
	s_branch .LBB2_865
.LBB2_896:                              ;   in Loop: Header=BB2_853 Depth=4
	s_or_saveexec_b32 s14, s14
	v_bfrev_b32_e32 v58, 1
	s_xor_b32 exec_lo, exec_lo, s14
	s_cbranch_execz .LBB2_893
.LBB2_897:                              ;   in Loop: Header=BB2_853 Depth=4
	v_cmp_ne_u16_e64 s13, 0, v57
	v_mov_b32_e32 v58, 0
	s_and_not1_b32 s15, s15, exec_lo
	s_and_b32 s13, s13, exec_lo
	s_delay_alu instid0(SALU_CYCLE_1)
	s_or_b32 s15, s15, s13
	s_or_b32 exec_lo, exec_lo, s14
	s_and_saveexec_b32 s14, s15
	s_cbranch_execz .LBB2_901
.LBB2_898:                              ;   in Loop: Header=BB2_853 Depth=4
	v_and_b32_e32 v2, 0xffff, v57
	v_mov_b32_e32 v58, 0x7f800001
	s_mov_b32 s15, exec_lo
	s_delay_alu instid0(VALU_DEP_2) | instskip(NEXT) | instid1(VALU_DEP_1)
	v_and_b32_e32 v59, 0x7f, v2
	v_cmpx_ne_u32_e32 0x7f, v59
	s_cbranch_execz .LBB2_900
; %bb.899:                              ;   in Loop: Header=BB2_853 Depth=4
	v_and_b32_e32 v58, 7, v2
	v_cmp_gt_u32_e64 s13, 8, v59
	s_delay_alu instid0(VALU_DEP_2) | instskip(NEXT) | instid1(VALU_DEP_1)
	v_clz_i32_u32_e32 v18, v58
	v_min_u32_e32 v60, 32, v18
	s_delay_alu instid0(VALU_DEP_1) | instskip(NEXT) | instid1(VALU_DEP_1)
	v_subrev_nc_u32_e32 v18, 28, v60
	v_lshlrev_b64_e32 v[18:19], v18, v[2:3]
	v_dual_lshrrev_b32 v2, 3, v59 :: v_dual_sub_nc_u32 v19, 29, v60
	s_delay_alu instid0(VALU_DEP_2) | instskip(NEXT) | instid1(VALU_DEP_2)
	v_dual_lshlrev_b32 v57, 24, v57 :: v_dual_bitop2_b32 v18, 7, v18 bitop3:0x40
	v_cndmask_b32_e64 v2, v2, v19, s13
	s_delay_alu instid0(VALU_DEP_2) | instskip(NEXT) | instid1(VALU_DEP_3)
	v_cndmask_b32_e64 v18, v58, v18, s13
	v_and_b32_e32 v19, 0x80000000, v57
	s_delay_alu instid0(VALU_DEP_3) | instskip(NEXT) | instid1(VALU_DEP_3)
	v_lshl_add_u32 v2, v2, 23, 0x3c000000
	v_lshlrev_b32_e32 v18, 20, v18
	s_delay_alu instid0(VALU_DEP_1)
	v_or3_b32 v58, v18, v19, v2
.LBB2_900:                              ;   in Loop: Header=BB2_853 Depth=4
	s_or_b32 exec_lo, exec_lo, s15
.LBB2_901:                              ;   in Loop: Header=BB2_853 Depth=4
	s_delay_alu instid0(SALU_CYCLE_1) | instskip(NEXT) | instid1(VALU_DEP_1)
	s_or_b32 exec_lo, exec_lo, s14
	v_add_f32_e32 v56, v56, v58
                                        ; implicit-def: $vgpr94
	s_mov_b32 s14, exec_lo
	s_delay_alu instid0(VALU_DEP_1) | instskip(SKIP_1) | instid1(VALU_DEP_2)
	v_and_b32_e32 v2, 0x7f800000, v56
	v_lshrrev_b32_e32 v57, 24, v56
	v_cmpx_ne_u64_e32 0x7f800000, v[2:3]
	s_xor_b32 s15, exec_lo, s14
	s_cbranch_execz .LBB2_915
; %bb.902:                              ;   in Loop: Header=BB2_853 Depth=4
	v_and_b32_e32 v2, 0x7fffffff, v56
	v_and_b32_e32 v60, 0x80, v57
                                        ; implicit-def: $vgpr94
	s_mov_b32 s14, exec_lo
	s_delay_alu instid0(VALU_DEP_2)
	v_cmpx_gt_u64_e32 0x43e00001, v[2:3]
	s_xor_b32 s76, exec_lo, s14
	s_cbranch_execz .LBB2_912
; %bb.903:                              ;   in Loop: Header=BB2_853 Depth=4
	v_mov_b32_e32 v94, 0
	s_mov_b32 s77, exec_lo
	v_cmpx_ne_u32_e32 0, v56
	s_cbranch_execz .LBB2_911
; %bb.904:                              ;   in Loop: Header=BB2_853 Depth=4
	v_bfe_u32 v61, v56, 23, 8
	s_delay_alu instid0(VALU_DEP_1) | instskip(SKIP_1) | instid1(VALU_DEP_1)
	v_sub_nc_u32_e32 v2, 0x79, v61
	v_cmp_gt_u32_e64 s13, 0x7a, v61
	v_cndmask_b32_e64 v2, 0, v2, s13
	v_cmp_eq_u32_e64 s13, 0, v61
	s_delay_alu instid0(VALU_DEP_1) | instskip(SKIP_1) | instid1(VALU_DEP_2)
	v_cndmask_b32_e64 v94, v2, 0x78, s13
	v_and_b32_e32 v2, 0x7fffff, v56
	v_dual_add_nc_u32 v18, 20, v94 :: v_dual_add_nc_u32 v57, 19, v94
	s_delay_alu instid0(VALU_DEP_2) | instskip(NEXT) | instid1(VALU_DEP_2)
	v_or_b32_e32 v56, 0x800000, v2
	v_lshlrev_b64_e64 v[18:19], v18, -1
	s_delay_alu instid0(VALU_DEP_3) | instskip(NEXT) | instid1(VALU_DEP_3)
	v_lshlrev_b64_e64 v[58:59], v57, 1
	v_cndmask_b32_e64 v2, v56, v2, s13
	s_delay_alu instid0(VALU_DEP_1) | instskip(NEXT) | instid1(VALU_DEP_4)
	v_lshrrev_b64 v[56:57], v94, v[2:3]
	v_bfi_b32 v19, v19, 0, 0
	v_bfi_b32 v18, v18, 0, v2
	s_delay_alu instid0(VALU_DEP_1) | instskip(NEXT) | instid1(VALU_DEP_4)
	v_cmp_eq_u64_e64 s14, v[18:19], v[58:59]
	v_mov_b64_e32 v[58:59], v[56:57]
	s_and_saveexec_b32 s78, s14
; %bb.905:                              ;   in Loop: Header=BB2_853 Depth=4
	v_bfe_u32 v2, v56, 20, 1
	s_delay_alu instid0(VALU_DEP_1) | instskip(NEXT) | instid1(VALU_DEP_1)
	v_add_nc_u64_e32 v[18:19], v[56:57], v[2:3]
	v_add_nc_u64_e32 v[58:59], -1, v[18:19]
; %bb.906:                              ;   in Loop: Header=BB2_853 Depth=4
	s_or_b32 exec_lo, exec_lo, s78
	v_add_nc_u32_e32 v2, 0xffffff81, v61
	v_lshrrev_b32_e32 v18, 23, v56
	s_mov_b32 s14, exec_lo
	s_delay_alu instid0(VALU_DEP_2) | instskip(NEXT) | instid1(VALU_DEP_1)
	v_cndmask_b32_e64 v2, v2, 0xffffff82, s13
	v_add3_u32 v59, v94, v2, v18
	v_and_b32_e32 v2, 0xfffff, v58
                                        ; implicit-def: $vgpr58
	s_delay_alu instid0(VALU_DEP_1) | instskip(NEXT) | instid1(VALU_DEP_1)
	v_dual_add_nc_u32 v61, 6, v59 :: v_dual_add_nc_u32 v2, v2, v56
                                        ; implicit-def: $vgpr56_vgpr57
	v_cmpx_ne_u32_e32 0, v61
	s_xor_b32 s14, exec_lo, s14
; %bb.907:                              ;   in Loop: Header=BB2_853 Depth=4
	s_delay_alu instid0(VALU_DEP_2) | instskip(SKIP_1) | instid1(VALU_DEP_1)
	v_cmp_lt_u64_e64 s13, 0xffffff, v[2:3]
	v_add_nc_u32_e32 v18, 7, v59
	v_cndmask_b32_e64 v58, v61, v18, s13
	v_cndmask_b32_e64 v18, 0, 1, s13
	s_delay_alu instid0(VALU_DEP_1)
	v_lshrrev_b64 v[56:57], v18, v[2:3]
; %bb.908:                              ;   in Loop: Header=BB2_853 Depth=4
	s_and_not1_saveexec_b32 s13, s14
; %bb.909:                              ;   in Loop: Header=BB2_853 Depth=4
	v_mov_b64_e32 v[56:57], v[2:3]
	v_bfe_u32 v58, v2, 23, 1
; %bb.910:                              ;   in Loop: Header=BB2_853 Depth=4
	s_or_b32 exec_lo, exec_lo, s13
	s_delay_alu instid0(VALU_DEP_2) | instskip(NEXT) | instid1(VALU_DEP_2)
	v_lshrrev_b64 v[18:19], 20, v[56:57]
	v_cmp_gt_i32_e64 s13, 16, v58
	v_min_i32_e32 v2, 15, v58
	v_cmp_eq_u32_e64 s14, 0, v58
	s_delay_alu instid0(VALU_DEP_2) | instskip(SKIP_1) | instid1(VALU_DEP_2)
	v_dual_cndmask_b32 v19, 0, v19, s13 :: v_dual_lshlrev_b32 v2, 3, v2
	v_cndmask_b32_e64 v18, 7, v18, s13
	v_and_b32_e32 v2, 0xf8, v2
	s_delay_alu instid0(VALU_DEP_2) | instskip(NEXT) | instid1(VALU_DEP_2)
	v_cmp_eq_u64_e64 s13, 0, v[18:19]
	v_and_or_b32 v2, v18, 7, v2
	s_and_b32 s13, s14, s13
	s_delay_alu instid0(VALU_DEP_1) | instid1(SALU_CYCLE_1)
	v_cndmask_b32_e64 v2, v2, 0, s13
	s_delay_alu instid0(VALU_DEP_1)
	v_or_b32_e32 v94, v2, v60
.LBB2_911:                              ;   in Loop: Header=BB2_853 Depth=4
	s_or_b32 exec_lo, exec_lo, s77
                                        ; implicit-def: $vgpr60
.LBB2_912:                              ;   in Loop: Header=BB2_853 Depth=4
	s_and_not1_saveexec_b32 s13, s76
; %bb.913:                              ;   in Loop: Header=BB2_853 Depth=4
	v_or_b32_e32 v94, 0x7e, v60
; %bb.914:                              ;   in Loop: Header=BB2_853 Depth=4
	s_or_b32 exec_lo, exec_lo, s13
                                        ; implicit-def: $vgpr57
.LBB2_915:                              ;   in Loop: Header=BB2_853 Depth=4
	s_and_not1_saveexec_b32 s13, s15
; %bb.916:                              ;   in Loop: Header=BB2_853 Depth=4
	v_or_b32_e32 v94, 0x7f, v57
; %bb.917:                              ;   in Loop: Header=BB2_853 Depth=4
	s_or_b32 exec_lo, exec_lo, s13
	v_dual_mov_b32 v56, 0 :: v_dual_lshrrev_b32 v57, 16, v12
	s_mov_b32 s14, exec_lo
	s_delay_alu instid0(VALU_DEP_1) | instskip(NEXT) | instid1(VALU_DEP_1)
	v_and_b32_e32 v2, 0xff, v57
	v_cmpx_ne_u16_e32 0, v2
	s_cbranch_execz .LBB2_925
; %bb.918:                              ;   in Loop: Header=BB2_853 Depth=4
	v_bfrev_b32_e32 v56, 1
	s_mov_b32 s15, exec_lo
	v_cmpx_ne_u16_e32 0x80, v2
	s_cbranch_execz .LBB2_924
; %bb.919:                              ;   in Loop: Header=BB2_853 Depth=4
	v_bfe_u32 v58, v12, 16, 7
	v_mov_b32_e32 v56, 0x7f800001
	s_mov_b32 s76, exec_lo
	s_delay_alu instid0(VALU_DEP_2)
	v_cmpx_ne_u32_e32 0x7f, v58
	s_cbranch_execz .LBB2_923
; %bb.920:                              ;   in Loop: Header=BB2_853 Depth=4
	v_dual_lshrrev_b32 v56, 3, v58 :: v_dual_bitop2_b32 v2, 7, v57 bitop3:0x40
	s_mov_b32 s77, exec_lo
	v_cmpx_gt_u32_e32 8, v58
; %bb.921:                              ;   in Loop: Header=BB2_853 Depth=4
	s_delay_alu instid0(VALU_DEP_2) | instskip(NEXT) | instid1(VALU_DEP_1)
	v_clz_i32_u32_e32 v18, v2
	v_min_u32_e32 v56, 32, v18
	s_delay_alu instid0(VALU_DEP_1) | instskip(NEXT) | instid1(VALU_DEP_1)
	v_subrev_nc_u32_e32 v18, 28, v56
	v_lshlrev_b64_e32 v[18:19], v18, v[2:3]
	s_delay_alu instid0(VALU_DEP_1)
	v_dual_sub_nc_u32 v56, 29, v56 :: v_dual_bitop2_b32 v2, 7, v18 bitop3:0x40
; %bb.922:                              ;   in Loop: Header=BB2_853 Depth=4
	s_or_b32 exec_lo, exec_lo, s77
	s_delay_alu instid0(VALU_DEP_1) | instskip(NEXT) | instid1(VALU_DEP_2)
	v_dual_lshlrev_b32 v18, 24, v57 :: v_dual_lshlrev_b32 v2, 20, v2
	v_lshl_add_u32 v19, v56, 23, 0x3c000000
	s_delay_alu instid0(VALU_DEP_2) | instskip(NEXT) | instid1(VALU_DEP_1)
	v_and_b32_e32 v18, 0x80000000, v18
	v_or3_b32 v56, v2, v18, v19
.LBB2_923:                              ;   in Loop: Header=BB2_853 Depth=4
	s_or_b32 exec_lo, exec_lo, s76
.LBB2_924:                              ;   in Loop: Header=BB2_853 Depth=4
	s_delay_alu instid0(SALU_CYCLE_1)
	s_or_b32 exec_lo, exec_lo, s15
.LBB2_925:                              ;   in Loop: Header=BB2_853 Depth=4
	s_delay_alu instid0(SALU_CYCLE_1) | instskip(SKIP_3) | instid1(VALU_DEP_1)
	s_or_b32 exec_lo, exec_lo, s14
	v_lshrrev_b32_e32 v2, 16, v8
	s_mov_b32 s15, 0
	s_mov_b32 s14, exec_lo
	v_and_b32_e32 v58, 0xff, v2
	s_delay_alu instid0(VALU_DEP_1)
	v_cmpx_lt_i16_e32 0x7f, v58
	s_xor_b32 s14, exec_lo, s14
	s_cbranch_execz .LBB2_930
; %bb.926:                              ;   in Loop: Header=BB2_853 Depth=4
	s_mov_b32 s15, -1
	s_mov_b32 s76, exec_lo
	v_cmpx_eq_u16_e32 0x80, v58
; %bb.927:                              ;   in Loop: Header=BB2_853 Depth=4
	s_xor_b32 s15, exec_lo, -1
; %bb.928:                              ;   in Loop: Header=BB2_853 Depth=4
	s_or_b32 exec_lo, exec_lo, s76
	s_delay_alu instid0(SALU_CYCLE_1)
	s_and_b32 s15, s15, exec_lo
                                        ; implicit-def: $vgpr58
	s_or_saveexec_b32 s14, s14
	v_bfrev_b32_e32 v57, 1
	s_xor_b32 exec_lo, exec_lo, s14
	s_cbranch_execnz .LBB2_931
.LBB2_929:                              ;   in Loop: Header=BB2_853 Depth=4
	s_or_b32 exec_lo, exec_lo, s14
	s_and_saveexec_b32 s14, s15
	s_cbranch_execnz .LBB2_932
	s_branch .LBB2_935
.LBB2_930:                              ;   in Loop: Header=BB2_853 Depth=4
	s_or_saveexec_b32 s14, s14
	v_bfrev_b32_e32 v57, 1
	s_xor_b32 exec_lo, exec_lo, s14
	s_cbranch_execz .LBB2_929
.LBB2_931:                              ;   in Loop: Header=BB2_853 Depth=4
	v_cmp_ne_u16_e64 s13, 0, v58
	v_mov_b32_e32 v57, 0
	s_and_not1_b32 s15, s15, exec_lo
	s_and_b32 s13, s13, exec_lo
	s_delay_alu instid0(SALU_CYCLE_1)
	s_or_b32 s15, s15, s13
	s_or_b32 exec_lo, exec_lo, s14
	s_and_saveexec_b32 s14, s15
	s_cbranch_execz .LBB2_935
.LBB2_932:                              ;   in Loop: Header=BB2_853 Depth=4
	v_and_b32_e32 v58, 0x7f, v2
	v_mov_b32_e32 v57, 0x7f800001
	s_mov_b32 s15, exec_lo
	s_delay_alu instid0(VALU_DEP_2)
	v_cmpx_ne_u32_e32 0x7f, v58
	s_cbranch_execz .LBB2_934
; %bb.933:                              ;   in Loop: Header=BB2_853 Depth=4
	v_and_b32_e32 v57, 7, v2
	v_cmp_gt_u32_e64 s13, 8, v58
	s_delay_alu instid0(VALU_DEP_2) | instskip(NEXT) | instid1(VALU_DEP_1)
	v_clz_i32_u32_e32 v18, v57
	v_min_u32_e32 v59, 32, v18
	s_delay_alu instid0(VALU_DEP_1) | instskip(SKIP_1) | instid1(VALU_DEP_2)
	v_subrev_nc_u32_e32 v18, 28, v59
	v_sub_nc_u32_e32 v59, 29, v59
	v_lshlrev_b64_e32 v[18:19], v18, v[2:3]
	v_lshrrev_b32_e32 v19, 3, v58
	s_delay_alu instid0(VALU_DEP_1) | instskip(NEXT) | instid1(VALU_DEP_3)
	v_dual_lshlrev_b32 v2, 24, v2 :: v_dual_cndmask_b32 v19, v19, v59, s13
	v_and_b32_e32 v18, 7, v18
	s_delay_alu instid0(VALU_DEP_2) | instskip(NEXT) | instid1(VALU_DEP_3)
	v_and_b32_e32 v2, 0x80000000, v2
	v_lshl_add_u32 v19, v19, 23, 0x3c000000
	s_delay_alu instid0(VALU_DEP_3) | instskip(NEXT) | instid1(VALU_DEP_1)
	v_cndmask_b32_e64 v18, v57, v18, s13
	v_lshlrev_b32_e32 v18, 20, v18
	s_delay_alu instid0(VALU_DEP_1)
	v_or3_b32 v57, v18, v2, v19
.LBB2_934:                              ;   in Loop: Header=BB2_853 Depth=4
	s_or_b32 exec_lo, exec_lo, s15
.LBB2_935:                              ;   in Loop: Header=BB2_853 Depth=4
	s_delay_alu instid0(SALU_CYCLE_1) | instskip(NEXT) | instid1(VALU_DEP_1)
	s_or_b32 exec_lo, exec_lo, s14
	v_add_f32_e32 v56, v56, v57
                                        ; implicit-def: $vgpr95
	s_mov_b32 s14, exec_lo
	s_delay_alu instid0(VALU_DEP_1) | instskip(SKIP_1) | instid1(VALU_DEP_2)
	v_and_b32_e32 v2, 0x7f800000, v56
	v_lshrrev_b32_e32 v57, 24, v56
	v_cmpx_ne_u64_e32 0x7f800000, v[2:3]
	s_xor_b32 s15, exec_lo, s14
	s_cbranch_execz .LBB2_949
; %bb.936:                              ;   in Loop: Header=BB2_853 Depth=4
	v_and_b32_e32 v2, 0x7fffffff, v56
	v_and_b32_e32 v60, 0x80, v57
                                        ; implicit-def: $vgpr95
	s_mov_b32 s14, exec_lo
	s_delay_alu instid0(VALU_DEP_2)
	v_cmpx_gt_u64_e32 0x43e00001, v[2:3]
	s_xor_b32 s76, exec_lo, s14
	s_cbranch_execz .LBB2_946
; %bb.937:                              ;   in Loop: Header=BB2_853 Depth=4
	v_mov_b32_e32 v95, 0
	s_mov_b32 s77, exec_lo
	v_cmpx_ne_u32_e32 0, v56
	s_cbranch_execz .LBB2_945
; %bb.938:                              ;   in Loop: Header=BB2_853 Depth=4
	v_bfe_u32 v61, v56, 23, 8
	s_delay_alu instid0(VALU_DEP_1) | instskip(SKIP_1) | instid1(VALU_DEP_1)
	v_sub_nc_u32_e32 v2, 0x79, v61
	v_cmp_gt_u32_e64 s13, 0x7a, v61
	v_cndmask_b32_e64 v2, 0, v2, s13
	v_cmp_eq_u32_e64 s13, 0, v61
	s_delay_alu instid0(VALU_DEP_1) | instskip(SKIP_1) | instid1(VALU_DEP_2)
	v_cndmask_b32_e64 v95, v2, 0x78, s13
	v_and_b32_e32 v2, 0x7fffff, v56
	v_add_nc_u32_e32 v18, 20, v95
	s_delay_alu instid0(VALU_DEP_2) | instskip(SKIP_1) | instid1(VALU_DEP_3)
	v_or_b32_e32 v56, 0x800000, v2
	v_add_nc_u32_e32 v57, 19, v95
	v_lshlrev_b64_e64 v[18:19], v18, -1
	s_delay_alu instid0(VALU_DEP_3) | instskip(NEXT) | instid1(VALU_DEP_3)
	v_cndmask_b32_e64 v2, v56, v2, s13
	v_lshlrev_b64_e64 v[58:59], v57, 1
	s_delay_alu instid0(VALU_DEP_2) | instskip(NEXT) | instid1(VALU_DEP_4)
	v_lshrrev_b64 v[56:57], v95, v[2:3]
	v_bfi_b32 v19, v19, 0, 0
	v_bfi_b32 v18, v18, 0, v2
	s_delay_alu instid0(VALU_DEP_1) | instskip(NEXT) | instid1(VALU_DEP_4)
	v_cmp_eq_u64_e64 s14, v[18:19], v[58:59]
	v_mov_b64_e32 v[58:59], v[56:57]
	s_and_saveexec_b32 s78, s14
; %bb.939:                              ;   in Loop: Header=BB2_853 Depth=4
	v_bfe_u32 v2, v56, 20, 1
	s_delay_alu instid0(VALU_DEP_1) | instskip(NEXT) | instid1(VALU_DEP_1)
	v_add_nc_u64_e32 v[18:19], v[56:57], v[2:3]
	v_add_nc_u64_e32 v[58:59], -1, v[18:19]
; %bb.940:                              ;   in Loop: Header=BB2_853 Depth=4
	s_or_b32 exec_lo, exec_lo, s78
	v_add_nc_u32_e32 v2, 0xffffff81, v61
	v_lshrrev_b32_e32 v18, 23, v56
	s_mov_b32 s14, exec_lo
	s_delay_alu instid0(VALU_DEP_2) | instskip(NEXT) | instid1(VALU_DEP_1)
	v_cndmask_b32_e64 v2, v2, 0xffffff82, s13
	v_add3_u32 v59, v95, v2, v18
	v_and_b32_e32 v2, 0xfffff, v58
                                        ; implicit-def: $vgpr58
	s_delay_alu instid0(VALU_DEP_1) | instskip(NEXT) | instid1(VALU_DEP_1)
	v_dual_add_nc_u32 v61, 6, v59 :: v_dual_add_nc_u32 v2, v2, v56
                                        ; implicit-def: $vgpr56_vgpr57
	v_cmpx_ne_u32_e32 0, v61
	s_xor_b32 s14, exec_lo, s14
; %bb.941:                              ;   in Loop: Header=BB2_853 Depth=4
	s_delay_alu instid0(VALU_DEP_2) | instskip(SKIP_1) | instid1(VALU_DEP_1)
	v_cmp_lt_u64_e64 s13, 0xffffff, v[2:3]
	v_add_nc_u32_e32 v18, 7, v59
	v_cndmask_b32_e64 v58, v61, v18, s13
	v_cndmask_b32_e64 v18, 0, 1, s13
	s_delay_alu instid0(VALU_DEP_1)
	v_lshrrev_b64 v[56:57], v18, v[2:3]
; %bb.942:                              ;   in Loop: Header=BB2_853 Depth=4
	s_and_not1_saveexec_b32 s13, s14
; %bb.943:                              ;   in Loop: Header=BB2_853 Depth=4
	v_mov_b64_e32 v[56:57], v[2:3]
	v_bfe_u32 v58, v2, 23, 1
; %bb.944:                              ;   in Loop: Header=BB2_853 Depth=4
	s_or_b32 exec_lo, exec_lo, s13
	s_delay_alu instid0(VALU_DEP_2) | instskip(NEXT) | instid1(VALU_DEP_2)
	v_lshrrev_b64 v[18:19], 20, v[56:57]
	v_cmp_gt_i32_e64 s13, 16, v58
	v_min_i32_e32 v2, 15, v58
	v_cmp_eq_u32_e64 s14, 0, v58
	s_delay_alu instid0(VALU_DEP_2) | instskip(SKIP_1) | instid1(VALU_DEP_2)
	v_dual_cndmask_b32 v19, 0, v19, s13 :: v_dual_lshlrev_b32 v2, 3, v2
	v_cndmask_b32_e64 v18, 7, v18, s13
	v_and_b32_e32 v2, 0xf8, v2
	s_delay_alu instid0(VALU_DEP_2) | instskip(NEXT) | instid1(VALU_DEP_2)
	v_cmp_eq_u64_e64 s13, 0, v[18:19]
	v_and_or_b32 v2, v18, 7, v2
	s_and_b32 s13, s14, s13
	s_delay_alu instid0(VALU_DEP_1) | instid1(SALU_CYCLE_1)
	v_cndmask_b32_e64 v2, v2, 0, s13
	s_delay_alu instid0(VALU_DEP_1)
	v_or_b32_e32 v95, v2, v60
.LBB2_945:                              ;   in Loop: Header=BB2_853 Depth=4
	s_or_b32 exec_lo, exec_lo, s77
                                        ; implicit-def: $vgpr60
.LBB2_946:                              ;   in Loop: Header=BB2_853 Depth=4
	s_and_not1_saveexec_b32 s13, s76
; %bb.947:                              ;   in Loop: Header=BB2_853 Depth=4
	v_or_b32_e32 v95, 0x7e, v60
; %bb.948:                              ;   in Loop: Header=BB2_853 Depth=4
	s_or_b32 exec_lo, exec_lo, s13
                                        ; implicit-def: $vgpr57
.LBB2_949:                              ;   in Loop: Header=BB2_853 Depth=4
	s_and_not1_saveexec_b32 s13, s15
; %bb.950:                              ;   in Loop: Header=BB2_853 Depth=4
	v_or_b32_e32 v95, 0x7f, v57
; %bb.951:                              ;   in Loop: Header=BB2_853 Depth=4
	s_or_b32 exec_lo, exec_lo, s13
	v_mov_b32_e32 v56, 0
	s_mov_b32 s14, exec_lo
	v_cmpx_lt_u32_e32 0xffffff, v12
	s_cbranch_execz .LBB2_959
; %bb.952:                              ;   in Loop: Header=BB2_853 Depth=4
	v_lshrrev_b32_e32 v57, 24, v12
	v_bfrev_b32_e32 v56, 1
	s_mov_b32 s15, exec_lo
	s_delay_alu instid0(VALU_DEP_2)
	v_cmpx_ne_u32_e32 0x80, v57
	s_cbranch_execz .LBB2_958
; %bb.953:                              ;   in Loop: Header=BB2_853 Depth=4
	v_bfe_u32 v58, v12, 24, 7
	v_mov_b32_e32 v56, 0x7f800001
	s_mov_b32 s76, exec_lo
	s_delay_alu instid0(VALU_DEP_2)
	v_cmpx_ne_u32_e32 0x7f, v58
	s_cbranch_execz .LBB2_957
; %bb.954:                              ;   in Loop: Header=BB2_853 Depth=4
	v_dual_lshrrev_b32 v56, 3, v58 :: v_dual_bitop2_b32 v2, 7, v57 bitop3:0x40
	s_mov_b32 s77, exec_lo
	v_cmpx_gt_u32_e32 8, v58
; %bb.955:                              ;   in Loop: Header=BB2_853 Depth=4
	s_delay_alu instid0(VALU_DEP_2) | instskip(NEXT) | instid1(VALU_DEP_1)
	v_clz_i32_u32_e32 v18, v2
	v_min_u32_e32 v56, 32, v18
	s_delay_alu instid0(VALU_DEP_1) | instskip(NEXT) | instid1(VALU_DEP_1)
	v_subrev_nc_u32_e32 v18, 28, v56
	v_lshlrev_b64_e32 v[18:19], v18, v[2:3]
	s_delay_alu instid0(VALU_DEP_1)
	v_dual_sub_nc_u32 v56, 29, v56 :: v_dual_bitop2_b32 v2, 7, v18 bitop3:0x40
; %bb.956:                              ;   in Loop: Header=BB2_853 Depth=4
	s_or_b32 exec_lo, exec_lo, s77
	s_delay_alu instid0(VALU_DEP_1) | instskip(NEXT) | instid1(VALU_DEP_2)
	v_dual_lshlrev_b32 v18, 24, v57 :: v_dual_lshlrev_b32 v2, 20, v2
	v_lshl_add_u32 v19, v56, 23, 0x3c000000
	s_delay_alu instid0(VALU_DEP_2) | instskip(NEXT) | instid1(VALU_DEP_1)
	v_and_b32_e32 v18, 0x80000000, v18
	v_or3_b32 v56, v2, v18, v19
.LBB2_957:                              ;   in Loop: Header=BB2_853 Depth=4
	s_or_b32 exec_lo, exec_lo, s76
.LBB2_958:                              ;   in Loop: Header=BB2_853 Depth=4
	s_delay_alu instid0(SALU_CYCLE_1)
	s_or_b32 exec_lo, exec_lo, s15
.LBB2_959:                              ;   in Loop: Header=BB2_853 Depth=4
	s_delay_alu instid0(SALU_CYCLE_1) | instskip(SKIP_3) | instid1(VALU_DEP_3)
	s_or_b32 exec_lo, exec_lo, s14
	v_lshrrev_b32_e32 v2, 24, v8
	v_bfe_u32 v57, v8, 24, 7
	v_cmp_gt_u32_e64 s15, 0x1000000, v8
	v_cmp_eq_u32_e64 s13, 0x80, v2
	s_delay_alu instid0(VALU_DEP_3) | instskip(NEXT) | instid1(VALU_DEP_2)
	v_cmp_eq_u32_e64 s14, 0x7f, v57
	v_cndmask_b32_e64 v18, 0x7f800001, v77, s13
	s_or_b32 s13, s13, s14
	s_delay_alu instid0(SALU_CYCLE_1) | instskip(NEXT) | instid1(VALU_DEP_1)
	s_nor_b32 s13, s15, s13
	v_cndmask_b32_e64 v58, v18, 0, s15
	s_and_saveexec_b32 s14, s13
	s_cbranch_execz .LBB2_961
; %bb.960:                              ;   in Loop: Header=BB2_853 Depth=4
	v_and_b32_e32 v58, 7, v2
	v_cmp_gt_u32_e64 s13, 8, v57
	s_delay_alu instid0(VALU_DEP_2) | instskip(NEXT) | instid1(VALU_DEP_1)
	v_clz_i32_u32_e32 v18, v58
	v_min_u32_e32 v59, 32, v18
	s_delay_alu instid0(VALU_DEP_1) | instskip(NEXT) | instid1(VALU_DEP_1)
	v_subrev_nc_u32_e32 v18, 28, v59
	v_lshlrev_b64_e32 v[18:19], v18, v[2:3]
	v_dual_lshrrev_b32 v19, 3, v57 :: v_dual_sub_nc_u32 v59, 29, v59
	s_delay_alu instid0(VALU_DEP_2) | instskip(NEXT) | instid1(VALU_DEP_2)
	v_and_b32_e32 v18, 7, v18
	v_dual_lshlrev_b32 v2, 24, v2 :: v_dual_cndmask_b32 v19, v19, v59, s13
	s_delay_alu instid0(VALU_DEP_2) | instskip(NEXT) | instid1(VALU_DEP_2)
	v_cndmask_b32_e64 v18, v58, v18, s13
	v_and_b32_e32 v2, 0x80000000, v2
	s_delay_alu instid0(VALU_DEP_3) | instskip(NEXT) | instid1(VALU_DEP_3)
	v_lshl_add_u32 v19, v19, 23, 0x3c000000
	v_lshlrev_b32_e32 v18, 20, v18
	s_delay_alu instid0(VALU_DEP_1)
	v_or3_b32 v58, v18, v2, v19
.LBB2_961:                              ;   in Loop: Header=BB2_853 Depth=4
	s_or_b32 exec_lo, exec_lo, s14
	s_delay_alu instid0(VALU_DEP_1) | instskip(SKIP_1) | instid1(VALU_DEP_1)
	v_add_f32_e32 v56, v56, v58
                                        ; implicit-def: $vgpr104
	s_mov_b32 s14, exec_lo
	v_and_b32_e32 v2, 0x7f800000, v56
	v_lshrrev_b32_e32 v57, 24, v56
	s_delay_alu instid0(VALU_DEP_2)
	v_cmpx_ne_u64_e32 0x7f800000, v[2:3]
	s_xor_b32 s15, exec_lo, s14
	s_cbranch_execz .LBB2_975
; %bb.962:                              ;   in Loop: Header=BB2_853 Depth=4
	v_and_b32_e32 v2, 0x7fffffff, v56
	v_and_b32_e32 v60, 0x80, v57
                                        ; implicit-def: $vgpr104
	s_mov_b32 s14, exec_lo
	s_delay_alu instid0(VALU_DEP_2)
	v_cmpx_gt_u64_e32 0x43e00001, v[2:3]
	s_xor_b32 s76, exec_lo, s14
	s_cbranch_execz .LBB2_972
; %bb.963:                              ;   in Loop: Header=BB2_853 Depth=4
	v_mov_b32_e32 v104, 0
	s_mov_b32 s77, exec_lo
	v_cmpx_ne_u32_e32 0, v56
	s_cbranch_execz .LBB2_971
; %bb.964:                              ;   in Loop: Header=BB2_853 Depth=4
	v_bfe_u32 v61, v56, 23, 8
	s_delay_alu instid0(VALU_DEP_1) | instskip(SKIP_1) | instid1(VALU_DEP_1)
	v_sub_nc_u32_e32 v2, 0x79, v61
	v_cmp_gt_u32_e64 s13, 0x7a, v61
	v_cndmask_b32_e64 v2, 0, v2, s13
	v_cmp_eq_u32_e64 s13, 0, v61
	s_delay_alu instid0(VALU_DEP_1) | instskip(SKIP_1) | instid1(VALU_DEP_2)
	v_cndmask_b32_e64 v104, v2, 0x78, s13
	v_and_b32_e32 v2, 0x7fffff, v56
	v_add_nc_u32_e32 v18, 20, v104
	s_delay_alu instid0(VALU_DEP_2) | instskip(SKIP_1) | instid1(VALU_DEP_3)
	v_or_b32_e32 v56, 0x800000, v2
	v_add_nc_u32_e32 v57, 19, v104
	v_lshlrev_b64_e64 v[18:19], v18, -1
	s_delay_alu instid0(VALU_DEP_3) | instskip(NEXT) | instid1(VALU_DEP_3)
	v_cndmask_b32_e64 v2, v56, v2, s13
	v_lshlrev_b64_e64 v[58:59], v57, 1
	s_delay_alu instid0(VALU_DEP_2) | instskip(NEXT) | instid1(VALU_DEP_4)
	v_lshrrev_b64 v[56:57], v104, v[2:3]
	v_bfi_b32 v19, v19, 0, 0
	v_bfi_b32 v18, v18, 0, v2
	s_delay_alu instid0(VALU_DEP_1) | instskip(NEXT) | instid1(VALU_DEP_4)
	v_cmp_eq_u64_e64 s14, v[18:19], v[58:59]
	v_mov_b64_e32 v[58:59], v[56:57]
	s_and_saveexec_b32 s78, s14
; %bb.965:                              ;   in Loop: Header=BB2_853 Depth=4
	v_bfe_u32 v2, v56, 20, 1
	s_delay_alu instid0(VALU_DEP_1) | instskip(NEXT) | instid1(VALU_DEP_1)
	v_add_nc_u64_e32 v[18:19], v[56:57], v[2:3]
	v_add_nc_u64_e32 v[58:59], -1, v[18:19]
; %bb.966:                              ;   in Loop: Header=BB2_853 Depth=4
	s_or_b32 exec_lo, exec_lo, s78
	v_add_nc_u32_e32 v2, 0xffffff81, v61
	v_lshrrev_b32_e32 v18, 23, v56
	s_mov_b32 s14, exec_lo
	s_delay_alu instid0(VALU_DEP_2) | instskip(NEXT) | instid1(VALU_DEP_1)
	v_cndmask_b32_e64 v2, v2, 0xffffff82, s13
	v_add3_u32 v59, v104, v2, v18
	v_and_b32_e32 v2, 0xfffff, v58
                                        ; implicit-def: $vgpr58
	s_delay_alu instid0(VALU_DEP_1) | instskip(NEXT) | instid1(VALU_DEP_1)
	v_dual_add_nc_u32 v61, 6, v59 :: v_dual_add_nc_u32 v2, v2, v56
                                        ; implicit-def: $vgpr56_vgpr57
	v_cmpx_ne_u32_e32 0, v61
	s_xor_b32 s14, exec_lo, s14
; %bb.967:                              ;   in Loop: Header=BB2_853 Depth=4
	s_delay_alu instid0(VALU_DEP_2) | instskip(SKIP_1) | instid1(VALU_DEP_1)
	v_cmp_lt_u64_e64 s13, 0xffffff, v[2:3]
	v_add_nc_u32_e32 v18, 7, v59
	v_cndmask_b32_e64 v58, v61, v18, s13
	v_cndmask_b32_e64 v18, 0, 1, s13
	s_delay_alu instid0(VALU_DEP_1)
	v_lshrrev_b64 v[56:57], v18, v[2:3]
; %bb.968:                              ;   in Loop: Header=BB2_853 Depth=4
	s_and_not1_saveexec_b32 s13, s14
; %bb.969:                              ;   in Loop: Header=BB2_853 Depth=4
	v_mov_b64_e32 v[56:57], v[2:3]
	v_bfe_u32 v58, v2, 23, 1
; %bb.970:                              ;   in Loop: Header=BB2_853 Depth=4
	s_or_b32 exec_lo, exec_lo, s13
	s_delay_alu instid0(VALU_DEP_2) | instskip(NEXT) | instid1(VALU_DEP_2)
	v_lshrrev_b64 v[18:19], 20, v[56:57]
	v_cmp_gt_i32_e64 s13, 16, v58
	v_min_i32_e32 v2, 15, v58
	v_cmp_eq_u32_e64 s14, 0, v58
	s_delay_alu instid0(VALU_DEP_2) | instskip(SKIP_1) | instid1(VALU_DEP_2)
	v_dual_cndmask_b32 v19, 0, v19, s13 :: v_dual_lshlrev_b32 v2, 3, v2
	v_cndmask_b32_e64 v18, 7, v18, s13
	v_and_b32_e32 v2, 0xf8, v2
	s_delay_alu instid0(VALU_DEP_2) | instskip(NEXT) | instid1(VALU_DEP_2)
	v_cmp_eq_u64_e64 s13, 0, v[18:19]
	v_and_or_b32 v2, v18, 7, v2
	s_and_b32 s13, s14, s13
	s_delay_alu instid0(VALU_DEP_1) | instid1(SALU_CYCLE_1)
	v_cndmask_b32_e64 v2, v2, 0, s13
	s_delay_alu instid0(VALU_DEP_1)
	v_or_b32_e32 v104, v2, v60
.LBB2_971:                              ;   in Loop: Header=BB2_853 Depth=4
	s_or_b32 exec_lo, exec_lo, s77
                                        ; implicit-def: $vgpr60
.LBB2_972:                              ;   in Loop: Header=BB2_853 Depth=4
	s_and_not1_saveexec_b32 s13, s76
; %bb.973:                              ;   in Loop: Header=BB2_853 Depth=4
	v_or_b32_e32 v104, 0x7e, v60
; %bb.974:                              ;   in Loop: Header=BB2_853 Depth=4
	s_or_b32 exec_lo, exec_lo, s13
                                        ; implicit-def: $vgpr57
.LBB2_975:                              ;   in Loop: Header=BB2_853 Depth=4
	s_and_not1_saveexec_b32 s13, s15
; %bb.976:                              ;   in Loop: Header=BB2_853 Depth=4
	v_or_b32_e32 v104, 0x7f, v57
; %bb.977:                              ;   in Loop: Header=BB2_853 Depth=4
	s_or_b32 exec_lo, exec_lo, s13
	v_and_b32_e32 v56, 0xff, v13
	v_dual_mov_b32 v2, v13 :: v_dual_mov_b32 v58, 0
	s_mov_b32 s14, exec_lo
	s_delay_alu instid0(VALU_DEP_2)
	v_cmpx_ne_u16_e32 0, v56
	s_cbranch_execz .LBB2_983
; %bb.978:                              ;   in Loop: Header=BB2_853 Depth=4
	v_bfrev_b32_e32 v58, 1
	s_mov_b32 s15, exec_lo
	v_cmpx_ne_u16_e32 0x80, v56
	s_cbranch_execz .LBB2_982
; %bb.979:                              ;   in Loop: Header=BB2_853 Depth=4
	v_and_b32_e32 v56, 0x7f, v13
	v_mov_b32_e32 v58, 0x7f800001
	s_mov_b32 s76, exec_lo
	s_delay_alu instid0(VALU_DEP_2)
	v_cmpx_ne_u32_e32 0x7f, v56
	s_cbranch_execz .LBB2_981
; %bb.980:                              ;   in Loop: Header=BB2_853 Depth=4
	v_dual_lshrrev_b32 v19, 3, v56 :: v_dual_bitop2_b32 v18, 7, v13 bitop3:0x40
	v_cmp_gt_u32_e64 s13, 8, v56
	s_delay_alu instid0(VALU_DEP_2) | instskip(NEXT) | instid1(VALU_DEP_1)
	v_clz_i32_u32_e32 v18, v18
	v_min_u32_e32 v18, 32, v18
	s_delay_alu instid0(VALU_DEP_1) | instskip(SKIP_1) | instid1(VALU_DEP_1)
	v_subrev_nc_u32_e32 v57, 28, v18
	v_sub_nc_u32_e32 v18, 29, v18
	v_dual_cndmask_b32 v56, v19, v18, s13 :: v_dual_cndmask_b32 v18, 0, v57, s13
	s_delay_alu instid0(VALU_DEP_1) | instskip(NEXT) | instid1(VALU_DEP_2)
	v_lshl_add_u32 v56, v56, 23, 0x3c000000
	v_lshlrev_b64_e32 v[18:19], v18, v[2:3]
	v_lshlrev_b32_e32 v19, 24, v2
	s_delay_alu instid0(VALU_DEP_1) | instskip(NEXT) | instid1(VALU_DEP_3)
	v_and_b32_e32 v19, 0x80000000, v19
	v_lshlrev_b32_e32 v18, 20, v18
	s_delay_alu instid0(VALU_DEP_1) | instskip(NEXT) | instid1(VALU_DEP_1)
	v_and_b32_e32 v18, 0x700000, v18
	v_or3_b32 v58, v18, v19, v56
.LBB2_981:                              ;   in Loop: Header=BB2_853 Depth=4
	s_or_b32 exec_lo, exec_lo, s76
.LBB2_982:                              ;   in Loop: Header=BB2_853 Depth=4
	s_delay_alu instid0(SALU_CYCLE_1)
	s_or_b32 exec_lo, exec_lo, s15
.LBB2_983:                              ;   in Loop: Header=BB2_853 Depth=4
	s_delay_alu instid0(SALU_CYCLE_1) | instskip(SKIP_4) | instid1(VALU_DEP_2)
	s_or_b32 exec_lo, exec_lo, s14
	v_and_b32_e32 v57, 0xff, v9
	v_mov_b32_e32 v56, v9
	s_mov_b32 s14, 0
	s_mov_b32 s15, exec_lo
	v_cmpx_lt_i16_e32 0x7f, v57
	s_xor_b32 s15, exec_lo, s15
	s_cbranch_execz .LBB2_1018
; %bb.984:                              ;   in Loop: Header=BB2_853 Depth=4
	s_mov_b32 s14, -1
	s_mov_b32 s76, exec_lo
	v_cmpx_eq_u16_e32 0x80, v57
; %bb.985:                              ;   in Loop: Header=BB2_853 Depth=4
	s_xor_b32 s14, exec_lo, -1
; %bb.986:                              ;   in Loop: Header=BB2_853 Depth=4
	s_or_b32 exec_lo, exec_lo, s76
	s_delay_alu instid0(SALU_CYCLE_1)
	s_and_b32 s14, s14, exec_lo
                                        ; implicit-def: $vgpr57
	s_or_saveexec_b32 s15, s15
	v_bfrev_b32_e32 v59, 1
	s_xor_b32 exec_lo, exec_lo, s15
	s_cbranch_execnz .LBB2_1019
.LBB2_987:                              ;   in Loop: Header=BB2_853 Depth=4
	s_or_b32 exec_lo, exec_lo, s15
	v_mov_b32_e32 v57, v3
	s_and_saveexec_b32 s15, s14
	s_cbranch_execz .LBB2_989
.LBB2_988:                              ;   in Loop: Header=BB2_853 Depth=4
	v_and_b32_e32 v18, 7, v9
	v_and_b32_e32 v59, 0x7f, v9
	v_bfe_u32 v19, v9, 3, 4
	s_delay_alu instid0(VALU_DEP_3) | instskip(NEXT) | instid1(VALU_DEP_3)
	v_clz_i32_u32_e32 v18, v18
	v_cmp_gt_u32_e64 s13, 8, v59
	s_delay_alu instid0(VALU_DEP_2) | instskip(NEXT) | instid1(VALU_DEP_1)
	v_min_u32_e32 v18, 32, v18
	v_subrev_nc_u32_e32 v60, 28, v18
	v_sub_nc_u32_e32 v18, 29, v18
	s_delay_alu instid0(VALU_DEP_1) | instskip(SKIP_1) | instid1(VALU_DEP_2)
	v_dual_cndmask_b32 v61, v19, v18, s13 :: v_dual_cndmask_b32 v18, 0, v60, s13
	v_cmp_ne_u32_e64 s13, 0x7f, v59
	v_lshlrev_b64_e32 v[18:19], v18, v[56:57]
	v_lshlrev_b32_e32 v19, 24, v56
	s_delay_alu instid0(VALU_DEP_4) | instskip(NEXT) | instid1(VALU_DEP_2)
	v_lshl_add_u32 v57, v61, 23, 0x3c000000
	v_and_b32_e32 v19, 0x80000000, v19
	s_delay_alu instid0(VALU_DEP_4) | instskip(NEXT) | instid1(VALU_DEP_1)
	v_lshlrev_b32_e32 v18, 20, v18
	v_and_b32_e32 v18, 0x700000, v18
	s_delay_alu instid0(VALU_DEP_1) | instskip(NEXT) | instid1(VALU_DEP_1)
	v_or3_b32 v18, v18, v19, v57
	v_cndmask_b32_e64 v59, 0x7f800001, v18, s13
.LBB2_989:                              ;   in Loop: Header=BB2_853 Depth=4
	s_or_b32 exec_lo, exec_lo, s15
	s_delay_alu instid0(VALU_DEP_1) | instskip(SKIP_1) | instid1(VALU_DEP_1)
	v_dual_add_f32 v58, v58, v59 :: v_dual_mov_b32 v19, v3
                                        ; implicit-def: $vgpr60
	s_mov_b32 s14, exec_lo
	v_and_b32_e32 v18, 0x7f800000, v58
	v_lshrrev_b32_e32 v57, 24, v58
	s_delay_alu instid0(VALU_DEP_2)
	v_cmpx_ne_u64_e32 0x7f800000, v[18:19]
	s_xor_b32 s15, exec_lo, s14
	s_cbranch_execz .LBB2_1003
; %bb.990:                              ;   in Loop: Header=BB2_853 Depth=4
	v_and_b32_e32 v18, 0x7fffffff, v58
	v_mov_b32_e32 v19, v3
	v_and_b32_e32 v57, 0x80, v57
                                        ; implicit-def: $vgpr60
	s_mov_b32 s14, exec_lo
	s_delay_alu instid0(VALU_DEP_2)
	v_cmpx_gt_u64_e32 0x43e00001, v[18:19]
	s_xor_b32 s76, exec_lo, s14
	s_cbranch_execz .LBB2_1000
; %bb.991:                              ;   in Loop: Header=BB2_853 Depth=4
	v_mov_b32_e32 v60, 0
	s_mov_b32 s77, exec_lo
	v_cmpx_ne_u32_e32 0, v58
	s_cbranch_execz .LBB2_999
; %bb.992:                              ;   in Loop: Header=BB2_853 Depth=4
	v_bfe_u32 v105, v58, 23, 8
	v_and_b32_e32 v58, 0x7fffff, v58
	s_delay_alu instid0(VALU_DEP_2) | instskip(SKIP_1) | instid1(VALU_DEP_3)
	v_sub_nc_u32_e32 v18, 0x79, v105
	v_cmp_gt_u32_e64 s13, 0x7a, v105
	v_or_b32_e32 v59, 0x800000, v58
	s_delay_alu instid0(VALU_DEP_2) | instskip(SKIP_1) | instid1(VALU_DEP_1)
	v_cndmask_b32_e64 v18, 0, v18, s13
	v_cmp_eq_u32_e64 s13, 0, v105
	v_cndmask_b32_e64 v106, v18, 0x78, s13
	s_delay_alu instid0(VALU_DEP_4) | instskip(NEXT) | instid1(VALU_DEP_2)
	v_cndmask_b32_e64 v58, v59, v58, s13
	v_dual_mov_b32 v59, v3 :: v_dual_add_nc_u32 v18, 20, v106
	v_add_nc_u32_e32 v60, 19, v106
	s_delay_alu instid0(VALU_DEP_2) | instskip(NEXT) | instid1(VALU_DEP_2)
	v_lshlrev_b64_e64 v[18:19], v18, -1
	v_lshlrev_b64_e64 v[60:61], v60, 1
	s_delay_alu instid0(VALU_DEP_2) | instskip(SKIP_1) | instid1(VALU_DEP_4)
	v_bfi_b32 v18, v18, 0, v58
	v_lshrrev_b64 v[58:59], v106, v[58:59]
	v_bfi_b32 v19, v19, 0, 0
	s_delay_alu instid0(VALU_DEP_1) | instskip(NEXT) | instid1(VALU_DEP_3)
	v_cmp_eq_u64_e64 s14, v[18:19], v[60:61]
	v_mov_b64_e32 v[60:61], v[58:59]
	s_and_saveexec_b32 s78, s14
; %bb.993:                              ;   in Loop: Header=BB2_853 Depth=4
	v_bfe_u32 v18, v58, 20, 1
	v_mov_b32_e32 v19, v3
	s_delay_alu instid0(VALU_DEP_1) | instskip(NEXT) | instid1(VALU_DEP_1)
	v_add_nc_u64_e32 v[18:19], v[58:59], v[18:19]
	v_add_nc_u64_e32 v[60:61], -1, v[18:19]
; %bb.994:                              ;   in Loop: Header=BB2_853 Depth=4
	s_or_b32 exec_lo, exec_lo, s78
	v_dual_mov_b32 v59, v3 :: v_dual_add_nc_u32 v18, 0xffffff81, v105
	v_lshrrev_b32_e32 v19, 23, v58
	s_mov_b32 s14, exec_lo
	s_delay_alu instid0(VALU_DEP_2) | instskip(NEXT) | instid1(VALU_DEP_1)
	v_cndmask_b32_e64 v18, v18, 0xffffff82, s13
	v_add3_u32 v61, v106, v18, v19
	v_and_b32_e32 v18, 0xfffff, v60
                                        ; implicit-def: $vgpr60
	s_delay_alu instid0(VALU_DEP_1) | instskip(NEXT) | instid1(VALU_DEP_1)
	v_dual_add_nc_u32 v105, 6, v61 :: v_dual_add_nc_u32 v58, v18, v58
	v_cmpx_ne_u32_e32 0, v105
	s_xor_b32 s14, exec_lo, s14
; %bb.995:                              ;   in Loop: Header=BB2_853 Depth=4
	s_delay_alu instid0(VALU_DEP_2) | instskip(SKIP_1) | instid1(VALU_DEP_1)
	v_cmp_lt_u64_e64 s13, 0xffffff, v[58:59]
	v_add_nc_u32_e32 v18, 7, v61
	v_cndmask_b32_e64 v60, v105, v18, s13
	v_cndmask_b32_e64 v18, 0, 1, s13
	s_delay_alu instid0(VALU_DEP_1)
	v_lshrrev_b64 v[58:59], v18, v[58:59]
; %bb.996:                              ;   in Loop: Header=BB2_853 Depth=4
	s_and_not1_saveexec_b32 s13, s14
; %bb.997:                              ;   in Loop: Header=BB2_853 Depth=4
	s_delay_alu instid0(VALU_DEP_1)
	v_bfe_u32 v60, v58, 23, 1
; %bb.998:                              ;   in Loop: Header=BB2_853 Depth=4
	s_or_b32 exec_lo, exec_lo, s13
	s_delay_alu instid0(VALU_DEP_2) | instskip(NEXT) | instid1(VALU_DEP_2)
	v_lshrrev_b64 v[18:19], 20, v[58:59]
	v_cmp_gt_i32_e64 s13, 16, v60
	v_min_i32_e32 v58, 15, v60
	v_cmp_eq_u32_e64 s14, 0, v60
	s_delay_alu instid0(VALU_DEP_2) | instskip(SKIP_1) | instid1(VALU_DEP_2)
	v_dual_cndmask_b32 v19, 0, v19, s13 :: v_dual_lshlrev_b32 v58, 3, v58
	v_cndmask_b32_e64 v18, 7, v18, s13
	v_and_b32_e32 v58, 0xf8, v58
	s_delay_alu instid0(VALU_DEP_2) | instskip(NEXT) | instid1(VALU_DEP_2)
	v_cmp_eq_u64_e64 s13, 0, v[18:19]
	v_and_or_b32 v18, v18, 7, v58
	s_and_b32 s13, s14, s13
	s_delay_alu instid0(VALU_DEP_1) | instid1(SALU_CYCLE_1)
	v_cndmask_b32_e64 v18, v18, 0, s13
	s_delay_alu instid0(VALU_DEP_1)
	v_or_b32_e32 v60, v18, v57
.LBB2_999:                              ;   in Loop: Header=BB2_853 Depth=4
	s_or_b32 exec_lo, exec_lo, s77
                                        ; implicit-def: $vgpr57
.LBB2_1000:                             ;   in Loop: Header=BB2_853 Depth=4
	s_and_not1_saveexec_b32 s13, s76
; %bb.1001:                             ;   in Loop: Header=BB2_853 Depth=4
	v_or_b32_e32 v60, 0x7e, v57
; %bb.1002:                             ;   in Loop: Header=BB2_853 Depth=4
	s_or_b32 exec_lo, exec_lo, s13
                                        ; implicit-def: $vgpr57
.LBB2_1003:                             ;   in Loop: Header=BB2_853 Depth=4
	s_and_not1_saveexec_b32 s13, s15
; %bb.1004:                             ;   in Loop: Header=BB2_853 Depth=4
	v_or_b32_e32 v60, 0x7f, v57
; %bb.1005:                             ;   in Loop: Header=BB2_853 Depth=4
	s_or_b32 exec_lo, exec_lo, s13
	v_lshrrev_b16 v58, 8, v2
	v_mov_b32_e32 v57, 0
	s_mov_b32 s14, exec_lo
	s_delay_alu instid0(VALU_DEP_2)
	v_cmpx_ne_u16_e32 0, v58
	s_cbranch_execz .LBB2_1013
; %bb.1006:                             ;   in Loop: Header=BB2_853 Depth=4
	v_bfrev_b32_e32 v57, 1
	s_mov_b32 s15, exec_lo
	v_cmpx_ne_u16_e32 0x80, v58
	s_cbranch_execz .LBB2_1012
; %bb.1007:                             ;   in Loop: Header=BB2_853 Depth=4
	v_and_b32_e32 v58, 0xffff, v58
	v_mov_b32_e32 v57, 0x7f800001
	s_mov_b32 s76, exec_lo
	s_delay_alu instid0(VALU_DEP_2) | instskip(NEXT) | instid1(VALU_DEP_1)
	v_and_b32_e32 v61, 0x7f, v58
	v_cmpx_ne_u32_e32 0x7f, v61
	s_cbranch_execz .LBB2_1011
; %bb.1008:                             ;   in Loop: Header=BB2_853 Depth=4
	v_dual_mov_b32 v59, v3 :: v_dual_bitop2_b32 v58, 7, v58 bitop3:0x40
	v_lshrrev_b32_e32 v57, 3, v61
	s_mov_b32 s77, exec_lo
	v_cmpx_gt_u32_e32 8, v61
; %bb.1009:                             ;   in Loop: Header=BB2_853 Depth=4
	s_delay_alu instid0(VALU_DEP_3) | instskip(NEXT) | instid1(VALU_DEP_1)
	v_clz_i32_u32_e32 v18, v58
	v_min_u32_e32 v57, 32, v18
	s_delay_alu instid0(VALU_DEP_1) | instskip(NEXT) | instid1(VALU_DEP_1)
	v_subrev_nc_u32_e32 v18, 28, v57
	v_lshlrev_b64_e32 v[18:19], v18, v[58:59]
	s_delay_alu instid0(VALU_DEP_1)
	v_dual_sub_nc_u32 v57, 29, v57 :: v_dual_bitop2_b32 v58, 7, v18 bitop3:0x40
; %bb.1010:                             ;   in Loop: Header=BB2_853 Depth=4
	s_or_b32 exec_lo, exec_lo, s77
	v_lshlrev_b32_e32 v2, 16, v2
	s_delay_alu instid0(VALU_DEP_2) | instskip(NEXT) | instid1(VALU_DEP_3)
	v_lshlrev_b32_e32 v18, 20, v58
	v_lshl_add_u32 v19, v57, 23, 0x3c000000
	s_delay_alu instid0(VALU_DEP_3) | instskip(NEXT) | instid1(VALU_DEP_1)
	v_and_b32_e32 v2, 0x80000000, v2
	v_or3_b32 v57, v18, v2, v19
.LBB2_1011:                             ;   in Loop: Header=BB2_853 Depth=4
	s_or_b32 exec_lo, exec_lo, s76
.LBB2_1012:                             ;   in Loop: Header=BB2_853 Depth=4
	s_delay_alu instid0(SALU_CYCLE_1)
	s_or_b32 exec_lo, exec_lo, s15
.LBB2_1013:                             ;   in Loop: Header=BB2_853 Depth=4
	s_delay_alu instid0(SALU_CYCLE_1) | instskip(SKIP_3) | instid1(VALU_DEP_1)
	s_or_b32 exec_lo, exec_lo, s14
	v_lshrrev_b16 v56, 8, v56
	s_mov_b32 s15, 0
	s_mov_b32 s14, exec_lo
	v_cmpx_lt_i16_e32 0x7f, v56
	s_xor_b32 s14, exec_lo, s14
	s_cbranch_execz .LBB2_1020
; %bb.1014:                             ;   in Loop: Header=BB2_853 Depth=4
	s_mov_b32 s15, -1
	s_mov_b32 s76, exec_lo
	v_cmpx_eq_u16_e32 0x80, v56
; %bb.1015:                             ;   in Loop: Header=BB2_853 Depth=4
	s_xor_b32 s15, exec_lo, -1
; %bb.1016:                             ;   in Loop: Header=BB2_853 Depth=4
	s_or_b32 exec_lo, exec_lo, s76
	s_delay_alu instid0(SALU_CYCLE_1)
	s_and_b32 s15, s15, exec_lo
	s_or_saveexec_b32 s14, s14
	v_bfrev_b32_e32 v58, 1
	s_xor_b32 exec_lo, exec_lo, s14
	s_cbranch_execnz .LBB2_1021
.LBB2_1017:                             ;   in Loop: Header=BB2_853 Depth=4
	s_or_b32 exec_lo, exec_lo, s14
	s_and_saveexec_b32 s14, s15
	s_cbranch_execnz .LBB2_1022
	s_branch .LBB2_1025
.LBB2_1018:                             ;   in Loop: Header=BB2_853 Depth=4
	s_or_saveexec_b32 s15, s15
	v_bfrev_b32_e32 v59, 1
	s_xor_b32 exec_lo, exec_lo, s15
	s_cbranch_execz .LBB2_987
.LBB2_1019:                             ;   in Loop: Header=BB2_853 Depth=4
	v_cmp_ne_u16_e64 s13, 0, v57
	v_mov_b32_e32 v59, 0
	s_and_not1_b32 s14, s14, exec_lo
	s_and_b32 s13, s13, exec_lo
	s_delay_alu instid0(SALU_CYCLE_1)
	s_or_b32 s14, s14, s13
	s_or_b32 exec_lo, exec_lo, s15
	v_mov_b32_e32 v57, v3
	s_and_saveexec_b32 s15, s14
	s_cbranch_execnz .LBB2_988
	s_branch .LBB2_989
.LBB2_1020:                             ;   in Loop: Header=BB2_853 Depth=4
	s_or_saveexec_b32 s14, s14
	v_bfrev_b32_e32 v58, 1
	s_xor_b32 exec_lo, exec_lo, s14
	s_cbranch_execz .LBB2_1017
.LBB2_1021:                             ;   in Loop: Header=BB2_853 Depth=4
	v_cmp_ne_u16_e64 s13, 0, v56
	v_mov_b32_e32 v58, 0
	s_and_not1_b32 s15, s15, exec_lo
	s_and_b32 s13, s13, exec_lo
	s_delay_alu instid0(SALU_CYCLE_1)
	s_or_b32 s15, s15, s13
	s_or_b32 exec_lo, exec_lo, s14
	s_and_saveexec_b32 s14, s15
	s_cbranch_execz .LBB2_1025
.LBB2_1022:                             ;   in Loop: Header=BB2_853 Depth=4
	v_and_b32_e32 v2, 0xffff, v56
	v_mov_b32_e32 v58, 0x7f800001
	s_mov_b32 s15, exec_lo
	s_delay_alu instid0(VALU_DEP_2) | instskip(NEXT) | instid1(VALU_DEP_1)
	v_and_b32_e32 v59, 0x7f, v2
	v_cmpx_ne_u32_e32 0x7f, v59
	s_cbranch_execz .LBB2_1024
; %bb.1023:                             ;   in Loop: Header=BB2_853 Depth=4
	v_and_b32_e32 v58, 7, v2
	v_cmp_gt_u32_e64 s13, 8, v59
	s_delay_alu instid0(VALU_DEP_2) | instskip(NEXT) | instid1(VALU_DEP_1)
	v_clz_i32_u32_e32 v18, v58
	v_min_u32_e32 v61, 32, v18
	s_delay_alu instid0(VALU_DEP_1) | instskip(NEXT) | instid1(VALU_DEP_1)
	v_subrev_nc_u32_e32 v18, 28, v61
	v_lshlrev_b64_e32 v[18:19], v18, v[2:3]
	v_dual_lshrrev_b32 v2, 3, v59 :: v_dual_sub_nc_u32 v19, 29, v61
	s_delay_alu instid0(VALU_DEP_2) | instskip(NEXT) | instid1(VALU_DEP_2)
	v_dual_lshlrev_b32 v56, 24, v56 :: v_dual_bitop2_b32 v18, 7, v18 bitop3:0x40
	v_cndmask_b32_e64 v2, v2, v19, s13
	s_delay_alu instid0(VALU_DEP_2) | instskip(NEXT) | instid1(VALU_DEP_3)
	v_cndmask_b32_e64 v18, v58, v18, s13
	v_and_b32_e32 v19, 0x80000000, v56
	s_delay_alu instid0(VALU_DEP_3) | instskip(NEXT) | instid1(VALU_DEP_3)
	v_lshl_add_u32 v2, v2, 23, 0x3c000000
	v_lshlrev_b32_e32 v18, 20, v18
	s_delay_alu instid0(VALU_DEP_1)
	v_or3_b32 v58, v18, v19, v2
.LBB2_1024:                             ;   in Loop: Header=BB2_853 Depth=4
	s_or_b32 exec_lo, exec_lo, s15
.LBB2_1025:                             ;   in Loop: Header=BB2_853 Depth=4
	s_delay_alu instid0(SALU_CYCLE_1) | instskip(NEXT) | instid1(VALU_DEP_1)
	s_or_b32 exec_lo, exec_lo, s14
	v_add_f32_e32 v56, v57, v58
                                        ; implicit-def: $vgpr61
	s_mov_b32 s14, exec_lo
	s_delay_alu instid0(VALU_DEP_1) | instskip(SKIP_1) | instid1(VALU_DEP_2)
	v_and_b32_e32 v2, 0x7f800000, v56
	v_lshrrev_b32_e32 v57, 24, v56
	v_cmpx_ne_u64_e32 0x7f800000, v[2:3]
	s_xor_b32 s15, exec_lo, s14
	s_cbranch_execz .LBB2_1039
; %bb.1026:                             ;   in Loop: Header=BB2_853 Depth=4
	v_and_b32_e32 v2, 0x7fffffff, v56
	v_and_b32_e32 v105, 0x80, v57
                                        ; implicit-def: $vgpr61
	s_mov_b32 s14, exec_lo
	s_delay_alu instid0(VALU_DEP_2)
	v_cmpx_gt_u64_e32 0x43e00001, v[2:3]
	s_xor_b32 s76, exec_lo, s14
	s_cbranch_execz .LBB2_1036
; %bb.1027:                             ;   in Loop: Header=BB2_853 Depth=4
	v_mov_b32_e32 v61, 0
	s_mov_b32 s77, exec_lo
	v_cmpx_ne_u32_e32 0, v56
	s_cbranch_execz .LBB2_1035
; %bb.1028:                             ;   in Loop: Header=BB2_853 Depth=4
	v_bfe_u32 v61, v56, 23, 8
	s_delay_alu instid0(VALU_DEP_1) | instskip(SKIP_1) | instid1(VALU_DEP_1)
	v_sub_nc_u32_e32 v2, 0x79, v61
	v_cmp_gt_u32_e64 s13, 0x7a, v61
	v_cndmask_b32_e64 v2, 0, v2, s13
	v_cmp_eq_u32_e64 s13, 0, v61
	s_delay_alu instid0(VALU_DEP_1) | instskip(SKIP_1) | instid1(VALU_DEP_2)
	v_cndmask_b32_e64 v106, v2, 0x78, s13
	v_and_b32_e32 v2, 0x7fffff, v56
	v_dual_add_nc_u32 v18, 20, v106 :: v_dual_add_nc_u32 v57, 19, v106
	s_delay_alu instid0(VALU_DEP_2) | instskip(NEXT) | instid1(VALU_DEP_2)
	v_or_b32_e32 v56, 0x800000, v2
	v_lshlrev_b64_e64 v[18:19], v18, -1
	s_delay_alu instid0(VALU_DEP_3) | instskip(NEXT) | instid1(VALU_DEP_3)
	v_lshlrev_b64_e64 v[58:59], v57, 1
	v_cndmask_b32_e64 v2, v56, v2, s13
	s_delay_alu instid0(VALU_DEP_1) | instskip(NEXT) | instid1(VALU_DEP_4)
	v_lshrrev_b64 v[56:57], v106, v[2:3]
	v_bfi_b32 v19, v19, 0, 0
	v_bfi_b32 v18, v18, 0, v2
	s_delay_alu instid0(VALU_DEP_1) | instskip(NEXT) | instid1(VALU_DEP_4)
	v_cmp_eq_u64_e64 s14, v[18:19], v[58:59]
	v_mov_b64_e32 v[58:59], v[56:57]
	s_and_saveexec_b32 s78, s14
; %bb.1029:                             ;   in Loop: Header=BB2_853 Depth=4
	v_bfe_u32 v2, v56, 20, 1
	s_delay_alu instid0(VALU_DEP_1) | instskip(NEXT) | instid1(VALU_DEP_1)
	v_add_nc_u64_e32 v[18:19], v[56:57], v[2:3]
	v_add_nc_u64_e32 v[58:59], -1, v[18:19]
; %bb.1030:                             ;   in Loop: Header=BB2_853 Depth=4
	s_or_b32 exec_lo, exec_lo, s78
	v_add_nc_u32_e32 v2, 0xffffff81, v61
	v_lshrrev_b32_e32 v18, 23, v56
	s_mov_b32 s14, exec_lo
	s_delay_alu instid0(VALU_DEP_2) | instskip(NEXT) | instid1(VALU_DEP_1)
	v_cndmask_b32_e64 v2, v2, 0xffffff82, s13
	v_add3_u32 v59, v106, v2, v18
	v_and_b32_e32 v2, 0xfffff, v58
                                        ; implicit-def: $vgpr58
	s_delay_alu instid0(VALU_DEP_1) | instskip(NEXT) | instid1(VALU_DEP_1)
	v_dual_add_nc_u32 v61, 6, v59 :: v_dual_add_nc_u32 v2, v2, v56
                                        ; implicit-def: $vgpr56_vgpr57
	v_cmpx_ne_u32_e32 0, v61
	s_xor_b32 s14, exec_lo, s14
; %bb.1031:                             ;   in Loop: Header=BB2_853 Depth=4
	s_delay_alu instid0(VALU_DEP_2) | instskip(SKIP_1) | instid1(VALU_DEP_1)
	v_cmp_lt_u64_e64 s13, 0xffffff, v[2:3]
	v_add_nc_u32_e32 v18, 7, v59
	v_cndmask_b32_e64 v58, v61, v18, s13
	v_cndmask_b32_e64 v18, 0, 1, s13
	s_delay_alu instid0(VALU_DEP_1)
	v_lshrrev_b64 v[56:57], v18, v[2:3]
; %bb.1032:                             ;   in Loop: Header=BB2_853 Depth=4
	s_and_not1_saveexec_b32 s13, s14
; %bb.1033:                             ;   in Loop: Header=BB2_853 Depth=4
	v_mov_b64_e32 v[56:57], v[2:3]
	v_bfe_u32 v58, v2, 23, 1
; %bb.1034:                             ;   in Loop: Header=BB2_853 Depth=4
	s_or_b32 exec_lo, exec_lo, s13
	s_delay_alu instid0(VALU_DEP_2) | instskip(NEXT) | instid1(VALU_DEP_2)
	v_lshrrev_b64 v[18:19], 20, v[56:57]
	v_cmp_gt_i32_e64 s13, 16, v58
	v_min_i32_e32 v2, 15, v58
	v_cmp_eq_u32_e64 s14, 0, v58
	s_delay_alu instid0(VALU_DEP_2) | instskip(SKIP_1) | instid1(VALU_DEP_2)
	v_dual_cndmask_b32 v19, 0, v19, s13 :: v_dual_lshlrev_b32 v2, 3, v2
	v_cndmask_b32_e64 v18, 7, v18, s13
	v_and_b32_e32 v2, 0xf8, v2
	s_delay_alu instid0(VALU_DEP_2) | instskip(NEXT) | instid1(VALU_DEP_2)
	v_cmp_eq_u64_e64 s13, 0, v[18:19]
	v_and_or_b32 v2, v18, 7, v2
	s_and_b32 s13, s14, s13
	s_delay_alu instid0(VALU_DEP_1) | instid1(SALU_CYCLE_1)
	v_cndmask_b32_e64 v2, v2, 0, s13
	s_delay_alu instid0(VALU_DEP_1)
	v_or_b32_e32 v61, v2, v105
.LBB2_1035:                             ;   in Loop: Header=BB2_853 Depth=4
	s_or_b32 exec_lo, exec_lo, s77
                                        ; implicit-def: $vgpr105
.LBB2_1036:                             ;   in Loop: Header=BB2_853 Depth=4
	s_and_not1_saveexec_b32 s13, s76
; %bb.1037:                             ;   in Loop: Header=BB2_853 Depth=4
	v_or_b32_e32 v61, 0x7e, v105
; %bb.1038:                             ;   in Loop: Header=BB2_853 Depth=4
	s_or_b32 exec_lo, exec_lo, s13
                                        ; implicit-def: $vgpr57
.LBB2_1039:                             ;   in Loop: Header=BB2_853 Depth=4
	s_and_not1_saveexec_b32 s13, s15
; %bb.1040:                             ;   in Loop: Header=BB2_853 Depth=4
	v_or_b32_e32 v61, 0x7f, v57
; %bb.1041:                             ;   in Loop: Header=BB2_853 Depth=4
	s_or_b32 exec_lo, exec_lo, s13
	v_dual_mov_b32 v56, 0 :: v_dual_lshrrev_b32 v57, 16, v13
	s_mov_b32 s14, exec_lo
	s_delay_alu instid0(VALU_DEP_1) | instskip(NEXT) | instid1(VALU_DEP_1)
	v_and_b32_e32 v2, 0xff, v57
	v_cmpx_ne_u16_e32 0, v2
	s_cbranch_execz .LBB2_1049
; %bb.1042:                             ;   in Loop: Header=BB2_853 Depth=4
	v_bfrev_b32_e32 v56, 1
	s_mov_b32 s15, exec_lo
	v_cmpx_ne_u16_e32 0x80, v2
	s_cbranch_execz .LBB2_1048
; %bb.1043:                             ;   in Loop: Header=BB2_853 Depth=4
	v_bfe_u32 v58, v13, 16, 7
	v_mov_b32_e32 v56, 0x7f800001
	s_mov_b32 s76, exec_lo
	s_delay_alu instid0(VALU_DEP_2)
	v_cmpx_ne_u32_e32 0x7f, v58
	s_cbranch_execz .LBB2_1047
; %bb.1044:                             ;   in Loop: Header=BB2_853 Depth=4
	v_dual_lshrrev_b32 v56, 3, v58 :: v_dual_bitop2_b32 v2, 7, v57 bitop3:0x40
	s_mov_b32 s77, exec_lo
	v_cmpx_gt_u32_e32 8, v58
; %bb.1045:                             ;   in Loop: Header=BB2_853 Depth=4
	s_delay_alu instid0(VALU_DEP_2) | instskip(NEXT) | instid1(VALU_DEP_1)
	v_clz_i32_u32_e32 v18, v2
	v_min_u32_e32 v56, 32, v18
	s_delay_alu instid0(VALU_DEP_1) | instskip(NEXT) | instid1(VALU_DEP_1)
	v_subrev_nc_u32_e32 v18, 28, v56
	v_lshlrev_b64_e32 v[18:19], v18, v[2:3]
	s_delay_alu instid0(VALU_DEP_1)
	v_dual_sub_nc_u32 v56, 29, v56 :: v_dual_bitop2_b32 v2, 7, v18 bitop3:0x40
; %bb.1046:                             ;   in Loop: Header=BB2_853 Depth=4
	s_or_b32 exec_lo, exec_lo, s77
	s_delay_alu instid0(VALU_DEP_1) | instskip(NEXT) | instid1(VALU_DEP_2)
	v_dual_lshlrev_b32 v18, 24, v57 :: v_dual_lshlrev_b32 v2, 20, v2
	v_lshl_add_u32 v19, v56, 23, 0x3c000000
	s_delay_alu instid0(VALU_DEP_2) | instskip(NEXT) | instid1(VALU_DEP_1)
	v_and_b32_e32 v18, 0x80000000, v18
	v_or3_b32 v56, v2, v18, v19
.LBB2_1047:                             ;   in Loop: Header=BB2_853 Depth=4
	s_or_b32 exec_lo, exec_lo, s76
.LBB2_1048:                             ;   in Loop: Header=BB2_853 Depth=4
	s_delay_alu instid0(SALU_CYCLE_1)
	s_or_b32 exec_lo, exec_lo, s15
.LBB2_1049:                             ;   in Loop: Header=BB2_853 Depth=4
	s_delay_alu instid0(SALU_CYCLE_1) | instskip(SKIP_3) | instid1(VALU_DEP_1)
	s_or_b32 exec_lo, exec_lo, s14
	v_lshrrev_b32_e32 v2, 16, v9
	s_mov_b32 s15, 0
	s_mov_b32 s14, exec_lo
	v_and_b32_e32 v58, 0xff, v2
	s_delay_alu instid0(VALU_DEP_1)
	v_cmpx_lt_i16_e32 0x7f, v58
	s_xor_b32 s14, exec_lo, s14
	s_cbranch_execz .LBB2_1054
; %bb.1050:                             ;   in Loop: Header=BB2_853 Depth=4
	s_mov_b32 s15, -1
	s_mov_b32 s76, exec_lo
	v_cmpx_eq_u16_e32 0x80, v58
; %bb.1051:                             ;   in Loop: Header=BB2_853 Depth=4
	s_xor_b32 s15, exec_lo, -1
; %bb.1052:                             ;   in Loop: Header=BB2_853 Depth=4
	s_or_b32 exec_lo, exec_lo, s76
	s_delay_alu instid0(SALU_CYCLE_1)
	s_and_b32 s15, s15, exec_lo
                                        ; implicit-def: $vgpr58
	s_or_saveexec_b32 s14, s14
	v_bfrev_b32_e32 v57, 1
	s_xor_b32 exec_lo, exec_lo, s14
	s_cbranch_execnz .LBB2_1055
.LBB2_1053:                             ;   in Loop: Header=BB2_853 Depth=4
	s_or_b32 exec_lo, exec_lo, s14
	s_and_saveexec_b32 s14, s15
	s_cbranch_execnz .LBB2_1056
	s_branch .LBB2_1059
.LBB2_1054:                             ;   in Loop: Header=BB2_853 Depth=4
	s_or_saveexec_b32 s14, s14
	v_bfrev_b32_e32 v57, 1
	s_xor_b32 exec_lo, exec_lo, s14
	s_cbranch_execz .LBB2_1053
.LBB2_1055:                             ;   in Loop: Header=BB2_853 Depth=4
	v_cmp_ne_u16_e64 s13, 0, v58
	v_mov_b32_e32 v57, 0
	s_and_not1_b32 s15, s15, exec_lo
	s_and_b32 s13, s13, exec_lo
	s_delay_alu instid0(SALU_CYCLE_1)
	s_or_b32 s15, s15, s13
	s_or_b32 exec_lo, exec_lo, s14
	s_and_saveexec_b32 s14, s15
	s_cbranch_execz .LBB2_1059
.LBB2_1056:                             ;   in Loop: Header=BB2_853 Depth=4
	v_and_b32_e32 v58, 0x7f, v2
	v_mov_b32_e32 v57, 0x7f800001
	s_mov_b32 s15, exec_lo
	s_delay_alu instid0(VALU_DEP_2)
	v_cmpx_ne_u32_e32 0x7f, v58
	s_cbranch_execz .LBB2_1058
; %bb.1057:                             ;   in Loop: Header=BB2_853 Depth=4
	v_and_b32_e32 v57, 7, v2
	v_cmp_gt_u32_e64 s13, 8, v58
	s_delay_alu instid0(VALU_DEP_2) | instskip(NEXT) | instid1(VALU_DEP_1)
	v_clz_i32_u32_e32 v18, v57
	v_min_u32_e32 v59, 32, v18
	s_delay_alu instid0(VALU_DEP_1) | instskip(SKIP_1) | instid1(VALU_DEP_2)
	v_subrev_nc_u32_e32 v18, 28, v59
	v_sub_nc_u32_e32 v59, 29, v59
	v_lshlrev_b64_e32 v[18:19], v18, v[2:3]
	v_lshrrev_b32_e32 v19, 3, v58
	s_delay_alu instid0(VALU_DEP_1) | instskip(NEXT) | instid1(VALU_DEP_3)
	v_dual_lshlrev_b32 v2, 24, v2 :: v_dual_cndmask_b32 v19, v19, v59, s13
	v_and_b32_e32 v18, 7, v18
	s_delay_alu instid0(VALU_DEP_2) | instskip(NEXT) | instid1(VALU_DEP_3)
	v_and_b32_e32 v2, 0x80000000, v2
	v_lshl_add_u32 v19, v19, 23, 0x3c000000
	s_delay_alu instid0(VALU_DEP_3) | instskip(NEXT) | instid1(VALU_DEP_1)
	v_cndmask_b32_e64 v18, v57, v18, s13
	v_lshlrev_b32_e32 v18, 20, v18
	s_delay_alu instid0(VALU_DEP_1)
	v_or3_b32 v57, v18, v2, v19
.LBB2_1058:                             ;   in Loop: Header=BB2_853 Depth=4
	s_or_b32 exec_lo, exec_lo, s15
.LBB2_1059:                             ;   in Loop: Header=BB2_853 Depth=4
	s_delay_alu instid0(SALU_CYCLE_1) | instskip(NEXT) | instid1(VALU_DEP_1)
	s_or_b32 exec_lo, exec_lo, s14
	v_add_f32_e32 v56, v56, v57
                                        ; implicit-def: $vgpr58
	s_mov_b32 s14, exec_lo
	s_delay_alu instid0(VALU_DEP_1) | instskip(SKIP_1) | instid1(VALU_DEP_2)
	v_and_b32_e32 v2, 0x7f800000, v56
	v_lshrrev_b32_e32 v57, 24, v56
	v_cmpx_ne_u64_e32 0x7f800000, v[2:3]
	s_xor_b32 s15, exec_lo, s14
	s_cbranch_execz .LBB2_1073
; %bb.1060:                             ;   in Loop: Header=BB2_853 Depth=4
	v_and_b32_e32 v2, 0x7fffffff, v56
	v_and_b32_e32 v105, 0x80, v57
                                        ; implicit-def: $vgpr58
	s_mov_b32 s14, exec_lo
	s_delay_alu instid0(VALU_DEP_2)
	v_cmpx_gt_u64_e32 0x43e00001, v[2:3]
	s_xor_b32 s76, exec_lo, s14
	s_cbranch_execz .LBB2_1070
; %bb.1061:                             ;   in Loop: Header=BB2_853 Depth=4
	v_mov_b32_e32 v58, 0
	s_mov_b32 s77, exec_lo
	v_cmpx_ne_u32_e32 0, v56
	s_cbranch_execz .LBB2_1069
; %bb.1062:                             ;   in Loop: Header=BB2_853 Depth=4
	v_bfe_u32 v106, v56, 23, 8
	s_delay_alu instid0(VALU_DEP_1) | instskip(SKIP_1) | instid1(VALU_DEP_1)
	v_sub_nc_u32_e32 v2, 0x79, v106
	v_cmp_gt_u32_e64 s13, 0x7a, v106
	v_cndmask_b32_e64 v2, 0, v2, s13
	v_cmp_eq_u32_e64 s13, 0, v106
	s_delay_alu instid0(VALU_DEP_1) | instskip(SKIP_1) | instid1(VALU_DEP_2)
	v_cndmask_b32_e64 v107, v2, 0x78, s13
	v_and_b32_e32 v2, 0x7fffff, v56
	v_add_nc_u32_e32 v18, 20, v107
	s_delay_alu instid0(VALU_DEP_2) | instskip(SKIP_1) | instid1(VALU_DEP_3)
	v_or_b32_e32 v56, 0x800000, v2
	v_add_nc_u32_e32 v57, 19, v107
	v_lshlrev_b64_e64 v[18:19], v18, -1
	s_delay_alu instid0(VALU_DEP_3) | instskip(NEXT) | instid1(VALU_DEP_3)
	v_cndmask_b32_e64 v2, v56, v2, s13
	v_lshlrev_b64_e64 v[58:59], v57, 1
	s_delay_alu instid0(VALU_DEP_2) | instskip(NEXT) | instid1(VALU_DEP_4)
	v_lshrrev_b64 v[56:57], v107, v[2:3]
	v_bfi_b32 v19, v19, 0, 0
	v_bfi_b32 v18, v18, 0, v2
	s_delay_alu instid0(VALU_DEP_1) | instskip(NEXT) | instid1(VALU_DEP_4)
	v_cmp_eq_u64_e64 s14, v[18:19], v[58:59]
	v_mov_b64_e32 v[58:59], v[56:57]
	s_and_saveexec_b32 s78, s14
; %bb.1063:                             ;   in Loop: Header=BB2_853 Depth=4
	v_bfe_u32 v2, v56, 20, 1
	s_delay_alu instid0(VALU_DEP_1) | instskip(NEXT) | instid1(VALU_DEP_1)
	v_add_nc_u64_e32 v[18:19], v[56:57], v[2:3]
	v_add_nc_u64_e32 v[58:59], -1, v[18:19]
; %bb.1064:                             ;   in Loop: Header=BB2_853 Depth=4
	s_or_b32 exec_lo, exec_lo, s78
	v_add_nc_u32_e32 v2, 0xffffff81, v106
	v_lshrrev_b32_e32 v18, 23, v56
	s_mov_b32 s14, exec_lo
	s_delay_alu instid0(VALU_DEP_2) | instskip(NEXT) | instid1(VALU_DEP_1)
	v_cndmask_b32_e64 v2, v2, 0xffffff82, s13
	v_add3_u32 v59, v107, v2, v18
	v_and_b32_e32 v2, 0xfffff, v58
                                        ; implicit-def: $vgpr58
	s_delay_alu instid0(VALU_DEP_1) | instskip(NEXT) | instid1(VALU_DEP_1)
	v_dual_add_nc_u32 v106, 6, v59 :: v_dual_add_nc_u32 v2, v2, v56
                                        ; implicit-def: $vgpr56_vgpr57
	v_cmpx_ne_u32_e32 0, v106
	s_xor_b32 s14, exec_lo, s14
; %bb.1065:                             ;   in Loop: Header=BB2_853 Depth=4
	s_delay_alu instid0(VALU_DEP_2) | instskip(SKIP_1) | instid1(VALU_DEP_1)
	v_cmp_lt_u64_e64 s13, 0xffffff, v[2:3]
	v_add_nc_u32_e32 v18, 7, v59
	v_cndmask_b32_e64 v58, v106, v18, s13
	v_cndmask_b32_e64 v18, 0, 1, s13
	s_delay_alu instid0(VALU_DEP_1)
	v_lshrrev_b64 v[56:57], v18, v[2:3]
; %bb.1066:                             ;   in Loop: Header=BB2_853 Depth=4
	s_and_not1_saveexec_b32 s13, s14
; %bb.1067:                             ;   in Loop: Header=BB2_853 Depth=4
	v_mov_b64_e32 v[56:57], v[2:3]
	v_bfe_u32 v58, v2, 23, 1
; %bb.1068:                             ;   in Loop: Header=BB2_853 Depth=4
	s_or_b32 exec_lo, exec_lo, s13
	s_delay_alu instid0(VALU_DEP_2) | instskip(NEXT) | instid1(VALU_DEP_2)
	v_lshrrev_b64 v[18:19], 20, v[56:57]
	v_cmp_gt_i32_e64 s13, 16, v58
	v_min_i32_e32 v2, 15, v58
	v_cmp_eq_u32_e64 s14, 0, v58
	s_delay_alu instid0(VALU_DEP_2) | instskip(SKIP_1) | instid1(VALU_DEP_2)
	v_dual_cndmask_b32 v19, 0, v19, s13 :: v_dual_lshlrev_b32 v2, 3, v2
	v_cndmask_b32_e64 v18, 7, v18, s13
	v_and_b32_e32 v2, 0xf8, v2
	s_delay_alu instid0(VALU_DEP_2) | instskip(NEXT) | instid1(VALU_DEP_2)
	v_cmp_eq_u64_e64 s13, 0, v[18:19]
	v_and_or_b32 v2, v18, 7, v2
	s_and_b32 s13, s14, s13
	s_delay_alu instid0(VALU_DEP_1) | instid1(SALU_CYCLE_1)
	v_cndmask_b32_e64 v2, v2, 0, s13
	s_delay_alu instid0(VALU_DEP_1)
	v_or_b32_e32 v58, v2, v105
.LBB2_1069:                             ;   in Loop: Header=BB2_853 Depth=4
	s_or_b32 exec_lo, exec_lo, s77
                                        ; implicit-def: $vgpr105
.LBB2_1070:                             ;   in Loop: Header=BB2_853 Depth=4
	s_and_not1_saveexec_b32 s13, s76
; %bb.1071:                             ;   in Loop: Header=BB2_853 Depth=4
	v_or_b32_e32 v58, 0x7e, v105
; %bb.1072:                             ;   in Loop: Header=BB2_853 Depth=4
	s_or_b32 exec_lo, exec_lo, s13
                                        ; implicit-def: $vgpr57
.LBB2_1073:                             ;   in Loop: Header=BB2_853 Depth=4
	s_and_not1_saveexec_b32 s13, s15
; %bb.1074:                             ;   in Loop: Header=BB2_853 Depth=4
	v_or_b32_e32 v58, 0x7f, v57
; %bb.1075:                             ;   in Loop: Header=BB2_853 Depth=4
	s_or_b32 exec_lo, exec_lo, s13
	v_cmp_lt_u64_e64 s13, s[22:23], v[12:13]
	v_mov_b32_e32 v12, 0
	s_and_saveexec_b32 s14, s13
	s_cbranch_execz .LBB2_1083
; %bb.1076:                             ;   in Loop: Header=BB2_853 Depth=4
	v_lshrrev_b32_e32 v56, 24, v13
	v_bfrev_b32_e32 v12, 1
	s_mov_b32 s15, exec_lo
	s_delay_alu instid0(VALU_DEP_2)
	v_cmpx_ne_u32_e32 0x80, v56
	s_cbranch_execz .LBB2_1082
; %bb.1077:                             ;   in Loop: Header=BB2_853 Depth=4
	v_bfe_u32 v13, v13, 24, 7
	v_mov_b32_e32 v12, 0x7f800001
	s_mov_b32 s76, exec_lo
	s_delay_alu instid0(VALU_DEP_2)
	v_cmpx_ne_u32_e32 0x7f, v13
	s_cbranch_execz .LBB2_1081
; %bb.1078:                             ;   in Loop: Header=BB2_853 Depth=4
	v_dual_lshrrev_b32 v12, 3, v13 :: v_dual_bitop2_b32 v2, 7, v56 bitop3:0x40
	s_mov_b32 s77, exec_lo
	v_cmpx_gt_u32_e32 8, v13
; %bb.1079:                             ;   in Loop: Header=BB2_853 Depth=4
	s_delay_alu instid0(VALU_DEP_2) | instskip(NEXT) | instid1(VALU_DEP_1)
	v_clz_i32_u32_e32 v12, v2
	v_min_u32_e32 v12, 32, v12
	s_delay_alu instid0(VALU_DEP_1) | instskip(NEXT) | instid1(VALU_DEP_1)
	v_subrev_nc_u32_e32 v13, 28, v12
	v_lshlrev_b64_e32 v[18:19], v13, v[2:3]
	s_delay_alu instid0(VALU_DEP_1)
	v_dual_sub_nc_u32 v12, 29, v12 :: v_dual_bitop2_b32 v2, 7, v18 bitop3:0x40
; %bb.1080:                             ;   in Loop: Header=BB2_853 Depth=4
	s_or_b32 exec_lo, exec_lo, s77
	s_delay_alu instid0(VALU_DEP_1) | instskip(NEXT) | instid1(VALU_DEP_2)
	v_dual_lshlrev_b32 v13, 24, v56 :: v_dual_lshlrev_b32 v2, 20, v2
	v_lshl_add_u32 v12, v12, 23, 0x3c000000
	s_delay_alu instid0(VALU_DEP_2) | instskip(NEXT) | instid1(VALU_DEP_1)
	v_and_b32_e32 v13, 0x80000000, v13
	v_or3_b32 v12, v2, v13, v12
.LBB2_1081:                             ;   in Loop: Header=BB2_853 Depth=4
	s_or_b32 exec_lo, exec_lo, s76
.LBB2_1082:                             ;   in Loop: Header=BB2_853 Depth=4
	s_delay_alu instid0(SALU_CYCLE_1)
	s_or_b32 exec_lo, exec_lo, s15
.LBB2_1083:                             ;   in Loop: Header=BB2_853 Depth=4
	s_delay_alu instid0(SALU_CYCLE_1) | instskip(SKIP_3) | instid1(VALU_DEP_3)
	s_or_b32 exec_lo, exec_lo, s14
	v_lshrrev_b32_e32 v2, 24, v9
	v_bfe_u32 v13, v9, 24, 7
	v_cmp_gt_u64_e64 s15, s[24:25], v[8:9]
	v_cmp_eq_u32_e64 s14, 0x80, v2
	s_delay_alu instid0(VALU_DEP_3) | instskip(NEXT) | instid1(VALU_DEP_2)
	v_cmp_eq_u32_e64 s13, 0x7f, v13
	v_cndmask_b32_e64 v18, 0x7f800001, v77, s14
	s_or_b32 s13, s14, s13
	s_delay_alu instid0(SALU_CYCLE_1) | instskip(NEXT) | instid1(VALU_DEP_1)
	s_nor_b32 s13, s15, s13
	v_cndmask_b32_e64 v8, v18, 0, s15
	s_and_saveexec_b32 s14, s13
	s_cbranch_execz .LBB2_1085
; %bb.1084:                             ;   in Loop: Header=BB2_853 Depth=4
	v_and_b32_e32 v18, 7, v2
	v_cmp_gt_u32_e64 s13, 8, v13
	s_delay_alu instid0(VALU_DEP_2) | instskip(NEXT) | instid1(VALU_DEP_1)
	v_clz_i32_u32_e32 v8, v18
	v_min_u32_e32 v19, 32, v8
	s_delay_alu instid0(VALU_DEP_1) | instskip(NEXT) | instid1(VALU_DEP_1)
	v_subrev_nc_u32_e32 v8, 28, v19
	v_lshlrev_b64_e32 v[8:9], v8, v[2:3]
	v_dual_lshrrev_b32 v9, 3, v13 :: v_dual_sub_nc_u32 v19, 29, v19
	s_delay_alu instid0(VALU_DEP_2) | instskip(NEXT) | instid1(VALU_DEP_1)
	v_dual_lshlrev_b32 v2, 24, v2 :: v_dual_bitop2_b32 v8, 7, v8 bitop3:0x40
	v_dual_cndmask_b32 v9, v9, v19, s13 :: v_dual_cndmask_b32 v8, v18, v8, s13
	s_delay_alu instid0(VALU_DEP_2) | instskip(NEXT) | instid1(VALU_DEP_2)
	v_and_b32_e32 v2, 0x80000000, v2
	v_lshl_add_u32 v9, v9, 23, 0x3c000000
	s_delay_alu instid0(VALU_DEP_3) | instskip(NEXT) | instid1(VALU_DEP_1)
	v_lshlrev_b32_e32 v8, 20, v8
	v_or3_b32 v8, v8, v2, v9
.LBB2_1085:                             ;   in Loop: Header=BB2_853 Depth=4
	s_or_b32 exec_lo, exec_lo, s14
	s_delay_alu instid0(VALU_DEP_1) | instskip(SKIP_1) | instid1(VALU_DEP_1)
	v_add_f32_e32 v8, v12, v8
                                        ; implicit-def: $vgpr59
	s_mov_b32 s14, exec_lo
	v_and_b32_e32 v2, 0x7f800000, v8
	v_lshrrev_b32_e32 v9, 24, v8
	s_delay_alu instid0(VALU_DEP_2)
	v_cmpx_ne_u64_e32 0x7f800000, v[2:3]
	s_xor_b32 s15, exec_lo, s14
	s_cbranch_execz .LBB2_1099
; %bb.1086:                             ;   in Loop: Header=BB2_853 Depth=4
	v_and_b32_e32 v2, 0x7fffffff, v8
	v_and_b32_e32 v56, 0x80, v9
                                        ; implicit-def: $vgpr59
	s_mov_b32 s14, exec_lo
	s_delay_alu instid0(VALU_DEP_2)
	v_cmpx_gt_u64_e32 0x43e00001, v[2:3]
	s_xor_b32 s76, exec_lo, s14
	s_cbranch_execz .LBB2_1096
; %bb.1087:                             ;   in Loop: Header=BB2_853 Depth=4
	v_mov_b32_e32 v59, 0
	s_mov_b32 s77, exec_lo
	v_cmpx_ne_u32_e32 0, v8
	s_cbranch_execz .LBB2_1095
; %bb.1088:                             ;   in Loop: Header=BB2_853 Depth=4
	v_bfe_u32 v57, v8, 23, 8
	s_delay_alu instid0(VALU_DEP_1) | instskip(SKIP_1) | instid1(VALU_DEP_1)
	v_sub_nc_u32_e32 v2, 0x79, v57
	v_cmp_gt_u32_e64 s13, 0x7a, v57
	v_cndmask_b32_e64 v2, 0, v2, s13
	v_cmp_eq_u32_e64 s13, 0, v57
	s_delay_alu instid0(VALU_DEP_1) | instskip(SKIP_1) | instid1(VALU_DEP_2)
	v_cndmask_b32_e64 v59, v2, 0x78, s13
	v_and_b32_e32 v2, 0x7fffff, v8
	v_add_nc_u32_e32 v8, 20, v59
	s_delay_alu instid0(VALU_DEP_2) | instskip(SKIP_1) | instid1(VALU_DEP_3)
	v_or_b32_e32 v12, 0x800000, v2
	v_add_nc_u32_e32 v13, 19, v59
	v_lshlrev_b64_e64 v[8:9], v8, -1
	s_delay_alu instid0(VALU_DEP_3) | instskip(NEXT) | instid1(VALU_DEP_3)
	v_cndmask_b32_e64 v2, v12, v2, s13
	v_lshlrev_b64_e64 v[12:13], v13, 1
	s_delay_alu instid0(VALU_DEP_3) | instskip(NEXT) | instid1(VALU_DEP_3)
	v_bfi_b32 v19, v9, 0, 0
	v_bfi_b32 v18, v8, 0, v2
	v_lshrrev_b64 v[8:9], v59, v[2:3]
	s_delay_alu instid0(VALU_DEP_2) | instskip(NEXT) | instid1(VALU_DEP_2)
	v_cmp_eq_u64_e64 s14, v[18:19], v[12:13]
	v_mov_b64_e32 v[12:13], v[8:9]
	s_and_saveexec_b32 s78, s14
; %bb.1089:                             ;   in Loop: Header=BB2_853 Depth=4
	v_bfe_u32 v2, v8, 20, 1
	s_delay_alu instid0(VALU_DEP_1) | instskip(NEXT) | instid1(VALU_DEP_1)
	v_add_nc_u64_e32 v[12:13], v[8:9], v[2:3]
	v_add_nc_u64_e32 v[12:13], -1, v[12:13]
; %bb.1090:                             ;   in Loop: Header=BB2_853 Depth=4
	s_or_b32 exec_lo, exec_lo, s78
	v_add_nc_u32_e32 v2, 0xffffff81, v57
	v_lshrrev_b32_e32 v9, 23, v8
	s_mov_b32 s14, exec_lo
	s_delay_alu instid0(VALU_DEP_2) | instskip(NEXT) | instid1(VALU_DEP_1)
	v_cndmask_b32_e64 v2, v2, 0xffffff82, s13
	v_add3_u32 v13, v59, v2, v9
	v_and_b32_e32 v2, 0xfffff, v12
                                        ; implicit-def: $vgpr12
	s_delay_alu instid0(VALU_DEP_1) | instskip(NEXT) | instid1(VALU_DEP_1)
	v_dual_add_nc_u32 v57, 6, v13 :: v_dual_add_nc_u32 v2, v2, v8
                                        ; implicit-def: $vgpr8_vgpr9
	v_cmpx_ne_u32_e32 0, v57
	s_xor_b32 s14, exec_lo, s14
; %bb.1091:                             ;   in Loop: Header=BB2_853 Depth=4
	s_delay_alu instid0(VALU_DEP_2) | instskip(SKIP_1) | instid1(VALU_DEP_1)
	v_cmp_lt_u64_e64 s13, 0xffffff, v[2:3]
	v_add_nc_u32_e32 v8, 7, v13
	v_cndmask_b32_e64 v12, v57, v8, s13
	v_cndmask_b32_e64 v8, 0, 1, s13
	s_delay_alu instid0(VALU_DEP_1)
	v_lshrrev_b64 v[8:9], v8, v[2:3]
; %bb.1092:                             ;   in Loop: Header=BB2_853 Depth=4
	s_and_not1_saveexec_b32 s13, s14
; %bb.1093:                             ;   in Loop: Header=BB2_853 Depth=4
	v_mov_b64_e32 v[8:9], v[2:3]
	v_bfe_u32 v12, v2, 23, 1
; %bb.1094:                             ;   in Loop: Header=BB2_853 Depth=4
	s_or_b32 exec_lo, exec_lo, s13
	s_delay_alu instid0(VALU_DEP_2) | instskip(NEXT) | instid1(VALU_DEP_2)
	v_lshrrev_b64 v[8:9], 20, v[8:9]
	v_cmp_gt_i32_e64 s13, 16, v12
	v_min_i32_e32 v2, 15, v12
	v_cmp_eq_u32_e64 s14, 0, v12
	s_delay_alu instid0(VALU_DEP_2) | instskip(SKIP_1) | instid1(VALU_DEP_2)
	v_dual_cndmask_b32 v9, 0, v9, s13 :: v_dual_lshlrev_b32 v2, 3, v2
	v_cndmask_b32_e64 v8, 7, v8, s13
	v_and_b32_e32 v2, 0xf8, v2
	s_delay_alu instid0(VALU_DEP_2) | instskip(NEXT) | instid1(VALU_DEP_2)
	v_cmp_eq_u64_e64 s13, 0, v[8:9]
	v_and_or_b32 v2, v8, 7, v2
	s_and_b32 s13, s14, s13
	s_delay_alu instid0(VALU_DEP_1) | instid1(SALU_CYCLE_1)
	v_cndmask_b32_e64 v2, v2, 0, s13
	s_delay_alu instid0(VALU_DEP_1)
	v_or_b32_e32 v59, v2, v56
.LBB2_1095:                             ;   in Loop: Header=BB2_853 Depth=4
	s_or_b32 exec_lo, exec_lo, s77
                                        ; implicit-def: $vgpr56
.LBB2_1096:                             ;   in Loop: Header=BB2_853 Depth=4
	s_and_not1_saveexec_b32 s13, s76
; %bb.1097:                             ;   in Loop: Header=BB2_853 Depth=4
	v_or_b32_e32 v59, 0x7e, v56
; %bb.1098:                             ;   in Loop: Header=BB2_853 Depth=4
	s_or_b32 exec_lo, exec_lo, s13
                                        ; implicit-def: $vgpr9
.LBB2_1099:                             ;   in Loop: Header=BB2_853 Depth=4
	s_and_not1_saveexec_b32 s13, s15
; %bb.1100:                             ;   in Loop: Header=BB2_853 Depth=4
	v_or_b32_e32 v59, 0x7f, v9
; %bb.1101:                             ;   in Loop: Header=BB2_853 Depth=4
	s_or_b32 exec_lo, exec_lo, s13
	v_and_b32_e32 v8, 0xff, v14
	v_mov_b32_e32 v2, 0
	s_mov_b32 s14, exec_lo
	s_delay_alu instid0(VALU_DEP_2)
	v_cmpx_ne_u16_e32 0, v8
	s_cbranch_execz .LBB2_1107
; %bb.1102:                             ;   in Loop: Header=BB2_853 Depth=4
	v_bfrev_b32_e32 v2, 1
	s_mov_b32 s15, exec_lo
	v_cmpx_ne_u16_e32 0x80, v8
	s_cbranch_execz .LBB2_1106
; %bb.1103:                             ;   in Loop: Header=BB2_853 Depth=4
	v_and_b32_e32 v8, 0x7f, v14
	v_mov_b32_e32 v2, 0x7f800001
	s_mov_b32 s76, exec_lo
	s_delay_alu instid0(VALU_DEP_2)
	v_cmpx_ne_u32_e32 0x7f, v8
	s_cbranch_execz .LBB2_1105
; %bb.1104:                             ;   in Loop: Header=BB2_853 Depth=4
	v_dual_lshrrev_b32 v9, 3, v8 :: v_dual_bitop2_b32 v2, 7, v14 bitop3:0x40
	v_cmp_gt_u32_e64 s13, 8, v8
	s_delay_alu instid0(VALU_DEP_2) | instskip(NEXT) | instid1(VALU_DEP_1)
	v_clz_i32_u32_e32 v2, v2
	v_min_u32_e32 v2, 32, v2
	s_delay_alu instid0(VALU_DEP_1) | instskip(NEXT) | instid1(VALU_DEP_1)
	v_subrev_nc_u32_e32 v12, 28, v2
	v_dual_sub_nc_u32 v2, 29, v2 :: v_dual_cndmask_b32 v8, 0, v12, s13
	s_delay_alu instid0(VALU_DEP_1) | instskip(NEXT) | instid1(VALU_DEP_2)
	v_cndmask_b32_e64 v2, v9, v2, s13
	v_lshlrev_b64_e32 v[8:9], v8, v[14:15]
	v_lshlrev_b32_e32 v9, 24, v14
	s_delay_alu instid0(VALU_DEP_1) | instskip(NEXT) | instid1(VALU_DEP_3)
	v_and_b32_e32 v9, 0x80000000, v9
	v_lshlrev_b32_e32 v8, 20, v8
	v_lshl_add_u32 v2, v2, 23, 0x3c000000
	s_delay_alu instid0(VALU_DEP_2) | instskip(NEXT) | instid1(VALU_DEP_1)
	v_and_b32_e32 v8, 0x700000, v8
	v_or3_b32 v2, v8, v9, v2
.LBB2_1105:                             ;   in Loop: Header=BB2_853 Depth=4
	s_or_b32 exec_lo, exec_lo, s76
.LBB2_1106:                             ;   in Loop: Header=BB2_853 Depth=4
	s_delay_alu instid0(SALU_CYCLE_1)
	s_or_b32 exec_lo, exec_lo, s15
.LBB2_1107:                             ;   in Loop: Header=BB2_853 Depth=4
	s_delay_alu instid0(SALU_CYCLE_1) | instskip(SKIP_3) | instid1(VALU_DEP_1)
	s_or_b32 exec_lo, exec_lo, s14
	v_and_b32_e32 v9, 0xff, v10
	s_mov_b32 s14, 0
	s_mov_b32 s15, exec_lo
	v_cmpx_lt_i16_e32 0x7f, v9
	s_xor_b32 s15, exec_lo, s15
	s_cbranch_execz .LBB2_1142
; %bb.1108:                             ;   in Loop: Header=BB2_853 Depth=4
	s_mov_b32 s14, -1
	s_mov_b32 s76, exec_lo
	v_cmpx_eq_u16_e32 0x80, v9
; %bb.1109:                             ;   in Loop: Header=BB2_853 Depth=4
	s_xor_b32 s14, exec_lo, -1
; %bb.1110:                             ;   in Loop: Header=BB2_853 Depth=4
	s_or_b32 exec_lo, exec_lo, s76
	s_delay_alu instid0(SALU_CYCLE_1)
	s_and_b32 s14, s14, exec_lo
                                        ; implicit-def: $vgpr9
	s_or_saveexec_b32 s15, s15
	v_bfrev_b32_e32 v8, 1
	s_xor_b32 exec_lo, exec_lo, s15
	s_cbranch_execnz .LBB2_1143
.LBB2_1111:                             ;   in Loop: Header=BB2_853 Depth=4
	s_or_b32 exec_lo, exec_lo, s15
	s_and_saveexec_b32 s15, s14
	s_cbranch_execz .LBB2_1113
.LBB2_1112:                             ;   in Loop: Header=BB2_853 Depth=4
	v_and_b32_e32 v8, 7, v10
	v_and_b32_e32 v12, 0x7f, v10
	v_bfe_u32 v9, v10, 3, 4
	s_delay_alu instid0(VALU_DEP_3) | instskip(NEXT) | instid1(VALU_DEP_3)
	v_clz_i32_u32_e32 v8, v8
	v_cmp_gt_u32_e64 s13, 8, v12
	s_delay_alu instid0(VALU_DEP_2) | instskip(NEXT) | instid1(VALU_DEP_1)
	v_min_u32_e32 v8, 32, v8
	v_subrev_nc_u32_e32 v13, 28, v8
	v_sub_nc_u32_e32 v8, 29, v8
	s_delay_alu instid0(VALU_DEP_1) | instskip(SKIP_1) | instid1(VALU_DEP_2)
	v_dual_cndmask_b32 v18, v9, v8, s13 :: v_dual_cndmask_b32 v8, 0, v13, s13
	v_cmp_ne_u32_e64 s13, 0x7f, v12
	v_lshl_add_u32 v13, v18, 23, 0x3c000000
	s_delay_alu instid0(VALU_DEP_3) | instskip(SKIP_1) | instid1(VALU_DEP_1)
	v_lshlrev_b64_e32 v[8:9], v8, v[10:11]
	v_lshlrev_b32_e32 v9, 24, v10
	v_and_b32_e32 v9, 0x80000000, v9
	s_delay_alu instid0(VALU_DEP_3) | instskip(NEXT) | instid1(VALU_DEP_1)
	v_lshlrev_b32_e32 v8, 20, v8
	v_and_b32_e32 v8, 0x700000, v8
	s_delay_alu instid0(VALU_DEP_1) | instskip(NEXT) | instid1(VALU_DEP_1)
	v_or3_b32 v8, v8, v9, v13
	v_cndmask_b32_e64 v8, 0x7f800001, v8, s13
.LBB2_1113:                             ;   in Loop: Header=BB2_853 Depth=4
	s_or_b32 exec_lo, exec_lo, s15
	s_delay_alu instid0(VALU_DEP_1) | instskip(SKIP_1) | instid1(VALU_DEP_1)
	v_add_f32_e32 v8, v2, v8
                                        ; implicit-def: $vgpr105
	s_mov_b32 s14, exec_lo
	v_and_b32_e32 v2, 0x7f800000, v8
	v_lshrrev_b32_e32 v9, 24, v8
	s_delay_alu instid0(VALU_DEP_2)
	v_cmpx_ne_u64_e32 0x7f800000, v[2:3]
	s_xor_b32 s15, exec_lo, s14
	s_cbranch_execz .LBB2_1127
; %bb.1114:                             ;   in Loop: Header=BB2_853 Depth=4
	v_and_b32_e32 v2, 0x7fffffff, v8
	v_and_b32_e32 v56, 0x80, v9
                                        ; implicit-def: $vgpr105
	s_mov_b32 s14, exec_lo
	s_delay_alu instid0(VALU_DEP_2)
	v_cmpx_gt_u64_e32 0x43e00001, v[2:3]
	s_xor_b32 s76, exec_lo, s14
	s_cbranch_execz .LBB2_1124
; %bb.1115:                             ;   in Loop: Header=BB2_853 Depth=4
	v_mov_b32_e32 v105, 0
	s_mov_b32 s77, exec_lo
	v_cmpx_ne_u32_e32 0, v8
	s_cbranch_execz .LBB2_1123
; %bb.1116:                             ;   in Loop: Header=BB2_853 Depth=4
	v_bfe_u32 v57, v8, 23, 8
	s_delay_alu instid0(VALU_DEP_1) | instskip(SKIP_1) | instid1(VALU_DEP_1)
	v_sub_nc_u32_e32 v2, 0x79, v57
	v_cmp_gt_u32_e64 s13, 0x7a, v57
	v_cndmask_b32_e64 v2, 0, v2, s13
	v_cmp_eq_u32_e64 s13, 0, v57
	s_delay_alu instid0(VALU_DEP_1) | instskip(SKIP_1) | instid1(VALU_DEP_2)
	v_cndmask_b32_e64 v105, v2, 0x78, s13
	v_and_b32_e32 v2, 0x7fffff, v8
	v_add_nc_u32_e32 v8, 20, v105
	s_delay_alu instid0(VALU_DEP_2) | instskip(SKIP_1) | instid1(VALU_DEP_3)
	v_or_b32_e32 v12, 0x800000, v2
	v_add_nc_u32_e32 v13, 19, v105
	v_lshlrev_b64_e64 v[8:9], v8, -1
	s_delay_alu instid0(VALU_DEP_3) | instskip(NEXT) | instid1(VALU_DEP_3)
	v_cndmask_b32_e64 v2, v12, v2, s13
	v_lshlrev_b64_e64 v[12:13], v13, 1
	s_delay_alu instid0(VALU_DEP_3) | instskip(NEXT) | instid1(VALU_DEP_3)
	v_bfi_b32 v19, v9, 0, 0
	v_bfi_b32 v18, v8, 0, v2
	v_lshrrev_b64 v[8:9], v105, v[2:3]
	s_delay_alu instid0(VALU_DEP_2) | instskip(NEXT) | instid1(VALU_DEP_2)
	v_cmp_eq_u64_e64 s14, v[18:19], v[12:13]
	v_mov_b64_e32 v[12:13], v[8:9]
	s_and_saveexec_b32 s78, s14
; %bb.1117:                             ;   in Loop: Header=BB2_853 Depth=4
	v_bfe_u32 v2, v8, 20, 1
	s_delay_alu instid0(VALU_DEP_1) | instskip(NEXT) | instid1(VALU_DEP_1)
	v_add_nc_u64_e32 v[12:13], v[8:9], v[2:3]
	v_add_nc_u64_e32 v[12:13], -1, v[12:13]
; %bb.1118:                             ;   in Loop: Header=BB2_853 Depth=4
	s_or_b32 exec_lo, exec_lo, s78
	v_add_nc_u32_e32 v2, 0xffffff81, v57
	v_lshrrev_b32_e32 v9, 23, v8
	s_mov_b32 s14, exec_lo
	s_delay_alu instid0(VALU_DEP_2) | instskip(NEXT) | instid1(VALU_DEP_1)
	v_cndmask_b32_e64 v2, v2, 0xffffff82, s13
	v_add3_u32 v13, v105, v2, v9
	v_and_b32_e32 v2, 0xfffff, v12
                                        ; implicit-def: $vgpr12
	s_delay_alu instid0(VALU_DEP_1) | instskip(NEXT) | instid1(VALU_DEP_1)
	v_dual_add_nc_u32 v57, 6, v13 :: v_dual_add_nc_u32 v2, v2, v8
                                        ; implicit-def: $vgpr8_vgpr9
	v_cmpx_ne_u32_e32 0, v57
	s_xor_b32 s14, exec_lo, s14
; %bb.1119:                             ;   in Loop: Header=BB2_853 Depth=4
	s_delay_alu instid0(VALU_DEP_2) | instskip(SKIP_1) | instid1(VALU_DEP_1)
	v_cmp_lt_u64_e64 s13, 0xffffff, v[2:3]
	v_add_nc_u32_e32 v8, 7, v13
	v_cndmask_b32_e64 v12, v57, v8, s13
	v_cndmask_b32_e64 v8, 0, 1, s13
	s_delay_alu instid0(VALU_DEP_1)
	v_lshrrev_b64 v[8:9], v8, v[2:3]
; %bb.1120:                             ;   in Loop: Header=BB2_853 Depth=4
	s_and_not1_saveexec_b32 s13, s14
; %bb.1121:                             ;   in Loop: Header=BB2_853 Depth=4
	v_mov_b64_e32 v[8:9], v[2:3]
	v_bfe_u32 v12, v2, 23, 1
; %bb.1122:                             ;   in Loop: Header=BB2_853 Depth=4
	s_or_b32 exec_lo, exec_lo, s13
	s_delay_alu instid0(VALU_DEP_2) | instskip(NEXT) | instid1(VALU_DEP_2)
	v_lshrrev_b64 v[8:9], 20, v[8:9]
	v_cmp_gt_i32_e64 s13, 16, v12
	v_min_i32_e32 v2, 15, v12
	v_cmp_eq_u32_e64 s14, 0, v12
	s_delay_alu instid0(VALU_DEP_2) | instskip(SKIP_1) | instid1(VALU_DEP_2)
	v_dual_cndmask_b32 v9, 0, v9, s13 :: v_dual_lshlrev_b32 v2, 3, v2
	v_cndmask_b32_e64 v8, 7, v8, s13
	v_and_b32_e32 v2, 0xf8, v2
	s_delay_alu instid0(VALU_DEP_2) | instskip(NEXT) | instid1(VALU_DEP_2)
	v_cmp_eq_u64_e64 s13, 0, v[8:9]
	v_and_or_b32 v2, v8, 7, v2
	s_and_b32 s13, s14, s13
	s_delay_alu instid0(VALU_DEP_1) | instid1(SALU_CYCLE_1)
	v_cndmask_b32_e64 v2, v2, 0, s13
	s_delay_alu instid0(VALU_DEP_1)
	v_or_b32_e32 v105, v2, v56
.LBB2_1123:                             ;   in Loop: Header=BB2_853 Depth=4
	s_or_b32 exec_lo, exec_lo, s77
                                        ; implicit-def: $vgpr56
.LBB2_1124:                             ;   in Loop: Header=BB2_853 Depth=4
	s_and_not1_saveexec_b32 s13, s76
; %bb.1125:                             ;   in Loop: Header=BB2_853 Depth=4
	v_or_b32_e32 v105, 0x7e, v56
; %bb.1126:                             ;   in Loop: Header=BB2_853 Depth=4
	s_or_b32 exec_lo, exec_lo, s13
                                        ; implicit-def: $vgpr9
.LBB2_1127:                             ;   in Loop: Header=BB2_853 Depth=4
	s_and_not1_saveexec_b32 s13, s15
; %bb.1128:                             ;   in Loop: Header=BB2_853 Depth=4
	v_or_b32_e32 v105, 0x7f, v9
; %bb.1129:                             ;   in Loop: Header=BB2_853 Depth=4
	s_or_b32 exec_lo, exec_lo, s13
	v_lshrrev_b16 v2, 8, v14
	v_mov_b32_e32 v8, 0
	s_mov_b32 s14, exec_lo
	s_delay_alu instid0(VALU_DEP_2)
	v_cmpx_ne_u16_e32 0, v2
	s_cbranch_execz .LBB2_1137
; %bb.1130:                             ;   in Loop: Header=BB2_853 Depth=4
	v_bfrev_b32_e32 v8, 1
	s_mov_b32 s15, exec_lo
	v_cmpx_ne_u16_e32 0x80, v2
	s_cbranch_execz .LBB2_1136
; %bb.1131:                             ;   in Loop: Header=BB2_853 Depth=4
	v_and_b32_e32 v2, 0xffff, v2
	v_mov_b32_e32 v8, 0x7f800001
	s_mov_b32 s76, exec_lo
	s_delay_alu instid0(VALU_DEP_2) | instskip(NEXT) | instid1(VALU_DEP_1)
	v_and_b32_e32 v9, 0x7f, v2
	v_cmpx_ne_u32_e32 0x7f, v9
	s_cbranch_execz .LBB2_1135
; %bb.1132:                             ;   in Loop: Header=BB2_853 Depth=4
	v_dual_lshrrev_b32 v8, 3, v9 :: v_dual_bitop2_b32 v2, 7, v2 bitop3:0x40
	s_mov_b32 s77, exec_lo
	v_cmpx_gt_u32_e32 8, v9
; %bb.1133:                             ;   in Loop: Header=BB2_853 Depth=4
	s_delay_alu instid0(VALU_DEP_2) | instskip(NEXT) | instid1(VALU_DEP_1)
	v_clz_i32_u32_e32 v8, v2
	v_min_u32_e32 v8, 32, v8
	s_delay_alu instid0(VALU_DEP_1) | instskip(SKIP_1) | instid1(VALU_DEP_2)
	v_subrev_nc_u32_e32 v9, 28, v8
	v_sub_nc_u32_e32 v8, 29, v8
	v_lshlrev_b64_e32 v[12:13], v9, v[2:3]
	s_delay_alu instid0(VALU_DEP_1)
	v_and_b32_e32 v2, 7, v12
; %bb.1134:                             ;   in Loop: Header=BB2_853 Depth=4
	s_or_b32 exec_lo, exec_lo, s77
	v_lshlrev_b32_e32 v9, 16, v14
	s_delay_alu instid0(VALU_DEP_2) | instskip(SKIP_1) | instid1(VALU_DEP_3)
	v_lshlrev_b32_e32 v2, 20, v2
	v_lshl_add_u32 v8, v8, 23, 0x3c000000
	v_and_b32_e32 v9, 0x80000000, v9
	s_delay_alu instid0(VALU_DEP_1)
	v_or3_b32 v8, v2, v9, v8
.LBB2_1135:                             ;   in Loop: Header=BB2_853 Depth=4
	s_or_b32 exec_lo, exec_lo, s76
.LBB2_1136:                             ;   in Loop: Header=BB2_853 Depth=4
	s_delay_alu instid0(SALU_CYCLE_1)
	s_or_b32 exec_lo, exec_lo, s15
.LBB2_1137:                             ;   in Loop: Header=BB2_853 Depth=4
	s_delay_alu instid0(SALU_CYCLE_1) | instskip(SKIP_3) | instid1(VALU_DEP_1)
	s_or_b32 exec_lo, exec_lo, s14
	v_lshrrev_b16 v9, 8, v10
	s_mov_b32 s15, 0
	s_mov_b32 s14, exec_lo
	v_cmpx_lt_i16_e32 0x7f, v9
	s_xor_b32 s14, exec_lo, s14
	s_cbranch_execz .LBB2_1144
; %bb.1138:                             ;   in Loop: Header=BB2_853 Depth=4
	s_mov_b32 s15, -1
	s_mov_b32 s76, exec_lo
	v_cmpx_eq_u16_e32 0x80, v9
; %bb.1139:                             ;   in Loop: Header=BB2_853 Depth=4
	s_xor_b32 s15, exec_lo, -1
; %bb.1140:                             ;   in Loop: Header=BB2_853 Depth=4
	s_or_b32 exec_lo, exec_lo, s76
	s_delay_alu instid0(SALU_CYCLE_1)
	s_and_b32 s15, s15, exec_lo
	s_or_saveexec_b32 s14, s14
	v_bfrev_b32_e32 v12, 1
	s_xor_b32 exec_lo, exec_lo, s14
	s_cbranch_execnz .LBB2_1145
.LBB2_1141:                             ;   in Loop: Header=BB2_853 Depth=4
	s_or_b32 exec_lo, exec_lo, s14
	s_and_saveexec_b32 s14, s15
	s_cbranch_execnz .LBB2_1146
	s_branch .LBB2_1149
.LBB2_1142:                             ;   in Loop: Header=BB2_853 Depth=4
	s_or_saveexec_b32 s15, s15
	v_bfrev_b32_e32 v8, 1
	s_xor_b32 exec_lo, exec_lo, s15
	s_cbranch_execz .LBB2_1111
.LBB2_1143:                             ;   in Loop: Header=BB2_853 Depth=4
	v_cmp_ne_u16_e64 s13, 0, v9
	v_mov_b32_e32 v8, 0
	s_and_not1_b32 s14, s14, exec_lo
	s_and_b32 s13, s13, exec_lo
	s_delay_alu instid0(SALU_CYCLE_1)
	s_or_b32 s14, s14, s13
	s_or_b32 exec_lo, exec_lo, s15
	s_and_saveexec_b32 s15, s14
	s_cbranch_execnz .LBB2_1112
	s_branch .LBB2_1113
.LBB2_1144:                             ;   in Loop: Header=BB2_853 Depth=4
	s_or_saveexec_b32 s14, s14
	v_bfrev_b32_e32 v12, 1
	s_xor_b32 exec_lo, exec_lo, s14
	s_cbranch_execz .LBB2_1141
.LBB2_1145:                             ;   in Loop: Header=BB2_853 Depth=4
	v_cmp_ne_u16_e64 s13, 0, v9
	v_mov_b32_e32 v12, 0
	s_and_not1_b32 s15, s15, exec_lo
	s_and_b32 s13, s13, exec_lo
	s_delay_alu instid0(SALU_CYCLE_1)
	s_or_b32 s15, s15, s13
	s_or_b32 exec_lo, exec_lo, s14
	s_and_saveexec_b32 s14, s15
	s_cbranch_execz .LBB2_1149
.LBB2_1146:                             ;   in Loop: Header=BB2_853 Depth=4
	v_and_b32_e32 v2, 0xffff, v9
	v_mov_b32_e32 v12, 0x7f800001
	s_mov_b32 s15, exec_lo
	s_delay_alu instid0(VALU_DEP_2) | instskip(NEXT) | instid1(VALU_DEP_1)
	v_and_b32_e32 v13, 0x7f, v2
	v_cmpx_ne_u32_e32 0x7f, v13
	s_cbranch_execz .LBB2_1148
; %bb.1147:                             ;   in Loop: Header=BB2_853 Depth=4
	v_and_b32_e32 v12, 7, v2
	v_cmp_gt_u32_e64 s13, 8, v13
	s_delay_alu instid0(VALU_DEP_2) | instskip(NEXT) | instid1(VALU_DEP_1)
	v_clz_i32_u32_e32 v18, v12
	v_min_u32_e32 v56, 32, v18
	s_delay_alu instid0(VALU_DEP_1) | instskip(NEXT) | instid1(VALU_DEP_1)
	v_subrev_nc_u32_e32 v18, 28, v56
	v_lshlrev_b64_e32 v[18:19], v18, v[2:3]
	v_dual_lshrrev_b32 v2, 3, v13 :: v_dual_sub_nc_u32 v19, 29, v56
	s_delay_alu instid0(VALU_DEP_2) | instskip(NEXT) | instid1(VALU_DEP_1)
	v_dual_lshlrev_b32 v9, 24, v9 :: v_dual_bitop2_b32 v13, 7, v18 bitop3:0x40
	v_dual_cndmask_b32 v2, v2, v19, s13 :: v_dual_cndmask_b32 v12, v12, v13, s13
	s_delay_alu instid0(VALU_DEP_2) | instskip(NEXT) | instid1(VALU_DEP_2)
	v_and_b32_e32 v9, 0x80000000, v9
	v_lshl_add_u32 v2, v2, 23, 0x3c000000
	s_delay_alu instid0(VALU_DEP_3) | instskip(NEXT) | instid1(VALU_DEP_1)
	v_lshlrev_b32_e32 v12, 20, v12
	v_or3_b32 v12, v12, v9, v2
.LBB2_1148:                             ;   in Loop: Header=BB2_853 Depth=4
	s_or_b32 exec_lo, exec_lo, s15
.LBB2_1149:                             ;   in Loop: Header=BB2_853 Depth=4
	s_delay_alu instid0(SALU_CYCLE_1) | instskip(NEXT) | instid1(VALU_DEP_1)
	s_or_b32 exec_lo, exec_lo, s14
	v_add_f32_e32 v8, v8, v12
                                        ; implicit-def: $vgpr106
	s_mov_b32 s14, exec_lo
	s_delay_alu instid0(VALU_DEP_1) | instskip(SKIP_1) | instid1(VALU_DEP_2)
	v_and_b32_e32 v2, 0x7f800000, v8
	v_lshrrev_b32_e32 v9, 24, v8
	v_cmpx_ne_u64_e32 0x7f800000, v[2:3]
	s_xor_b32 s15, exec_lo, s14
	s_cbranch_execz .LBB2_1163
; %bb.1150:                             ;   in Loop: Header=BB2_853 Depth=4
	v_and_b32_e32 v2, 0x7fffffff, v8
	v_and_b32_e32 v56, 0x80, v9
                                        ; implicit-def: $vgpr106
	s_mov_b32 s14, exec_lo
	s_delay_alu instid0(VALU_DEP_2)
	v_cmpx_gt_u64_e32 0x43e00001, v[2:3]
	s_xor_b32 s76, exec_lo, s14
	s_cbranch_execz .LBB2_1160
; %bb.1151:                             ;   in Loop: Header=BB2_853 Depth=4
	v_mov_b32_e32 v106, 0
	s_mov_b32 s77, exec_lo
	v_cmpx_ne_u32_e32 0, v8
	s_cbranch_execz .LBB2_1159
; %bb.1152:                             ;   in Loop: Header=BB2_853 Depth=4
	v_bfe_u32 v57, v8, 23, 8
	s_delay_alu instid0(VALU_DEP_1) | instskip(SKIP_1) | instid1(VALU_DEP_1)
	v_sub_nc_u32_e32 v2, 0x79, v57
	v_cmp_gt_u32_e64 s13, 0x7a, v57
	v_cndmask_b32_e64 v2, 0, v2, s13
	v_cmp_eq_u32_e64 s13, 0, v57
	s_delay_alu instid0(VALU_DEP_1) | instskip(SKIP_1) | instid1(VALU_DEP_2)
	v_cndmask_b32_e64 v106, v2, 0x78, s13
	v_and_b32_e32 v2, 0x7fffff, v8
	v_dual_add_nc_u32 v8, 20, v106 :: v_dual_add_nc_u32 v13, 19, v106
	s_delay_alu instid0(VALU_DEP_2) | instskip(NEXT) | instid1(VALU_DEP_2)
	v_or_b32_e32 v12, 0x800000, v2
	v_lshlrev_b64_e64 v[8:9], v8, -1
	s_delay_alu instid0(VALU_DEP_2) | instskip(NEXT) | instid1(VALU_DEP_4)
	v_cndmask_b32_e64 v2, v12, v2, s13
	v_lshlrev_b64_e64 v[12:13], v13, 1
	s_delay_alu instid0(VALU_DEP_3) | instskip(NEXT) | instid1(VALU_DEP_3)
	v_bfi_b32 v19, v9, 0, 0
	v_bfi_b32 v18, v8, 0, v2
	v_lshrrev_b64 v[8:9], v106, v[2:3]
	s_delay_alu instid0(VALU_DEP_2) | instskip(NEXT) | instid1(VALU_DEP_2)
	v_cmp_eq_u64_e64 s14, v[18:19], v[12:13]
	v_mov_b64_e32 v[12:13], v[8:9]
	s_and_saveexec_b32 s78, s14
; %bb.1153:                             ;   in Loop: Header=BB2_853 Depth=4
	v_bfe_u32 v2, v8, 20, 1
	s_delay_alu instid0(VALU_DEP_1) | instskip(NEXT) | instid1(VALU_DEP_1)
	v_add_nc_u64_e32 v[12:13], v[8:9], v[2:3]
	v_add_nc_u64_e32 v[12:13], -1, v[12:13]
; %bb.1154:                             ;   in Loop: Header=BB2_853 Depth=4
	s_or_b32 exec_lo, exec_lo, s78
	v_add_nc_u32_e32 v2, 0xffffff81, v57
	v_lshrrev_b32_e32 v9, 23, v8
	s_mov_b32 s14, exec_lo
	s_delay_alu instid0(VALU_DEP_2) | instskip(NEXT) | instid1(VALU_DEP_1)
	v_cndmask_b32_e64 v2, v2, 0xffffff82, s13
	v_add3_u32 v13, v106, v2, v9
	v_and_b32_e32 v2, 0xfffff, v12
                                        ; implicit-def: $vgpr12
	s_delay_alu instid0(VALU_DEP_1) | instskip(NEXT) | instid1(VALU_DEP_1)
	v_dual_add_nc_u32 v57, 6, v13 :: v_dual_add_nc_u32 v2, v2, v8
                                        ; implicit-def: $vgpr8_vgpr9
	v_cmpx_ne_u32_e32 0, v57
	s_xor_b32 s14, exec_lo, s14
; %bb.1155:                             ;   in Loop: Header=BB2_853 Depth=4
	s_delay_alu instid0(VALU_DEP_2) | instskip(SKIP_1) | instid1(VALU_DEP_1)
	v_cmp_lt_u64_e64 s13, 0xffffff, v[2:3]
	v_add_nc_u32_e32 v8, 7, v13
	v_cndmask_b32_e64 v12, v57, v8, s13
	v_cndmask_b32_e64 v8, 0, 1, s13
	s_delay_alu instid0(VALU_DEP_1)
	v_lshrrev_b64 v[8:9], v8, v[2:3]
; %bb.1156:                             ;   in Loop: Header=BB2_853 Depth=4
	s_and_not1_saveexec_b32 s13, s14
; %bb.1157:                             ;   in Loop: Header=BB2_853 Depth=4
	v_mov_b64_e32 v[8:9], v[2:3]
	v_bfe_u32 v12, v2, 23, 1
; %bb.1158:                             ;   in Loop: Header=BB2_853 Depth=4
	s_or_b32 exec_lo, exec_lo, s13
	s_delay_alu instid0(VALU_DEP_2) | instskip(NEXT) | instid1(VALU_DEP_2)
	v_lshrrev_b64 v[8:9], 20, v[8:9]
	v_cmp_gt_i32_e64 s13, 16, v12
	v_min_i32_e32 v2, 15, v12
	v_cmp_eq_u32_e64 s14, 0, v12
	s_delay_alu instid0(VALU_DEP_2) | instskip(SKIP_1) | instid1(VALU_DEP_2)
	v_dual_cndmask_b32 v9, 0, v9, s13 :: v_dual_lshlrev_b32 v2, 3, v2
	v_cndmask_b32_e64 v8, 7, v8, s13
	v_and_b32_e32 v2, 0xf8, v2
	s_delay_alu instid0(VALU_DEP_2) | instskip(NEXT) | instid1(VALU_DEP_2)
	v_cmp_eq_u64_e64 s13, 0, v[8:9]
	v_and_or_b32 v2, v8, 7, v2
	s_and_b32 s13, s14, s13
	s_delay_alu instid0(VALU_DEP_1) | instid1(SALU_CYCLE_1)
	v_cndmask_b32_e64 v2, v2, 0, s13
	s_delay_alu instid0(VALU_DEP_1)
	v_or_b32_e32 v106, v2, v56
.LBB2_1159:                             ;   in Loop: Header=BB2_853 Depth=4
	s_or_b32 exec_lo, exec_lo, s77
                                        ; implicit-def: $vgpr56
.LBB2_1160:                             ;   in Loop: Header=BB2_853 Depth=4
	s_and_not1_saveexec_b32 s13, s76
; %bb.1161:                             ;   in Loop: Header=BB2_853 Depth=4
	v_or_b32_e32 v106, 0x7e, v56
; %bb.1162:                             ;   in Loop: Header=BB2_853 Depth=4
	s_or_b32 exec_lo, exec_lo, s13
                                        ; implicit-def: $vgpr9
.LBB2_1163:                             ;   in Loop: Header=BB2_853 Depth=4
	s_and_not1_saveexec_b32 s13, s15
; %bb.1164:                             ;   in Loop: Header=BB2_853 Depth=4
	v_or_b32_e32 v106, 0x7f, v9
; %bb.1165:                             ;   in Loop: Header=BB2_853 Depth=4
	s_or_b32 exec_lo, exec_lo, s13
	v_dual_mov_b32 v8, 0 :: v_dual_lshrrev_b32 v9, 16, v14
	s_mov_b32 s14, exec_lo
	s_delay_alu instid0(VALU_DEP_1) | instskip(NEXT) | instid1(VALU_DEP_1)
	v_and_b32_e32 v2, 0xff, v9
	v_cmpx_ne_u16_e32 0, v2
	s_cbranch_execz .LBB2_1173
; %bb.1166:                             ;   in Loop: Header=BB2_853 Depth=4
	v_bfrev_b32_e32 v8, 1
	s_mov_b32 s15, exec_lo
	v_cmpx_ne_u16_e32 0x80, v2
	s_cbranch_execz .LBB2_1172
; %bb.1167:                             ;   in Loop: Header=BB2_853 Depth=4
	v_bfe_u32 v12, v14, 16, 7
	v_mov_b32_e32 v8, 0x7f800001
	s_mov_b32 s76, exec_lo
	s_delay_alu instid0(VALU_DEP_2)
	v_cmpx_ne_u32_e32 0x7f, v12
	s_cbranch_execz .LBB2_1171
; %bb.1168:                             ;   in Loop: Header=BB2_853 Depth=4
	v_dual_lshrrev_b32 v8, 3, v12 :: v_dual_bitop2_b32 v2, 7, v9 bitop3:0x40
	s_mov_b32 s77, exec_lo
	v_cmpx_gt_u32_e32 8, v12
; %bb.1169:                             ;   in Loop: Header=BB2_853 Depth=4
	s_delay_alu instid0(VALU_DEP_2) | instskip(NEXT) | instid1(VALU_DEP_1)
	v_clz_i32_u32_e32 v8, v2
	v_min_u32_e32 v8, 32, v8
	s_delay_alu instid0(VALU_DEP_1) | instskip(SKIP_1) | instid1(VALU_DEP_2)
	v_subrev_nc_u32_e32 v12, 28, v8
	v_sub_nc_u32_e32 v8, 29, v8
	v_lshlrev_b64_e32 v[12:13], v12, v[2:3]
	s_delay_alu instid0(VALU_DEP_1)
	v_and_b32_e32 v2, 7, v12
; %bb.1170:                             ;   in Loop: Header=BB2_853 Depth=4
	s_or_b32 exec_lo, exec_lo, s77
	s_delay_alu instid0(VALU_DEP_1) | instskip(SKIP_1) | instid1(VALU_DEP_2)
	v_dual_lshlrev_b32 v9, 24, v9 :: v_dual_lshlrev_b32 v2, 20, v2
	v_lshl_add_u32 v8, v8, 23, 0x3c000000
	v_and_b32_e32 v9, 0x80000000, v9
	s_delay_alu instid0(VALU_DEP_1)
	v_or3_b32 v8, v2, v9, v8
.LBB2_1171:                             ;   in Loop: Header=BB2_853 Depth=4
	s_or_b32 exec_lo, exec_lo, s76
.LBB2_1172:                             ;   in Loop: Header=BB2_853 Depth=4
	s_delay_alu instid0(SALU_CYCLE_1)
	s_or_b32 exec_lo, exec_lo, s15
.LBB2_1173:                             ;   in Loop: Header=BB2_853 Depth=4
	s_delay_alu instid0(SALU_CYCLE_1) | instskip(SKIP_3) | instid1(VALU_DEP_1)
	s_or_b32 exec_lo, exec_lo, s14
	v_lshrrev_b32_e32 v2, 16, v10
	s_mov_b32 s15, 0
	s_mov_b32 s14, exec_lo
	v_and_b32_e32 v12, 0xff, v2
	s_delay_alu instid0(VALU_DEP_1)
	v_cmpx_lt_i16_e32 0x7f, v12
	s_xor_b32 s14, exec_lo, s14
	s_cbranch_execz .LBB2_1178
; %bb.1174:                             ;   in Loop: Header=BB2_853 Depth=4
	s_mov_b32 s15, -1
	s_mov_b32 s76, exec_lo
	v_cmpx_eq_u16_e32 0x80, v12
; %bb.1175:                             ;   in Loop: Header=BB2_853 Depth=4
	s_xor_b32 s15, exec_lo, -1
; %bb.1176:                             ;   in Loop: Header=BB2_853 Depth=4
	s_or_b32 exec_lo, exec_lo, s76
	s_delay_alu instid0(SALU_CYCLE_1)
	s_and_b32 s15, s15, exec_lo
                                        ; implicit-def: $vgpr12
	s_or_saveexec_b32 s14, s14
	v_bfrev_b32_e32 v9, 1
	s_xor_b32 exec_lo, exec_lo, s14
	s_cbranch_execnz .LBB2_1179
.LBB2_1177:                             ;   in Loop: Header=BB2_853 Depth=4
	s_or_b32 exec_lo, exec_lo, s14
	s_and_saveexec_b32 s14, s15
	s_cbranch_execnz .LBB2_1180
	s_branch .LBB2_1183
.LBB2_1178:                             ;   in Loop: Header=BB2_853 Depth=4
	s_or_saveexec_b32 s14, s14
	v_bfrev_b32_e32 v9, 1
	s_xor_b32 exec_lo, exec_lo, s14
	s_cbranch_execz .LBB2_1177
.LBB2_1179:                             ;   in Loop: Header=BB2_853 Depth=4
	v_cmp_ne_u16_e64 s13, 0, v12
	v_mov_b32_e32 v9, 0
	s_and_not1_b32 s15, s15, exec_lo
	s_and_b32 s13, s13, exec_lo
	s_delay_alu instid0(SALU_CYCLE_1)
	s_or_b32 s15, s15, s13
	s_or_b32 exec_lo, exec_lo, s14
	s_and_saveexec_b32 s14, s15
	s_cbranch_execz .LBB2_1183
.LBB2_1180:                             ;   in Loop: Header=BB2_853 Depth=4
	v_and_b32_e32 v12, 0x7f, v2
	v_mov_b32_e32 v9, 0x7f800001
	s_mov_b32 s15, exec_lo
	s_delay_alu instid0(VALU_DEP_2)
	v_cmpx_ne_u32_e32 0x7f, v12
	s_cbranch_execz .LBB2_1182
; %bb.1181:                             ;   in Loop: Header=BB2_853 Depth=4
	v_and_b32_e32 v9, 7, v2
	v_cmp_gt_u32_e64 s13, 8, v12
	s_delay_alu instid0(VALU_DEP_2) | instskip(NEXT) | instid1(VALU_DEP_1)
	v_clz_i32_u32_e32 v13, v9
	v_min_u32_e32 v13, 32, v13
	s_delay_alu instid0(VALU_DEP_1) | instskip(NEXT) | instid1(VALU_DEP_1)
	v_subrev_nc_u32_e32 v18, 28, v13
	v_lshlrev_b64_e32 v[18:19], v18, v[2:3]
	v_dual_lshrrev_b32 v19, 3, v12 :: v_dual_sub_nc_u32 v13, 29, v13
	s_delay_alu instid0(VALU_DEP_2) | instskip(NEXT) | instid1(VALU_DEP_2)
	v_and_b32_e32 v12, 7, v18
	v_dual_lshlrev_b32 v2, 24, v2 :: v_dual_cndmask_b32 v13, v19, v13, s13
	s_delay_alu instid0(VALU_DEP_2) | instskip(NEXT) | instid1(VALU_DEP_2)
	v_cndmask_b32_e64 v9, v9, v12, s13
	v_and_b32_e32 v2, 0x80000000, v2
	s_delay_alu instid0(VALU_DEP_3) | instskip(NEXT) | instid1(VALU_DEP_3)
	v_lshl_add_u32 v12, v13, 23, 0x3c000000
	v_lshlrev_b32_e32 v9, 20, v9
	s_delay_alu instid0(VALU_DEP_1)
	v_or3_b32 v9, v9, v2, v12
.LBB2_1182:                             ;   in Loop: Header=BB2_853 Depth=4
	s_or_b32 exec_lo, exec_lo, s15
.LBB2_1183:                             ;   in Loop: Header=BB2_853 Depth=4
	s_delay_alu instid0(SALU_CYCLE_1) | instskip(NEXT) | instid1(VALU_DEP_1)
	s_or_b32 exec_lo, exec_lo, s14
	v_add_f32_e32 v8, v8, v9
                                        ; implicit-def: $vgpr107
	s_mov_b32 s14, exec_lo
	s_delay_alu instid0(VALU_DEP_1) | instskip(SKIP_1) | instid1(VALU_DEP_2)
	v_and_b32_e32 v2, 0x7f800000, v8
	v_lshrrev_b32_e32 v9, 24, v8
	v_cmpx_ne_u64_e32 0x7f800000, v[2:3]
	s_xor_b32 s15, exec_lo, s14
	s_cbranch_execz .LBB2_1197
; %bb.1184:                             ;   in Loop: Header=BB2_853 Depth=4
	v_and_b32_e32 v2, 0x7fffffff, v8
	v_and_b32_e32 v56, 0x80, v9
                                        ; implicit-def: $vgpr107
	s_mov_b32 s14, exec_lo
	s_delay_alu instid0(VALU_DEP_2)
	v_cmpx_gt_u64_e32 0x43e00001, v[2:3]
	s_xor_b32 s76, exec_lo, s14
	s_cbranch_execz .LBB2_1194
; %bb.1185:                             ;   in Loop: Header=BB2_853 Depth=4
	v_mov_b32_e32 v107, 0
	s_mov_b32 s77, exec_lo
	v_cmpx_ne_u32_e32 0, v8
	s_cbranch_execz .LBB2_1193
; %bb.1186:                             ;   in Loop: Header=BB2_853 Depth=4
	v_bfe_u32 v57, v8, 23, 8
	s_delay_alu instid0(VALU_DEP_1) | instskip(SKIP_1) | instid1(VALU_DEP_1)
	v_sub_nc_u32_e32 v2, 0x79, v57
	v_cmp_gt_u32_e64 s13, 0x7a, v57
	v_cndmask_b32_e64 v2, 0, v2, s13
	v_cmp_eq_u32_e64 s13, 0, v57
	s_delay_alu instid0(VALU_DEP_1) | instskip(SKIP_1) | instid1(VALU_DEP_2)
	v_cndmask_b32_e64 v107, v2, 0x78, s13
	v_and_b32_e32 v2, 0x7fffff, v8
	v_add_nc_u32_e32 v8, 20, v107
	s_delay_alu instid0(VALU_DEP_2) | instskip(SKIP_1) | instid1(VALU_DEP_3)
	v_or_b32_e32 v12, 0x800000, v2
	v_add_nc_u32_e32 v13, 19, v107
	v_lshlrev_b64_e64 v[8:9], v8, -1
	s_delay_alu instid0(VALU_DEP_3) | instskip(NEXT) | instid1(VALU_DEP_3)
	v_cndmask_b32_e64 v2, v12, v2, s13
	v_lshlrev_b64_e64 v[12:13], v13, 1
	s_delay_alu instid0(VALU_DEP_3) | instskip(NEXT) | instid1(VALU_DEP_3)
	v_bfi_b32 v19, v9, 0, 0
	v_bfi_b32 v18, v8, 0, v2
	v_lshrrev_b64 v[8:9], v107, v[2:3]
	s_delay_alu instid0(VALU_DEP_2) | instskip(NEXT) | instid1(VALU_DEP_2)
	v_cmp_eq_u64_e64 s14, v[18:19], v[12:13]
	v_mov_b64_e32 v[12:13], v[8:9]
	s_and_saveexec_b32 s78, s14
; %bb.1187:                             ;   in Loop: Header=BB2_853 Depth=4
	v_bfe_u32 v2, v8, 20, 1
	s_delay_alu instid0(VALU_DEP_1) | instskip(NEXT) | instid1(VALU_DEP_1)
	v_add_nc_u64_e32 v[12:13], v[8:9], v[2:3]
	v_add_nc_u64_e32 v[12:13], -1, v[12:13]
; %bb.1188:                             ;   in Loop: Header=BB2_853 Depth=4
	s_or_b32 exec_lo, exec_lo, s78
	v_add_nc_u32_e32 v2, 0xffffff81, v57
	v_lshrrev_b32_e32 v9, 23, v8
	s_mov_b32 s14, exec_lo
	s_delay_alu instid0(VALU_DEP_2) | instskip(NEXT) | instid1(VALU_DEP_1)
	v_cndmask_b32_e64 v2, v2, 0xffffff82, s13
	v_add3_u32 v13, v107, v2, v9
	v_and_b32_e32 v2, 0xfffff, v12
                                        ; implicit-def: $vgpr12
	s_delay_alu instid0(VALU_DEP_1) | instskip(NEXT) | instid1(VALU_DEP_1)
	v_dual_add_nc_u32 v57, 6, v13 :: v_dual_add_nc_u32 v2, v2, v8
                                        ; implicit-def: $vgpr8_vgpr9
	v_cmpx_ne_u32_e32 0, v57
	s_xor_b32 s14, exec_lo, s14
; %bb.1189:                             ;   in Loop: Header=BB2_853 Depth=4
	s_delay_alu instid0(VALU_DEP_2) | instskip(SKIP_1) | instid1(VALU_DEP_1)
	v_cmp_lt_u64_e64 s13, 0xffffff, v[2:3]
	v_add_nc_u32_e32 v8, 7, v13
	v_cndmask_b32_e64 v12, v57, v8, s13
	v_cndmask_b32_e64 v8, 0, 1, s13
	s_delay_alu instid0(VALU_DEP_1)
	v_lshrrev_b64 v[8:9], v8, v[2:3]
; %bb.1190:                             ;   in Loop: Header=BB2_853 Depth=4
	s_and_not1_saveexec_b32 s13, s14
; %bb.1191:                             ;   in Loop: Header=BB2_853 Depth=4
	v_mov_b64_e32 v[8:9], v[2:3]
	v_bfe_u32 v12, v2, 23, 1
; %bb.1192:                             ;   in Loop: Header=BB2_853 Depth=4
	s_or_b32 exec_lo, exec_lo, s13
	s_delay_alu instid0(VALU_DEP_2) | instskip(NEXT) | instid1(VALU_DEP_2)
	v_lshrrev_b64 v[8:9], 20, v[8:9]
	v_cmp_gt_i32_e64 s13, 16, v12
	v_min_i32_e32 v2, 15, v12
	v_cmp_eq_u32_e64 s14, 0, v12
	s_delay_alu instid0(VALU_DEP_2) | instskip(SKIP_1) | instid1(VALU_DEP_2)
	v_dual_cndmask_b32 v9, 0, v9, s13 :: v_dual_lshlrev_b32 v2, 3, v2
	v_cndmask_b32_e64 v8, 7, v8, s13
	v_and_b32_e32 v2, 0xf8, v2
	s_delay_alu instid0(VALU_DEP_2) | instskip(NEXT) | instid1(VALU_DEP_2)
	v_cmp_eq_u64_e64 s13, 0, v[8:9]
	v_and_or_b32 v2, v8, 7, v2
	s_and_b32 s13, s14, s13
	s_delay_alu instid0(VALU_DEP_1) | instid1(SALU_CYCLE_1)
	v_cndmask_b32_e64 v2, v2, 0, s13
	s_delay_alu instid0(VALU_DEP_1)
	v_or_b32_e32 v107, v2, v56
.LBB2_1193:                             ;   in Loop: Header=BB2_853 Depth=4
	s_or_b32 exec_lo, exec_lo, s77
                                        ; implicit-def: $vgpr56
.LBB2_1194:                             ;   in Loop: Header=BB2_853 Depth=4
	s_and_not1_saveexec_b32 s13, s76
; %bb.1195:                             ;   in Loop: Header=BB2_853 Depth=4
	v_or_b32_e32 v107, 0x7e, v56
; %bb.1196:                             ;   in Loop: Header=BB2_853 Depth=4
	s_or_b32 exec_lo, exec_lo, s13
                                        ; implicit-def: $vgpr9
.LBB2_1197:                             ;   in Loop: Header=BB2_853 Depth=4
	s_and_not1_saveexec_b32 s13, s15
; %bb.1198:                             ;   in Loop: Header=BB2_853 Depth=4
	v_or_b32_e32 v107, 0x7f, v9
; %bb.1199:                             ;   in Loop: Header=BB2_853 Depth=4
	s_or_b32 exec_lo, exec_lo, s13
	v_mov_b32_e32 v8, 0
	s_mov_b32 s14, exec_lo
	v_cmpx_lt_u32_e32 0xffffff, v14
	s_cbranch_execz .LBB2_1207
; %bb.1200:                             ;   in Loop: Header=BB2_853 Depth=4
	v_lshrrev_b32_e32 v9, 24, v14
	v_bfrev_b32_e32 v8, 1
	s_mov_b32 s15, exec_lo
	s_delay_alu instid0(VALU_DEP_2)
	v_cmpx_ne_u32_e32 0x80, v9
	s_cbranch_execz .LBB2_1206
; %bb.1201:                             ;   in Loop: Header=BB2_853 Depth=4
	v_bfe_u32 v12, v14, 24, 7
	v_mov_b32_e32 v8, 0x7f800001
	s_mov_b32 s76, exec_lo
	s_delay_alu instid0(VALU_DEP_2)
	v_cmpx_ne_u32_e32 0x7f, v12
	s_cbranch_execz .LBB2_1205
; %bb.1202:                             ;   in Loop: Header=BB2_853 Depth=4
	v_dual_lshrrev_b32 v8, 3, v12 :: v_dual_bitop2_b32 v2, 7, v9 bitop3:0x40
	s_mov_b32 s77, exec_lo
	v_cmpx_gt_u32_e32 8, v12
; %bb.1203:                             ;   in Loop: Header=BB2_853 Depth=4
	s_delay_alu instid0(VALU_DEP_2) | instskip(NEXT) | instid1(VALU_DEP_1)
	v_clz_i32_u32_e32 v8, v2
	v_min_u32_e32 v8, 32, v8
	s_delay_alu instid0(VALU_DEP_1) | instskip(SKIP_1) | instid1(VALU_DEP_2)
	v_subrev_nc_u32_e32 v12, 28, v8
	v_sub_nc_u32_e32 v8, 29, v8
	v_lshlrev_b64_e32 v[12:13], v12, v[2:3]
	s_delay_alu instid0(VALU_DEP_1)
	v_and_b32_e32 v2, 7, v12
; %bb.1204:                             ;   in Loop: Header=BB2_853 Depth=4
	s_or_b32 exec_lo, exec_lo, s77
	s_delay_alu instid0(VALU_DEP_1) | instskip(SKIP_1) | instid1(VALU_DEP_2)
	v_dual_lshlrev_b32 v9, 24, v9 :: v_dual_lshlrev_b32 v2, 20, v2
	v_lshl_add_u32 v8, v8, 23, 0x3c000000
	v_and_b32_e32 v9, 0x80000000, v9
	s_delay_alu instid0(VALU_DEP_1)
	v_or3_b32 v8, v2, v9, v8
.LBB2_1205:                             ;   in Loop: Header=BB2_853 Depth=4
	s_or_b32 exec_lo, exec_lo, s76
.LBB2_1206:                             ;   in Loop: Header=BB2_853 Depth=4
	s_delay_alu instid0(SALU_CYCLE_1)
	s_or_b32 exec_lo, exec_lo, s15
.LBB2_1207:                             ;   in Loop: Header=BB2_853 Depth=4
	s_delay_alu instid0(SALU_CYCLE_1) | instskip(SKIP_3) | instid1(VALU_DEP_3)
	s_or_b32 exec_lo, exec_lo, s14
	v_lshrrev_b32_e32 v2, 24, v10
	v_bfe_u32 v9, v10, 24, 7
	v_cmp_gt_u32_e64 s15, 0x1000000, v10
	v_cmp_eq_u32_e64 s13, 0x80, v2
	s_delay_alu instid0(VALU_DEP_3) | instskip(NEXT) | instid1(VALU_DEP_2)
	v_cmp_eq_u32_e64 s14, 0x7f, v9
	v_cndmask_b32_e64 v12, 0x7f800001, v77, s13
	s_or_b32 s13, s13, s14
	s_delay_alu instid0(SALU_CYCLE_1) | instskip(NEXT) | instid1(VALU_DEP_1)
	s_nor_b32 s13, s15, s13
	v_cndmask_b32_e64 v12, v12, 0, s15
	s_and_saveexec_b32 s14, s13
	s_cbranch_execz .LBB2_1209
; %bb.1208:                             ;   in Loop: Header=BB2_853 Depth=4
	v_and_b32_e32 v18, 7, v2
	v_cmp_gt_u32_e64 s13, 8, v9
	s_delay_alu instid0(VALU_DEP_2) | instskip(NEXT) | instid1(VALU_DEP_1)
	v_clz_i32_u32_e32 v12, v18
	v_min_u32_e32 v19, 32, v12
	s_delay_alu instid0(VALU_DEP_1) | instskip(NEXT) | instid1(VALU_DEP_1)
	v_subrev_nc_u32_e32 v12, 28, v19
	v_lshlrev_b64_e32 v[12:13], v12, v[2:3]
	v_dual_lshrrev_b32 v13, 3, v9 :: v_dual_sub_nc_u32 v19, 29, v19
	s_delay_alu instid0(VALU_DEP_2) | instskip(NEXT) | instid1(VALU_DEP_2)
	v_dual_lshlrev_b32 v2, 24, v2 :: v_dual_bitop2_b32 v9, 7, v12 bitop3:0x40
	v_cndmask_b32_e64 v12, v13, v19, s13
	s_delay_alu instid0(VALU_DEP_2) | instskip(NEXT) | instid1(VALU_DEP_3)
	v_and_b32_e32 v2, 0x80000000, v2
	v_cndmask_b32_e64 v9, v18, v9, s13
	s_delay_alu instid0(VALU_DEP_3) | instskip(NEXT) | instid1(VALU_DEP_2)
	v_lshl_add_u32 v12, v12, 23, 0x3c000000
	v_lshlrev_b32_e32 v9, 20, v9
	s_delay_alu instid0(VALU_DEP_1)
	v_or3_b32 v12, v9, v2, v12
.LBB2_1209:                             ;   in Loop: Header=BB2_853 Depth=4
	s_or_b32 exec_lo, exec_lo, s14
	s_delay_alu instid0(VALU_DEP_1) | instskip(SKIP_1) | instid1(VALU_DEP_1)
	v_add_f32_e32 v8, v8, v12
                                        ; implicit-def: $vgpr108
	s_mov_b32 s14, exec_lo
	v_and_b32_e32 v2, 0x7f800000, v8
	v_lshrrev_b32_e32 v9, 24, v8
	s_delay_alu instid0(VALU_DEP_2)
	v_cmpx_ne_u64_e32 0x7f800000, v[2:3]
	s_xor_b32 s15, exec_lo, s14
	s_cbranch_execz .LBB2_1223
; %bb.1210:                             ;   in Loop: Header=BB2_853 Depth=4
	v_and_b32_e32 v2, 0x7fffffff, v8
	v_and_b32_e32 v56, 0x80, v9
                                        ; implicit-def: $vgpr108
	s_mov_b32 s14, exec_lo
	s_delay_alu instid0(VALU_DEP_2)
	v_cmpx_gt_u64_e32 0x43e00001, v[2:3]
	s_xor_b32 s76, exec_lo, s14
	s_cbranch_execz .LBB2_1220
; %bb.1211:                             ;   in Loop: Header=BB2_853 Depth=4
	v_mov_b32_e32 v108, 0
	s_mov_b32 s77, exec_lo
	v_cmpx_ne_u32_e32 0, v8
	s_cbranch_execz .LBB2_1219
; %bb.1212:                             ;   in Loop: Header=BB2_853 Depth=4
	v_bfe_u32 v57, v8, 23, 8
	s_delay_alu instid0(VALU_DEP_1) | instskip(SKIP_1) | instid1(VALU_DEP_1)
	v_sub_nc_u32_e32 v2, 0x79, v57
	v_cmp_gt_u32_e64 s13, 0x7a, v57
	v_cndmask_b32_e64 v2, 0, v2, s13
	v_cmp_eq_u32_e64 s13, 0, v57
	s_delay_alu instid0(VALU_DEP_1) | instskip(SKIP_1) | instid1(VALU_DEP_2)
	v_cndmask_b32_e64 v108, v2, 0x78, s13
	v_and_b32_e32 v2, 0x7fffff, v8
	v_add_nc_u32_e32 v8, 20, v108
	s_delay_alu instid0(VALU_DEP_2) | instskip(SKIP_1) | instid1(VALU_DEP_3)
	v_or_b32_e32 v12, 0x800000, v2
	v_add_nc_u32_e32 v13, 19, v108
	v_lshlrev_b64_e64 v[8:9], v8, -1
	s_delay_alu instid0(VALU_DEP_3) | instskip(NEXT) | instid1(VALU_DEP_3)
	v_cndmask_b32_e64 v2, v12, v2, s13
	v_lshlrev_b64_e64 v[12:13], v13, 1
	s_delay_alu instid0(VALU_DEP_3) | instskip(NEXT) | instid1(VALU_DEP_3)
	v_bfi_b32 v19, v9, 0, 0
	v_bfi_b32 v18, v8, 0, v2
	v_lshrrev_b64 v[8:9], v108, v[2:3]
	s_delay_alu instid0(VALU_DEP_2) | instskip(NEXT) | instid1(VALU_DEP_2)
	v_cmp_eq_u64_e64 s14, v[18:19], v[12:13]
	v_mov_b64_e32 v[12:13], v[8:9]
	s_and_saveexec_b32 s78, s14
; %bb.1213:                             ;   in Loop: Header=BB2_853 Depth=4
	v_bfe_u32 v2, v8, 20, 1
	s_delay_alu instid0(VALU_DEP_1) | instskip(NEXT) | instid1(VALU_DEP_1)
	v_add_nc_u64_e32 v[12:13], v[8:9], v[2:3]
	v_add_nc_u64_e32 v[12:13], -1, v[12:13]
; %bb.1214:                             ;   in Loop: Header=BB2_853 Depth=4
	s_or_b32 exec_lo, exec_lo, s78
	v_add_nc_u32_e32 v2, 0xffffff81, v57
	v_lshrrev_b32_e32 v9, 23, v8
	s_mov_b32 s14, exec_lo
	s_delay_alu instid0(VALU_DEP_2) | instskip(NEXT) | instid1(VALU_DEP_1)
	v_cndmask_b32_e64 v2, v2, 0xffffff82, s13
	v_add3_u32 v13, v108, v2, v9
	v_and_b32_e32 v2, 0xfffff, v12
                                        ; implicit-def: $vgpr12
	s_delay_alu instid0(VALU_DEP_1) | instskip(NEXT) | instid1(VALU_DEP_1)
	v_dual_add_nc_u32 v57, 6, v13 :: v_dual_add_nc_u32 v2, v2, v8
                                        ; implicit-def: $vgpr8_vgpr9
	v_cmpx_ne_u32_e32 0, v57
	s_xor_b32 s14, exec_lo, s14
; %bb.1215:                             ;   in Loop: Header=BB2_853 Depth=4
	s_delay_alu instid0(VALU_DEP_2) | instskip(SKIP_1) | instid1(VALU_DEP_1)
	v_cmp_lt_u64_e64 s13, 0xffffff, v[2:3]
	v_add_nc_u32_e32 v8, 7, v13
	v_cndmask_b32_e64 v12, v57, v8, s13
	v_cndmask_b32_e64 v8, 0, 1, s13
	s_delay_alu instid0(VALU_DEP_1)
	v_lshrrev_b64 v[8:9], v8, v[2:3]
; %bb.1216:                             ;   in Loop: Header=BB2_853 Depth=4
	s_and_not1_saveexec_b32 s13, s14
; %bb.1217:                             ;   in Loop: Header=BB2_853 Depth=4
	v_mov_b64_e32 v[8:9], v[2:3]
	v_bfe_u32 v12, v2, 23, 1
; %bb.1218:                             ;   in Loop: Header=BB2_853 Depth=4
	s_or_b32 exec_lo, exec_lo, s13
	s_delay_alu instid0(VALU_DEP_2) | instskip(NEXT) | instid1(VALU_DEP_2)
	v_lshrrev_b64 v[8:9], 20, v[8:9]
	v_cmp_gt_i32_e64 s13, 16, v12
	v_min_i32_e32 v2, 15, v12
	v_cmp_eq_u32_e64 s14, 0, v12
	s_delay_alu instid0(VALU_DEP_2) | instskip(SKIP_1) | instid1(VALU_DEP_2)
	v_dual_cndmask_b32 v9, 0, v9, s13 :: v_dual_lshlrev_b32 v2, 3, v2
	v_cndmask_b32_e64 v8, 7, v8, s13
	v_and_b32_e32 v2, 0xf8, v2
	s_delay_alu instid0(VALU_DEP_2) | instskip(NEXT) | instid1(VALU_DEP_2)
	v_cmp_eq_u64_e64 s13, 0, v[8:9]
	v_and_or_b32 v2, v8, 7, v2
	s_and_b32 s13, s14, s13
	s_delay_alu instid0(VALU_DEP_1) | instid1(SALU_CYCLE_1)
	v_cndmask_b32_e64 v2, v2, 0, s13
	s_delay_alu instid0(VALU_DEP_1)
	v_or_b32_e32 v108, v2, v56
.LBB2_1219:                             ;   in Loop: Header=BB2_853 Depth=4
	s_or_b32 exec_lo, exec_lo, s77
                                        ; implicit-def: $vgpr56
.LBB2_1220:                             ;   in Loop: Header=BB2_853 Depth=4
	s_and_not1_saveexec_b32 s13, s76
; %bb.1221:                             ;   in Loop: Header=BB2_853 Depth=4
	v_or_b32_e32 v108, 0x7e, v56
; %bb.1222:                             ;   in Loop: Header=BB2_853 Depth=4
	s_or_b32 exec_lo, exec_lo, s13
                                        ; implicit-def: $vgpr9
.LBB2_1223:                             ;   in Loop: Header=BB2_853 Depth=4
	s_and_not1_saveexec_b32 s13, s15
; %bb.1224:                             ;   in Loop: Header=BB2_853 Depth=4
	v_or_b32_e32 v108, 0x7f, v9
; %bb.1225:                             ;   in Loop: Header=BB2_853 Depth=4
	s_or_b32 exec_lo, exec_lo, s13
	v_and_b32_e32 v8, 0xff, v15
	v_dual_mov_b32 v2, v15 :: v_dual_mov_b32 v12, 0
	s_mov_b32 s14, exec_lo
	s_delay_alu instid0(VALU_DEP_2)
	v_cmpx_ne_u16_e32 0, v8
	s_cbranch_execz .LBB2_1231
; %bb.1226:                             ;   in Loop: Header=BB2_853 Depth=4
	v_bfrev_b32_e32 v12, 1
	s_mov_b32 s15, exec_lo
	v_cmpx_ne_u16_e32 0x80, v8
	s_cbranch_execz .LBB2_1230
; %bb.1227:                             ;   in Loop: Header=BB2_853 Depth=4
	v_and_b32_e32 v8, 0x7f, v15
	v_mov_b32_e32 v12, 0x7f800001
	s_mov_b32 s76, exec_lo
	s_delay_alu instid0(VALU_DEP_2)
	v_cmpx_ne_u32_e32 0x7f, v8
	s_cbranch_execz .LBB2_1229
; %bb.1228:                             ;   in Loop: Header=BB2_853 Depth=4
	v_dual_lshrrev_b32 v12, 3, v8 :: v_dual_bitop2_b32 v9, 7, v15 bitop3:0x40
	v_cmp_gt_u32_e64 s13, 8, v8
	s_delay_alu instid0(VALU_DEP_2) | instskip(NEXT) | instid1(VALU_DEP_1)
	v_clz_i32_u32_e32 v9, v9
	v_min_u32_e32 v9, 32, v9
	s_delay_alu instid0(VALU_DEP_1) | instskip(SKIP_1) | instid1(VALU_DEP_2)
	v_subrev_nc_u32_e32 v13, 28, v9
	v_sub_nc_u32_e32 v9, 29, v9
	v_cndmask_b32_e64 v8, 0, v13, s13
	s_delay_alu instid0(VALU_DEP_2) | instskip(NEXT) | instid1(VALU_DEP_2)
	v_cndmask_b32_e64 v12, v12, v9, s13
	v_lshlrev_b64_e32 v[8:9], v8, v[2:3]
	v_lshlrev_b32_e32 v9, 24, v2
	s_delay_alu instid0(VALU_DEP_3) | instskip(NEXT) | instid1(VALU_DEP_2)
	v_lshl_add_u32 v12, v12, 23, 0x3c000000
	v_and_b32_e32 v9, 0x80000000, v9
	s_delay_alu instid0(VALU_DEP_4) | instskip(NEXT) | instid1(VALU_DEP_1)
	v_lshlrev_b32_e32 v8, 20, v8
	v_and_b32_e32 v8, 0x700000, v8
	s_delay_alu instid0(VALU_DEP_1)
	v_or3_b32 v12, v8, v9, v12
.LBB2_1229:                             ;   in Loop: Header=BB2_853 Depth=4
	s_or_b32 exec_lo, exec_lo, s76
.LBB2_1230:                             ;   in Loop: Header=BB2_853 Depth=4
	s_delay_alu instid0(SALU_CYCLE_1)
	s_or_b32 exec_lo, exec_lo, s15
.LBB2_1231:                             ;   in Loop: Header=BB2_853 Depth=4
	s_delay_alu instid0(SALU_CYCLE_1) | instskip(SKIP_4) | instid1(VALU_DEP_2)
	s_or_b32 exec_lo, exec_lo, s14
	v_and_b32_e32 v9, 0xff, v11
	v_mov_b32_e32 v8, v11
	s_mov_b32 s14, 0
	s_mov_b32 s15, exec_lo
	v_cmpx_lt_i16_e32 0x7f, v9
	s_xor_b32 s15, exec_lo, s15
	s_cbranch_execz .LBB2_1266
; %bb.1232:                             ;   in Loop: Header=BB2_853 Depth=4
	s_mov_b32 s14, -1
	s_mov_b32 s76, exec_lo
	v_cmpx_eq_u16_e32 0x80, v9
; %bb.1233:                             ;   in Loop: Header=BB2_853 Depth=4
	s_xor_b32 s14, exec_lo, -1
; %bb.1234:                             ;   in Loop: Header=BB2_853 Depth=4
	s_or_b32 exec_lo, exec_lo, s76
	s_delay_alu instid0(SALU_CYCLE_1)
	s_and_b32 s14, s14, exec_lo
                                        ; implicit-def: $vgpr9
	s_or_saveexec_b32 s15, s15
	v_bfrev_b32_e32 v13, 1
	s_xor_b32 exec_lo, exec_lo, s15
	s_cbranch_execnz .LBB2_1267
.LBB2_1235:                             ;   in Loop: Header=BB2_853 Depth=4
	s_or_b32 exec_lo, exec_lo, s15
	v_mov_b32_e32 v9, v3
	s_and_saveexec_b32 s15, s14
	s_cbranch_execz .LBB2_1237
.LBB2_1236:                             ;   in Loop: Header=BB2_853 Depth=4
	v_and_b32_e32 v13, 7, v11
	v_and_b32_e32 v56, 0x7f, v11
	v_bfe_u32 v18, v11, 3, 4
	s_delay_alu instid0(VALU_DEP_3) | instskip(NEXT) | instid1(VALU_DEP_3)
	v_clz_i32_u32_e32 v13, v13
	v_cmp_gt_u32_e64 s13, 8, v56
	s_delay_alu instid0(VALU_DEP_2) | instskip(NEXT) | instid1(VALU_DEP_1)
	v_min_u32_e32 v13, 32, v13
	v_subrev_nc_u32_e32 v19, 28, v13
	v_sub_nc_u32_e32 v13, 29, v13
	s_delay_alu instid0(VALU_DEP_1) | instskip(SKIP_1) | instid1(VALU_DEP_2)
	v_dual_cndmask_b32 v13, v18, v13, s13 :: v_dual_cndmask_b32 v18, 0, v19, s13
	v_cmp_ne_u32_e64 s13, 0x7f, v56
	v_lshlrev_b64_e32 v[18:19], v18, v[8:9]
	v_lshlrev_b32_e32 v9, 24, v8
	s_delay_alu instid0(VALU_DEP_1) | instskip(NEXT) | instid1(VALU_DEP_3)
	v_and_b32_e32 v9, 0x80000000, v9
	v_lshlrev_b32_e32 v18, 20, v18
	v_lshl_add_u32 v13, v13, 23, 0x3c000000
	s_delay_alu instid0(VALU_DEP_2) | instskip(NEXT) | instid1(VALU_DEP_1)
	v_and_b32_e32 v18, 0x700000, v18
	v_or3_b32 v9, v18, v9, v13
	s_delay_alu instid0(VALU_DEP_1)
	v_cndmask_b32_e64 v13, 0x7f800001, v9, s13
.LBB2_1237:                             ;   in Loop: Header=BB2_853 Depth=4
	s_or_b32 exec_lo, exec_lo, s15
	s_delay_alu instid0(VALU_DEP_1) | instskip(SKIP_1) | instid1(VALU_DEP_1)
	v_dual_add_f32 v12, v12, v13 :: v_dual_mov_b32 v19, v3
                                        ; implicit-def: $vgpr56
	s_mov_b32 s14, exec_lo
	v_and_b32_e32 v18, 0x7f800000, v12
	v_lshrrev_b32_e32 v9, 24, v12
	s_delay_alu instid0(VALU_DEP_2)
	v_cmpx_ne_u64_e32 0x7f800000, v[18:19]
	s_xor_b32 s15, exec_lo, s14
	s_cbranch_execz .LBB2_1251
; %bb.1238:                             ;   in Loop: Header=BB2_853 Depth=4
	v_and_b32_e32 v18, 0x7fffffff, v12
	v_mov_b32_e32 v19, v3
	v_and_b32_e32 v9, 0x80, v9
                                        ; implicit-def: $vgpr56
	s_mov_b32 s14, exec_lo
	s_delay_alu instid0(VALU_DEP_2)
	v_cmpx_gt_u64_e32 0x43e00001, v[18:19]
	s_xor_b32 s76, exec_lo, s14
	s_cbranch_execz .LBB2_1248
; %bb.1239:                             ;   in Loop: Header=BB2_853 Depth=4
	v_mov_b32_e32 v56, 0
	s_mov_b32 s77, exec_lo
	v_cmpx_ne_u32_e32 0, v12
	s_cbranch_execz .LBB2_1247
; %bb.1240:                             ;   in Loop: Header=BB2_853 Depth=4
	v_bfe_u32 v109, v12, 23, 8
	v_and_b32_e32 v18, 0x7fffff, v12
	s_delay_alu instid0(VALU_DEP_2) | instskip(SKIP_1) | instid1(VALU_DEP_3)
	v_sub_nc_u32_e32 v13, 0x79, v109
	v_cmp_gt_u32_e64 s13, 0x7a, v109
	v_or_b32_e32 v19, 0x800000, v18
	s_delay_alu instid0(VALU_DEP_2) | instskip(SKIP_1) | instid1(VALU_DEP_1)
	v_cndmask_b32_e64 v13, 0, v13, s13
	v_cmp_eq_u32_e64 s13, 0, v109
	v_cndmask_b32_e64 v110, v13, 0x78, s13
	s_delay_alu instid0(VALU_DEP_4) | instskip(NEXT) | instid1(VALU_DEP_2)
	v_cndmask_b32_e64 v18, v19, v18, s13
	v_dual_mov_b32 v19, v3 :: v_dual_add_nc_u32 v56, 19, v110
	v_add_nc_u32_e32 v12, 20, v110
	s_delay_alu instid0(VALU_DEP_2) | instskip(NEXT) | instid1(VALU_DEP_2)
	v_lshlrev_b64_e64 v[56:57], v56, 1
	v_lshlrev_b64_e64 v[12:13], v12, -1
	s_delay_alu instid0(VALU_DEP_1) | instskip(NEXT) | instid1(VALU_DEP_2)
	v_bfi_b32 v121, v13, 0, 0
	v_bfi_b32 v120, v12, 0, v18
	v_lshrrev_b64 v[12:13], v110, v[18:19]
	s_delay_alu instid0(VALU_DEP_2) | instskip(NEXT) | instid1(VALU_DEP_2)
	v_cmp_eq_u64_e64 s14, v[120:121], v[56:57]
	v_mov_b64_e32 v[56:57], v[12:13]
	s_and_saveexec_b32 s78, s14
; %bb.1241:                             ;   in Loop: Header=BB2_853 Depth=4
	v_bfe_u32 v18, v12, 20, 1
	v_mov_b32_e32 v19, v3
	s_delay_alu instid0(VALU_DEP_1) | instskip(NEXT) | instid1(VALU_DEP_1)
	v_add_nc_u64_e32 v[18:19], v[12:13], v[18:19]
	v_add_nc_u64_e32 v[56:57], -1, v[18:19]
; %bb.1242:                             ;   in Loop: Header=BB2_853 Depth=4
	s_or_b32 exec_lo, exec_lo, s78
	v_add_nc_u32_e32 v13, 0xffffff81, v109
	v_lshrrev_b32_e32 v18, 23, v12
	s_mov_b32 s14, exec_lo
	s_delay_alu instid0(VALU_DEP_2) | instskip(NEXT) | instid1(VALU_DEP_1)
	v_cndmask_b32_e64 v13, v13, 0xffffff82, s13
	v_add3_u32 v57, v110, v13, v18
	v_and_b32_e32 v13, 0xfffff, v56
                                        ; implicit-def: $vgpr56
	s_delay_alu instid0(VALU_DEP_1) | instskip(SKIP_1) | instid1(VALU_DEP_2)
	v_dual_add_nc_u32 v109, 6, v57 :: v_dual_add_nc_u32 v12, v13, v12
	v_mov_b32_e32 v13, v3
	v_cmpx_ne_u32_e32 0, v109
	s_xor_b32 s14, exec_lo, s14
; %bb.1243:                             ;   in Loop: Header=BB2_853 Depth=4
	s_delay_alu instid0(VALU_DEP_2) | instskip(SKIP_1) | instid1(VALU_DEP_1)
	v_cmp_lt_u64_e64 s13, 0xffffff, v[12:13]
	v_add_nc_u32_e32 v18, 7, v57
	v_cndmask_b32_e64 v56, v109, v18, s13
	v_cndmask_b32_e64 v18, 0, 1, s13
	s_delay_alu instid0(VALU_DEP_1)
	v_lshrrev_b64 v[12:13], v18, v[12:13]
; %bb.1244:                             ;   in Loop: Header=BB2_853 Depth=4
	s_and_not1_saveexec_b32 s13, s14
; %bb.1245:                             ;   in Loop: Header=BB2_853 Depth=4
	s_delay_alu instid0(VALU_DEP_1)
	v_bfe_u32 v56, v12, 23, 1
; %bb.1246:                             ;   in Loop: Header=BB2_853 Depth=4
	s_or_b32 exec_lo, exec_lo, s13
	s_delay_alu instid0(VALU_DEP_2) | instskip(NEXT) | instid1(VALU_DEP_2)
	v_lshrrev_b64 v[12:13], 20, v[12:13]
	v_cmp_gt_i32_e64 s13, 16, v56
	v_min_i32_e32 v18, 15, v56
	v_cmp_eq_u32_e64 s14, 0, v56
	s_delay_alu instid0(VALU_DEP_2) | instskip(SKIP_1) | instid1(VALU_DEP_2)
	v_dual_cndmask_b32 v13, 0, v13, s13 :: v_dual_lshlrev_b32 v18, 3, v18
	v_cndmask_b32_e64 v12, 7, v12, s13
	v_and_b32_e32 v18, 0xf8, v18
	s_delay_alu instid0(VALU_DEP_2) | instskip(NEXT) | instid1(VALU_DEP_2)
	v_cmp_eq_u64_e64 s13, 0, v[12:13]
	v_and_or_b32 v12, v12, 7, v18
	s_and_b32 s13, s14, s13
	s_delay_alu instid0(VALU_DEP_1) | instid1(SALU_CYCLE_1)
	v_cndmask_b32_e64 v12, v12, 0, s13
	s_delay_alu instid0(VALU_DEP_1)
	v_or_b32_e32 v56, v12, v9
.LBB2_1247:                             ;   in Loop: Header=BB2_853 Depth=4
	s_or_b32 exec_lo, exec_lo, s77
                                        ; implicit-def: $vgpr9
.LBB2_1248:                             ;   in Loop: Header=BB2_853 Depth=4
	s_and_not1_saveexec_b32 s13, s76
; %bb.1249:                             ;   in Loop: Header=BB2_853 Depth=4
	v_or_b32_e32 v56, 0x7e, v9
; %bb.1250:                             ;   in Loop: Header=BB2_853 Depth=4
	s_or_b32 exec_lo, exec_lo, s13
                                        ; implicit-def: $vgpr9
.LBB2_1251:                             ;   in Loop: Header=BB2_853 Depth=4
	s_and_not1_saveexec_b32 s13, s15
; %bb.1252:                             ;   in Loop: Header=BB2_853 Depth=4
	v_or_b32_e32 v56, 0x7f, v9
; %bb.1253:                             ;   in Loop: Header=BB2_853 Depth=4
	s_or_b32 exec_lo, exec_lo, s13
	v_lshrrev_b16 v12, 8, v2
	v_mov_b32_e32 v9, 0
	s_mov_b32 s14, exec_lo
	s_delay_alu instid0(VALU_DEP_2)
	v_cmpx_ne_u16_e32 0, v12
	s_cbranch_execz .LBB2_1261
; %bb.1254:                             ;   in Loop: Header=BB2_853 Depth=4
	v_bfrev_b32_e32 v9, 1
	s_mov_b32 s15, exec_lo
	v_cmpx_ne_u16_e32 0x80, v12
	s_cbranch_execz .LBB2_1260
; %bb.1255:                             ;   in Loop: Header=BB2_853 Depth=4
	v_and_b32_e32 v12, 0xffff, v12
	v_mov_b32_e32 v9, 0x7f800001
	s_mov_b32 s76, exec_lo
	s_delay_alu instid0(VALU_DEP_2) | instskip(NEXT) | instid1(VALU_DEP_1)
	v_and_b32_e32 v57, 0x7f, v12
	v_cmpx_ne_u32_e32 0x7f, v57
	s_cbranch_execz .LBB2_1259
; %bb.1256:                             ;   in Loop: Header=BB2_853 Depth=4
	v_dual_mov_b32 v13, v3 :: v_dual_bitop2_b32 v12, 7, v12 bitop3:0x40
	v_lshrrev_b32_e32 v9, 3, v57
	s_mov_b32 s77, exec_lo
	v_cmpx_gt_u32_e32 8, v57
; %bb.1257:                             ;   in Loop: Header=BB2_853 Depth=4
	s_delay_alu instid0(VALU_DEP_3) | instskip(NEXT) | instid1(VALU_DEP_1)
	v_clz_i32_u32_e32 v9, v12
	v_min_u32_e32 v9, 32, v9
	s_delay_alu instid0(VALU_DEP_1) | instskip(NEXT) | instid1(VALU_DEP_1)
	v_subrev_nc_u32_e32 v18, 28, v9
	v_lshlrev_b64_e32 v[12:13], v18, v[12:13]
	s_delay_alu instid0(VALU_DEP_1)
	v_dual_sub_nc_u32 v9, 29, v9 :: v_dual_bitop2_b32 v12, 7, v12 bitop3:0x40
; %bb.1258:                             ;   in Loop: Header=BB2_853 Depth=4
	s_or_b32 exec_lo, exec_lo, s77
	s_delay_alu instid0(VALU_DEP_1) | instskip(NEXT) | instid1(VALU_DEP_2)
	v_dual_lshlrev_b32 v2, 16, v2 :: v_dual_lshlrev_b32 v12, 20, v12
	v_lshl_add_u32 v9, v9, 23, 0x3c000000
	s_delay_alu instid0(VALU_DEP_2) | instskip(NEXT) | instid1(VALU_DEP_1)
	v_and_b32_e32 v2, 0x80000000, v2
	v_or3_b32 v9, v12, v2, v9
.LBB2_1259:                             ;   in Loop: Header=BB2_853 Depth=4
	s_or_b32 exec_lo, exec_lo, s76
.LBB2_1260:                             ;   in Loop: Header=BB2_853 Depth=4
	s_delay_alu instid0(SALU_CYCLE_1)
	s_or_b32 exec_lo, exec_lo, s15
.LBB2_1261:                             ;   in Loop: Header=BB2_853 Depth=4
	s_delay_alu instid0(SALU_CYCLE_1) | instskip(SKIP_3) | instid1(VALU_DEP_1)
	s_or_b32 exec_lo, exec_lo, s14
	v_lshrrev_b16 v8, 8, v8
	s_mov_b32 s15, 0
	s_mov_b32 s14, exec_lo
	v_cmpx_lt_i16_e32 0x7f, v8
	s_xor_b32 s14, exec_lo, s14
	s_cbranch_execz .LBB2_1268
; %bb.1262:                             ;   in Loop: Header=BB2_853 Depth=4
	s_mov_b32 s15, -1
	s_mov_b32 s76, exec_lo
	v_cmpx_eq_u16_e32 0x80, v8
; %bb.1263:                             ;   in Loop: Header=BB2_853 Depth=4
	s_xor_b32 s15, exec_lo, -1
; %bb.1264:                             ;   in Loop: Header=BB2_853 Depth=4
	s_or_b32 exec_lo, exec_lo, s76
	s_delay_alu instid0(SALU_CYCLE_1)
	s_and_b32 s15, s15, exec_lo
	s_or_saveexec_b32 s14, s14
	v_bfrev_b32_e32 v12, 1
	s_xor_b32 exec_lo, exec_lo, s14
	s_cbranch_execnz .LBB2_1269
.LBB2_1265:                             ;   in Loop: Header=BB2_853 Depth=4
	s_or_b32 exec_lo, exec_lo, s14
	s_and_saveexec_b32 s14, s15
	s_cbranch_execnz .LBB2_1270
	s_branch .LBB2_1273
.LBB2_1266:                             ;   in Loop: Header=BB2_853 Depth=4
	s_or_saveexec_b32 s15, s15
	v_bfrev_b32_e32 v13, 1
	s_xor_b32 exec_lo, exec_lo, s15
	s_cbranch_execz .LBB2_1235
.LBB2_1267:                             ;   in Loop: Header=BB2_853 Depth=4
	v_cmp_ne_u16_e64 s13, 0, v9
	v_mov_b32_e32 v13, 0
	s_and_not1_b32 s14, s14, exec_lo
	s_and_b32 s13, s13, exec_lo
	s_delay_alu instid0(SALU_CYCLE_1)
	s_or_b32 s14, s14, s13
	s_or_b32 exec_lo, exec_lo, s15
	v_mov_b32_e32 v9, v3
	s_and_saveexec_b32 s15, s14
	s_cbranch_execnz .LBB2_1236
	s_branch .LBB2_1237
.LBB2_1268:                             ;   in Loop: Header=BB2_853 Depth=4
	s_or_saveexec_b32 s14, s14
	v_bfrev_b32_e32 v12, 1
	s_xor_b32 exec_lo, exec_lo, s14
	s_cbranch_execz .LBB2_1265
.LBB2_1269:                             ;   in Loop: Header=BB2_853 Depth=4
	v_cmp_ne_u16_e64 s13, 0, v8
	v_mov_b32_e32 v12, 0
	s_and_not1_b32 s15, s15, exec_lo
	s_and_b32 s13, s13, exec_lo
	s_delay_alu instid0(SALU_CYCLE_1)
	s_or_b32 s15, s15, s13
	s_or_b32 exec_lo, exec_lo, s14
	s_and_saveexec_b32 s14, s15
	s_cbranch_execz .LBB2_1273
.LBB2_1270:                             ;   in Loop: Header=BB2_853 Depth=4
	v_and_b32_e32 v2, 0xffff, v8
	v_mov_b32_e32 v12, 0x7f800001
	s_mov_b32 s15, exec_lo
	s_delay_alu instid0(VALU_DEP_2) | instskip(NEXT) | instid1(VALU_DEP_1)
	v_and_b32_e32 v13, 0x7f, v2
	v_cmpx_ne_u32_e32 0x7f, v13
	s_cbranch_execz .LBB2_1272
; %bb.1271:                             ;   in Loop: Header=BB2_853 Depth=4
	v_and_b32_e32 v12, 7, v2
	v_cmp_gt_u32_e64 s13, 8, v13
	s_delay_alu instid0(VALU_DEP_2) | instskip(NEXT) | instid1(VALU_DEP_1)
	v_clz_i32_u32_e32 v18, v12
	v_min_u32_e32 v57, 32, v18
	s_delay_alu instid0(VALU_DEP_1) | instskip(NEXT) | instid1(VALU_DEP_1)
	v_subrev_nc_u32_e32 v18, 28, v57
	v_lshlrev_b64_e32 v[18:19], v18, v[2:3]
	v_lshrrev_b32_e32 v2, 3, v13
	s_delay_alu instid0(VALU_DEP_2) | instskip(NEXT) | instid1(VALU_DEP_1)
	v_dual_sub_nc_u32 v19, 29, v57 :: v_dual_bitop2_b32 v13, 7, v18 bitop3:0x40
	v_dual_lshlrev_b32 v8, 24, v8 :: v_dual_cndmask_b32 v2, v2, v19, s13
	s_delay_alu instid0(VALU_DEP_2) | instskip(NEXT) | instid1(VALU_DEP_2)
	v_cndmask_b32_e64 v12, v12, v13, s13
	v_and_b32_e32 v8, 0x80000000, v8
	s_delay_alu instid0(VALU_DEP_3) | instskip(NEXT) | instid1(VALU_DEP_3)
	v_lshl_add_u32 v2, v2, 23, 0x3c000000
	v_lshlrev_b32_e32 v12, 20, v12
	s_delay_alu instid0(VALU_DEP_1)
	v_or3_b32 v12, v12, v8, v2
.LBB2_1272:                             ;   in Loop: Header=BB2_853 Depth=4
	s_or_b32 exec_lo, exec_lo, s15
.LBB2_1273:                             ;   in Loop: Header=BB2_853 Depth=4
	s_delay_alu instid0(SALU_CYCLE_1) | instskip(NEXT) | instid1(VALU_DEP_1)
	s_or_b32 exec_lo, exec_lo, s14
	v_add_f32_e32 v8, v9, v12
                                        ; implicit-def: $vgpr57
	s_mov_b32 s14, exec_lo
	s_delay_alu instid0(VALU_DEP_1) | instskip(SKIP_1) | instid1(VALU_DEP_2)
	v_and_b32_e32 v2, 0x7f800000, v8
	v_lshrrev_b32_e32 v9, 24, v8
	v_cmpx_ne_u64_e32 0x7f800000, v[2:3]
	s_xor_b32 s15, exec_lo, s14
	s_cbranch_execz .LBB2_1287
; %bb.1274:                             ;   in Loop: Header=BB2_853 Depth=4
	v_and_b32_e32 v2, 0x7fffffff, v8
	v_and_b32_e32 v109, 0x80, v9
                                        ; implicit-def: $vgpr57
	s_mov_b32 s14, exec_lo
	s_delay_alu instid0(VALU_DEP_2)
	v_cmpx_gt_u64_e32 0x43e00001, v[2:3]
	s_xor_b32 s76, exec_lo, s14
	s_cbranch_execz .LBB2_1284
; %bb.1275:                             ;   in Loop: Header=BB2_853 Depth=4
	v_mov_b32_e32 v57, 0
	s_mov_b32 s77, exec_lo
	v_cmpx_ne_u32_e32 0, v8
	s_cbranch_execz .LBB2_1283
; %bb.1276:                             ;   in Loop: Header=BB2_853 Depth=4
	v_bfe_u32 v57, v8, 23, 8
	s_delay_alu instid0(VALU_DEP_1) | instskip(SKIP_1) | instid1(VALU_DEP_1)
	v_sub_nc_u32_e32 v2, 0x79, v57
	v_cmp_gt_u32_e64 s13, 0x7a, v57
	v_cndmask_b32_e64 v2, 0, v2, s13
	v_cmp_eq_u32_e64 s13, 0, v57
	s_delay_alu instid0(VALU_DEP_1) | instskip(SKIP_1) | instid1(VALU_DEP_2)
	v_cndmask_b32_e64 v110, v2, 0x78, s13
	v_and_b32_e32 v2, 0x7fffff, v8
	v_dual_add_nc_u32 v8, 20, v110 :: v_dual_add_nc_u32 v13, 19, v110
	s_delay_alu instid0(VALU_DEP_2) | instskip(NEXT) | instid1(VALU_DEP_2)
	v_or_b32_e32 v12, 0x800000, v2
	v_lshlrev_b64_e64 v[8:9], v8, -1
	s_delay_alu instid0(VALU_DEP_2) | instskip(NEXT) | instid1(VALU_DEP_4)
	v_cndmask_b32_e64 v2, v12, v2, s13
	v_lshlrev_b64_e64 v[12:13], v13, 1
	s_delay_alu instid0(VALU_DEP_3) | instskip(NEXT) | instid1(VALU_DEP_3)
	v_bfi_b32 v19, v9, 0, 0
	v_bfi_b32 v18, v8, 0, v2
	v_lshrrev_b64 v[8:9], v110, v[2:3]
	s_delay_alu instid0(VALU_DEP_2) | instskip(NEXT) | instid1(VALU_DEP_2)
	v_cmp_eq_u64_e64 s14, v[18:19], v[12:13]
	v_mov_b64_e32 v[12:13], v[8:9]
	s_and_saveexec_b32 s78, s14
; %bb.1277:                             ;   in Loop: Header=BB2_853 Depth=4
	v_bfe_u32 v2, v8, 20, 1
	s_delay_alu instid0(VALU_DEP_1) | instskip(NEXT) | instid1(VALU_DEP_1)
	v_add_nc_u64_e32 v[12:13], v[8:9], v[2:3]
	v_add_nc_u64_e32 v[12:13], -1, v[12:13]
; %bb.1278:                             ;   in Loop: Header=BB2_853 Depth=4
	s_or_b32 exec_lo, exec_lo, s78
	v_add_nc_u32_e32 v2, 0xffffff81, v57
	v_lshrrev_b32_e32 v9, 23, v8
	s_mov_b32 s14, exec_lo
	s_delay_alu instid0(VALU_DEP_2) | instskip(NEXT) | instid1(VALU_DEP_1)
	v_cndmask_b32_e64 v2, v2, 0xffffff82, s13
	v_add3_u32 v13, v110, v2, v9
	v_and_b32_e32 v2, 0xfffff, v12
                                        ; implicit-def: $vgpr12
	s_delay_alu instid0(VALU_DEP_1) | instskip(NEXT) | instid1(VALU_DEP_1)
	v_dual_add_nc_u32 v57, 6, v13 :: v_dual_add_nc_u32 v2, v2, v8
                                        ; implicit-def: $vgpr8_vgpr9
	v_cmpx_ne_u32_e32 0, v57
	s_xor_b32 s14, exec_lo, s14
; %bb.1279:                             ;   in Loop: Header=BB2_853 Depth=4
	s_delay_alu instid0(VALU_DEP_2) | instskip(SKIP_1) | instid1(VALU_DEP_1)
	v_cmp_lt_u64_e64 s13, 0xffffff, v[2:3]
	v_add_nc_u32_e32 v8, 7, v13
	v_cndmask_b32_e64 v12, v57, v8, s13
	v_cndmask_b32_e64 v8, 0, 1, s13
	s_delay_alu instid0(VALU_DEP_1)
	v_lshrrev_b64 v[8:9], v8, v[2:3]
; %bb.1280:                             ;   in Loop: Header=BB2_853 Depth=4
	s_and_not1_saveexec_b32 s13, s14
; %bb.1281:                             ;   in Loop: Header=BB2_853 Depth=4
	v_mov_b64_e32 v[8:9], v[2:3]
	v_bfe_u32 v12, v2, 23, 1
; %bb.1282:                             ;   in Loop: Header=BB2_853 Depth=4
	s_or_b32 exec_lo, exec_lo, s13
	s_delay_alu instid0(VALU_DEP_2) | instskip(NEXT) | instid1(VALU_DEP_2)
	v_lshrrev_b64 v[8:9], 20, v[8:9]
	v_cmp_gt_i32_e64 s13, 16, v12
	v_min_i32_e32 v2, 15, v12
	v_cmp_eq_u32_e64 s14, 0, v12
	s_delay_alu instid0(VALU_DEP_2) | instskip(SKIP_1) | instid1(VALU_DEP_2)
	v_dual_cndmask_b32 v9, 0, v9, s13 :: v_dual_lshlrev_b32 v2, 3, v2
	v_cndmask_b32_e64 v8, 7, v8, s13
	v_and_b32_e32 v2, 0xf8, v2
	s_delay_alu instid0(VALU_DEP_2) | instskip(NEXT) | instid1(VALU_DEP_2)
	v_cmp_eq_u64_e64 s13, 0, v[8:9]
	v_and_or_b32 v2, v8, 7, v2
	s_and_b32 s13, s14, s13
	s_delay_alu instid0(VALU_DEP_1) | instid1(SALU_CYCLE_1)
	v_cndmask_b32_e64 v2, v2, 0, s13
	s_delay_alu instid0(VALU_DEP_1)
	v_or_b32_e32 v57, v2, v109
.LBB2_1283:                             ;   in Loop: Header=BB2_853 Depth=4
	s_or_b32 exec_lo, exec_lo, s77
                                        ; implicit-def: $vgpr109
.LBB2_1284:                             ;   in Loop: Header=BB2_853 Depth=4
	s_and_not1_saveexec_b32 s13, s76
; %bb.1285:                             ;   in Loop: Header=BB2_853 Depth=4
	v_or_b32_e32 v57, 0x7e, v109
; %bb.1286:                             ;   in Loop: Header=BB2_853 Depth=4
	s_or_b32 exec_lo, exec_lo, s13
                                        ; implicit-def: $vgpr9
.LBB2_1287:                             ;   in Loop: Header=BB2_853 Depth=4
	s_and_not1_saveexec_b32 s13, s15
; %bb.1288:                             ;   in Loop: Header=BB2_853 Depth=4
	v_or_b32_e32 v57, 0x7f, v9
; %bb.1289:                             ;   in Loop: Header=BB2_853 Depth=4
	s_or_b32 exec_lo, exec_lo, s13
	v_dual_mov_b32 v8, 0 :: v_dual_lshrrev_b32 v9, 16, v15
	s_mov_b32 s14, exec_lo
	s_delay_alu instid0(VALU_DEP_1) | instskip(NEXT) | instid1(VALU_DEP_1)
	v_and_b32_e32 v2, 0xff, v9
	v_cmpx_ne_u16_e32 0, v2
	s_cbranch_execz .LBB2_1297
; %bb.1290:                             ;   in Loop: Header=BB2_853 Depth=4
	v_bfrev_b32_e32 v8, 1
	s_mov_b32 s15, exec_lo
	v_cmpx_ne_u16_e32 0x80, v2
	s_cbranch_execz .LBB2_1296
; %bb.1291:                             ;   in Loop: Header=BB2_853 Depth=4
	v_bfe_u32 v12, v15, 16, 7
	v_mov_b32_e32 v8, 0x7f800001
	s_mov_b32 s76, exec_lo
	s_delay_alu instid0(VALU_DEP_2)
	v_cmpx_ne_u32_e32 0x7f, v12
	s_cbranch_execz .LBB2_1295
; %bb.1292:                             ;   in Loop: Header=BB2_853 Depth=4
	v_dual_lshrrev_b32 v8, 3, v12 :: v_dual_bitop2_b32 v2, 7, v9 bitop3:0x40
	s_mov_b32 s77, exec_lo
	v_cmpx_gt_u32_e32 8, v12
; %bb.1293:                             ;   in Loop: Header=BB2_853 Depth=4
	s_delay_alu instid0(VALU_DEP_2) | instskip(NEXT) | instid1(VALU_DEP_1)
	v_clz_i32_u32_e32 v8, v2
	v_min_u32_e32 v8, 32, v8
	s_delay_alu instid0(VALU_DEP_1) | instskip(SKIP_1) | instid1(VALU_DEP_2)
	v_subrev_nc_u32_e32 v12, 28, v8
	v_sub_nc_u32_e32 v8, 29, v8
	v_lshlrev_b64_e32 v[12:13], v12, v[2:3]
	s_delay_alu instid0(VALU_DEP_1)
	v_and_b32_e32 v2, 7, v12
; %bb.1294:                             ;   in Loop: Header=BB2_853 Depth=4
	s_or_b32 exec_lo, exec_lo, s77
	s_delay_alu instid0(VALU_DEP_1) | instskip(SKIP_1) | instid1(VALU_DEP_2)
	v_dual_lshlrev_b32 v9, 24, v9 :: v_dual_lshlrev_b32 v2, 20, v2
	v_lshl_add_u32 v8, v8, 23, 0x3c000000
	v_and_b32_e32 v9, 0x80000000, v9
	s_delay_alu instid0(VALU_DEP_1)
	v_or3_b32 v8, v2, v9, v8
.LBB2_1295:                             ;   in Loop: Header=BB2_853 Depth=4
	s_or_b32 exec_lo, exec_lo, s76
.LBB2_1296:                             ;   in Loop: Header=BB2_853 Depth=4
	s_delay_alu instid0(SALU_CYCLE_1)
	s_or_b32 exec_lo, exec_lo, s15
.LBB2_1297:                             ;   in Loop: Header=BB2_853 Depth=4
	s_delay_alu instid0(SALU_CYCLE_1) | instskip(SKIP_3) | instid1(VALU_DEP_1)
	s_or_b32 exec_lo, exec_lo, s14
	v_lshrrev_b32_e32 v2, 16, v11
	s_mov_b32 s15, 0
	s_mov_b32 s14, exec_lo
	v_and_b32_e32 v12, 0xff, v2
	s_delay_alu instid0(VALU_DEP_1)
	v_cmpx_lt_i16_e32 0x7f, v12
	s_xor_b32 s14, exec_lo, s14
	s_cbranch_execz .LBB2_1302
; %bb.1298:                             ;   in Loop: Header=BB2_853 Depth=4
	s_mov_b32 s15, -1
	s_mov_b32 s76, exec_lo
	v_cmpx_eq_u16_e32 0x80, v12
; %bb.1299:                             ;   in Loop: Header=BB2_853 Depth=4
	s_xor_b32 s15, exec_lo, -1
; %bb.1300:                             ;   in Loop: Header=BB2_853 Depth=4
	s_or_b32 exec_lo, exec_lo, s76
	s_delay_alu instid0(SALU_CYCLE_1)
	s_and_b32 s15, s15, exec_lo
                                        ; implicit-def: $vgpr12
	s_or_saveexec_b32 s14, s14
	v_bfrev_b32_e32 v9, 1
	s_xor_b32 exec_lo, exec_lo, s14
	s_cbranch_execnz .LBB2_1303
.LBB2_1301:                             ;   in Loop: Header=BB2_853 Depth=4
	s_or_b32 exec_lo, exec_lo, s14
	s_and_saveexec_b32 s14, s15
	s_cbranch_execnz .LBB2_1304
	s_branch .LBB2_1307
.LBB2_1302:                             ;   in Loop: Header=BB2_853 Depth=4
	s_or_saveexec_b32 s14, s14
	v_bfrev_b32_e32 v9, 1
	s_xor_b32 exec_lo, exec_lo, s14
	s_cbranch_execz .LBB2_1301
.LBB2_1303:                             ;   in Loop: Header=BB2_853 Depth=4
	v_cmp_ne_u16_e64 s13, 0, v12
	v_mov_b32_e32 v9, 0
	s_and_not1_b32 s15, s15, exec_lo
	s_and_b32 s13, s13, exec_lo
	s_delay_alu instid0(SALU_CYCLE_1)
	s_or_b32 s15, s15, s13
	s_or_b32 exec_lo, exec_lo, s14
	s_and_saveexec_b32 s14, s15
	s_cbranch_execz .LBB2_1307
.LBB2_1304:                             ;   in Loop: Header=BB2_853 Depth=4
	v_and_b32_e32 v12, 0x7f, v2
	v_mov_b32_e32 v9, 0x7f800001
	s_mov_b32 s15, exec_lo
	s_delay_alu instid0(VALU_DEP_2)
	v_cmpx_ne_u32_e32 0x7f, v12
	s_cbranch_execz .LBB2_1306
; %bb.1305:                             ;   in Loop: Header=BB2_853 Depth=4
	v_and_b32_e32 v9, 7, v2
	v_cmp_gt_u32_e64 s13, 8, v12
	s_delay_alu instid0(VALU_DEP_2) | instskip(NEXT) | instid1(VALU_DEP_1)
	v_clz_i32_u32_e32 v13, v9
	v_min_u32_e32 v13, 32, v13
	s_delay_alu instid0(VALU_DEP_1) | instskip(NEXT) | instid1(VALU_DEP_1)
	v_subrev_nc_u32_e32 v18, 28, v13
	v_lshlrev_b64_e32 v[18:19], v18, v[2:3]
	v_dual_lshrrev_b32 v19, 3, v12 :: v_dual_sub_nc_u32 v13, 29, v13
	s_delay_alu instid0(VALU_DEP_2) | instskip(NEXT) | instid1(VALU_DEP_2)
	v_and_b32_e32 v12, 7, v18
	v_dual_lshlrev_b32 v2, 24, v2 :: v_dual_cndmask_b32 v13, v19, v13, s13
	s_delay_alu instid0(VALU_DEP_2) | instskip(NEXT) | instid1(VALU_DEP_2)
	v_cndmask_b32_e64 v9, v9, v12, s13
	v_and_b32_e32 v2, 0x80000000, v2
	s_delay_alu instid0(VALU_DEP_3) | instskip(NEXT) | instid1(VALU_DEP_3)
	v_lshl_add_u32 v12, v13, 23, 0x3c000000
	v_lshlrev_b32_e32 v9, 20, v9
	s_delay_alu instid0(VALU_DEP_1)
	v_or3_b32 v9, v9, v2, v12
.LBB2_1306:                             ;   in Loop: Header=BB2_853 Depth=4
	s_or_b32 exec_lo, exec_lo, s15
.LBB2_1307:                             ;   in Loop: Header=BB2_853 Depth=4
	s_delay_alu instid0(SALU_CYCLE_1) | instskip(NEXT) | instid1(VALU_DEP_1)
	s_or_b32 exec_lo, exec_lo, s14
	v_add_f32_e32 v8, v8, v9
                                        ; implicit-def: $vgpr12
	s_mov_b32 s14, exec_lo
	s_delay_alu instid0(VALU_DEP_1) | instskip(SKIP_1) | instid1(VALU_DEP_2)
	v_and_b32_e32 v2, 0x7f800000, v8
	v_lshrrev_b32_e32 v9, 24, v8
	v_cmpx_ne_u64_e32 0x7f800000, v[2:3]
	s_xor_b32 s15, exec_lo, s14
	s_cbranch_execz .LBB2_1321
; %bb.1308:                             ;   in Loop: Header=BB2_853 Depth=4
	v_and_b32_e32 v2, 0x7fffffff, v8
	v_and_b32_e32 v109, 0x80, v9
                                        ; implicit-def: $vgpr12
	s_mov_b32 s14, exec_lo
	s_delay_alu instid0(VALU_DEP_2)
	v_cmpx_gt_u64_e32 0x43e00001, v[2:3]
	s_xor_b32 s76, exec_lo, s14
	s_cbranch_execz .LBB2_1318
; %bb.1309:                             ;   in Loop: Header=BB2_853 Depth=4
	v_mov_b32_e32 v12, 0
	s_mov_b32 s77, exec_lo
	v_cmpx_ne_u32_e32 0, v8
	s_cbranch_execz .LBB2_1317
; %bb.1310:                             ;   in Loop: Header=BB2_853 Depth=4
	v_bfe_u32 v110, v8, 23, 8
	s_delay_alu instid0(VALU_DEP_1) | instskip(SKIP_1) | instid1(VALU_DEP_1)
	v_sub_nc_u32_e32 v2, 0x79, v110
	v_cmp_gt_u32_e64 s13, 0x7a, v110
	v_cndmask_b32_e64 v2, 0, v2, s13
	v_cmp_eq_u32_e64 s13, 0, v110
	s_delay_alu instid0(VALU_DEP_1) | instskip(SKIP_1) | instid1(VALU_DEP_2)
	v_cndmask_b32_e64 v111, v2, 0x78, s13
	v_and_b32_e32 v2, 0x7fffff, v8
	v_add_nc_u32_e32 v8, 20, v111
	s_delay_alu instid0(VALU_DEP_2) | instskip(SKIP_1) | instid1(VALU_DEP_3)
	v_or_b32_e32 v12, 0x800000, v2
	v_add_nc_u32_e32 v13, 19, v111
	v_lshlrev_b64_e64 v[8:9], v8, -1
	s_delay_alu instid0(VALU_DEP_3) | instskip(NEXT) | instid1(VALU_DEP_3)
	v_cndmask_b32_e64 v2, v12, v2, s13
	v_lshlrev_b64_e64 v[12:13], v13, 1
	s_delay_alu instid0(VALU_DEP_3) | instskip(NEXT) | instid1(VALU_DEP_3)
	v_bfi_b32 v19, v9, 0, 0
	v_bfi_b32 v18, v8, 0, v2
	v_lshrrev_b64 v[8:9], v111, v[2:3]
	s_delay_alu instid0(VALU_DEP_2) | instskip(NEXT) | instid1(VALU_DEP_2)
	v_cmp_eq_u64_e64 s14, v[18:19], v[12:13]
	v_mov_b64_e32 v[12:13], v[8:9]
	s_and_saveexec_b32 s78, s14
; %bb.1311:                             ;   in Loop: Header=BB2_853 Depth=4
	v_bfe_u32 v2, v8, 20, 1
	s_delay_alu instid0(VALU_DEP_1) | instskip(NEXT) | instid1(VALU_DEP_1)
	v_add_nc_u64_e32 v[12:13], v[8:9], v[2:3]
	v_add_nc_u64_e32 v[12:13], -1, v[12:13]
; %bb.1312:                             ;   in Loop: Header=BB2_853 Depth=4
	s_or_b32 exec_lo, exec_lo, s78
	v_add_nc_u32_e32 v2, 0xffffff81, v110
	v_lshrrev_b32_e32 v9, 23, v8
	s_mov_b32 s14, exec_lo
	s_delay_alu instid0(VALU_DEP_2) | instskip(NEXT) | instid1(VALU_DEP_1)
	v_cndmask_b32_e64 v2, v2, 0xffffff82, s13
	v_add3_u32 v13, v111, v2, v9
	v_and_b32_e32 v2, 0xfffff, v12
                                        ; implicit-def: $vgpr12
	s_delay_alu instid0(VALU_DEP_1) | instskip(NEXT) | instid1(VALU_DEP_1)
	v_dual_add_nc_u32 v110, 6, v13 :: v_dual_add_nc_u32 v2, v2, v8
                                        ; implicit-def: $vgpr8_vgpr9
	v_cmpx_ne_u32_e32 0, v110
	s_xor_b32 s14, exec_lo, s14
; %bb.1313:                             ;   in Loop: Header=BB2_853 Depth=4
	s_delay_alu instid0(VALU_DEP_2) | instskip(SKIP_1) | instid1(VALU_DEP_1)
	v_cmp_lt_u64_e64 s13, 0xffffff, v[2:3]
	v_add_nc_u32_e32 v8, 7, v13
	v_cndmask_b32_e64 v12, v110, v8, s13
	v_cndmask_b32_e64 v8, 0, 1, s13
	s_delay_alu instid0(VALU_DEP_1)
	v_lshrrev_b64 v[8:9], v8, v[2:3]
; %bb.1314:                             ;   in Loop: Header=BB2_853 Depth=4
	s_and_not1_saveexec_b32 s13, s14
; %bb.1315:                             ;   in Loop: Header=BB2_853 Depth=4
	v_mov_b64_e32 v[8:9], v[2:3]
	v_bfe_u32 v12, v2, 23, 1
; %bb.1316:                             ;   in Loop: Header=BB2_853 Depth=4
	s_or_b32 exec_lo, exec_lo, s13
	s_delay_alu instid0(VALU_DEP_2) | instskip(NEXT) | instid1(VALU_DEP_2)
	v_lshrrev_b64 v[8:9], 20, v[8:9]
	v_cmp_gt_i32_e64 s13, 16, v12
	v_min_i32_e32 v2, 15, v12
	v_cmp_eq_u32_e64 s14, 0, v12
	s_delay_alu instid0(VALU_DEP_2) | instskip(SKIP_1) | instid1(VALU_DEP_2)
	v_dual_cndmask_b32 v9, 0, v9, s13 :: v_dual_lshlrev_b32 v2, 3, v2
	v_cndmask_b32_e64 v8, 7, v8, s13
	v_and_b32_e32 v2, 0xf8, v2
	s_delay_alu instid0(VALU_DEP_2) | instskip(NEXT) | instid1(VALU_DEP_2)
	v_cmp_eq_u64_e64 s13, 0, v[8:9]
	v_and_or_b32 v2, v8, 7, v2
	s_and_b32 s13, s14, s13
	s_delay_alu instid0(VALU_DEP_1) | instid1(SALU_CYCLE_1)
	v_cndmask_b32_e64 v2, v2, 0, s13
	s_delay_alu instid0(VALU_DEP_1)
	v_or_b32_e32 v12, v2, v109
.LBB2_1317:                             ;   in Loop: Header=BB2_853 Depth=4
	s_or_b32 exec_lo, exec_lo, s77
                                        ; implicit-def: $vgpr109
.LBB2_1318:                             ;   in Loop: Header=BB2_853 Depth=4
	s_and_not1_saveexec_b32 s13, s76
; %bb.1319:                             ;   in Loop: Header=BB2_853 Depth=4
	v_or_b32_e32 v12, 0x7e, v109
; %bb.1320:                             ;   in Loop: Header=BB2_853 Depth=4
	s_or_b32 exec_lo, exec_lo, s13
                                        ; implicit-def: $vgpr9
.LBB2_1321:                             ;   in Loop: Header=BB2_853 Depth=4
	s_and_not1_saveexec_b32 s13, s15
; %bb.1322:                             ;   in Loop: Header=BB2_853 Depth=4
	v_or_b32_e32 v12, 0x7f, v9
; %bb.1323:                             ;   in Loop: Header=BB2_853 Depth=4
	s_or_b32 exec_lo, exec_lo, s13
	v_mov_b32_e32 v8, 0
	s_mov_b32 s14, exec_lo
	v_cmpx_lt_u64_e64 s[22:23], v[14:15]
	s_cbranch_execz .LBB2_1331
; %bb.1324:                             ;   in Loop: Header=BB2_853 Depth=4
	v_lshrrev_b32_e32 v9, 24, v15
	v_bfrev_b32_e32 v8, 1
	s_mov_b32 s15, exec_lo
	s_delay_alu instid0(VALU_DEP_2)
	v_cmpx_ne_u32_e32 0x80, v9
	s_cbranch_execz .LBB2_1330
; %bb.1325:                             ;   in Loop: Header=BB2_853 Depth=4
	v_bfe_u32 v13, v15, 24, 7
	v_mov_b32_e32 v8, 0x7f800001
	s_mov_b32 s76, exec_lo
	s_delay_alu instid0(VALU_DEP_2)
	v_cmpx_ne_u32_e32 0x7f, v13
	s_cbranch_execz .LBB2_1329
; %bb.1326:                             ;   in Loop: Header=BB2_853 Depth=4
	v_and_b32_e32 v2, 7, v9
	v_lshrrev_b32_e32 v8, 3, v13
	s_mov_b32 s77, exec_lo
	v_cmpx_gt_u32_e32 8, v13
; %bb.1327:                             ;   in Loop: Header=BB2_853 Depth=4
	s_delay_alu instid0(VALU_DEP_3) | instskip(NEXT) | instid1(VALU_DEP_1)
	v_clz_i32_u32_e32 v8, v2
	v_min_u32_e32 v8, 32, v8
	s_delay_alu instid0(VALU_DEP_1) | instskip(NEXT) | instid1(VALU_DEP_1)
	v_subrev_nc_u32_e32 v13, 28, v8
	v_lshlrev_b64_e32 v[14:15], v13, v[2:3]
	s_delay_alu instid0(VALU_DEP_1)
	v_dual_sub_nc_u32 v8, 29, v8 :: v_dual_bitop2_b32 v2, 7, v14 bitop3:0x40
; %bb.1328:                             ;   in Loop: Header=BB2_853 Depth=4
	s_or_b32 exec_lo, exec_lo, s77
	s_delay_alu instid0(VALU_DEP_1) | instskip(NEXT) | instid1(VALU_DEP_2)
	v_dual_lshlrev_b32 v9, 24, v9 :: v_dual_lshlrev_b32 v2, 20, v2
	v_lshl_add_u32 v8, v8, 23, 0x3c000000
	s_delay_alu instid0(VALU_DEP_2) | instskip(NEXT) | instid1(VALU_DEP_1)
	v_and_b32_e32 v9, 0x80000000, v9
	v_or3_b32 v8, v2, v9, v8
.LBB2_1329:                             ;   in Loop: Header=BB2_853 Depth=4
	s_or_b32 exec_lo, exec_lo, s76
.LBB2_1330:                             ;   in Loop: Header=BB2_853 Depth=4
	s_delay_alu instid0(SALU_CYCLE_1)
	s_or_b32 exec_lo, exec_lo, s15
.LBB2_1331:                             ;   in Loop: Header=BB2_853 Depth=4
	s_delay_alu instid0(SALU_CYCLE_1) | instskip(SKIP_3) | instid1(VALU_DEP_3)
	s_or_b32 exec_lo, exec_lo, s14
	v_lshrrev_b32_e32 v2, 24, v11
	v_bfe_u32 v9, v11, 24, 7
	v_cmp_gt_u64_e64 s15, s[24:25], v[10:11]
	v_cmp_eq_u32_e64 s14, 0x80, v2
	s_delay_alu instid0(VALU_DEP_3) | instskip(NEXT) | instid1(VALU_DEP_2)
	v_cmp_eq_u32_e64 s13, 0x7f, v9
	v_cndmask_b32_e64 v13, 0x7f800001, v77, s14
	s_or_b32 s13, s14, s13
	s_delay_alu instid0(SALU_CYCLE_1) | instskip(NEXT) | instid1(VALU_DEP_1)
	s_nor_b32 s13, s15, s13
	v_cndmask_b32_e64 v10, v13, 0, s15
	s_and_saveexec_b32 s14, s13
	s_cbranch_execz .LBB2_1333
; %bb.1332:                             ;   in Loop: Header=BB2_853 Depth=4
	v_and_b32_e32 v13, 7, v2
	v_cmp_gt_u32_e64 s13, 8, v9
	s_delay_alu instid0(VALU_DEP_2) | instskip(NEXT) | instid1(VALU_DEP_1)
	v_clz_i32_u32_e32 v10, v13
	v_min_u32_e32 v14, 32, v10
	s_delay_alu instid0(VALU_DEP_1) | instskip(NEXT) | instid1(VALU_DEP_1)
	v_subrev_nc_u32_e32 v10, 28, v14
	v_lshlrev_b64_e32 v[10:11], v10, v[2:3]
	s_delay_alu instid0(VALU_DEP_1) | instskip(NEXT) | instid1(VALU_DEP_1)
	v_dual_lshrrev_b32 v11, 3, v9 :: v_dual_bitop2_b32 v9, 7, v10 bitop3:0x40
	v_dual_sub_nc_u32 v14, 29, v14 :: v_dual_cndmask_b32 v9, v13, v9, s13
	v_lshlrev_b32_e32 v2, 24, v2
	s_delay_alu instid0(VALU_DEP_2) | instskip(NEXT) | instid1(VALU_DEP_2)
	v_dual_cndmask_b32 v10, v11, v14, s13 :: v_dual_lshlrev_b32 v9, 20, v9
	v_and_b32_e32 v2, 0x80000000, v2
	s_delay_alu instid0(VALU_DEP_2) | instskip(NEXT) | instid1(VALU_DEP_1)
	v_lshl_add_u32 v10, v10, 23, 0x3c000000
	v_or3_b32 v10, v9, v2, v10
.LBB2_1333:                             ;   in Loop: Header=BB2_853 Depth=4
	s_or_b32 exec_lo, exec_lo, s14
	s_delay_alu instid0(VALU_DEP_1) | instskip(NEXT) | instid1(VALU_DEP_1)
	v_add_f32_e32 v8, v8, v10
	v_and_b32_e32 v2, 0x7f800000, v8
	v_lshrrev_b32_e32 v9, 24, v8
	s_delay_alu instid0(VALU_DEP_2) | instskip(SKIP_1) | instid1(SALU_CYCLE_1)
	v_cmp_ne_u64_e64 s13, 0x7f800000, v[2:3]
                                        ; implicit-def: $vgpr2
	s_and_saveexec_b32 s14, s13
	s_xor_b32 s15, exec_lo, s14
	s_cbranch_execz .LBB2_1347
; %bb.1334:                             ;   in Loop: Header=BB2_853 Depth=4
	v_and_b32_e32 v2, 0x7fffffff, v8
	v_and_b32_e32 v13, 0x80, v9
	s_delay_alu instid0(VALU_DEP_2) | instskip(SKIP_1) | instid1(SALU_CYCLE_1)
	v_cmp_gt_u64_e64 s13, 0x43e00001, v[2:3]
                                        ; implicit-def: $vgpr2
	s_and_saveexec_b32 s14, s13
	s_xor_b32 s76, exec_lo, s14
	s_cbranch_execz .LBB2_1344
; %bb.1335:                             ;   in Loop: Header=BB2_853 Depth=4
	v_mov_b32_e32 v2, 0
	s_mov_b32 s77, exec_lo
	v_cmpx_ne_u32_e32 0, v8
	s_cbranch_execz .LBB2_1343
; %bb.1336:                             ;   in Loop: Header=BB2_853 Depth=4
	v_bfe_u32 v14, v8, 23, 8
	s_delay_alu instid0(VALU_DEP_1) | instskip(SKIP_1) | instid1(VALU_DEP_1)
	v_sub_nc_u32_e32 v2, 0x79, v14
	v_cmp_gt_u32_e64 s13, 0x7a, v14
	v_cndmask_b32_e64 v2, 0, v2, s13
	v_cmp_eq_u32_e64 s13, 0, v14
	s_delay_alu instid0(VALU_DEP_1) | instskip(SKIP_1) | instid1(VALU_DEP_2)
	v_cndmask_b32_e64 v15, v2, 0x78, s13
	v_and_b32_e32 v2, 0x7fffff, v8
	v_add_nc_u32_e32 v8, 20, v15
	s_delay_alu instid0(VALU_DEP_2) | instskip(SKIP_1) | instid1(VALU_DEP_3)
	v_or_b32_e32 v10, 0x800000, v2
	v_add_nc_u32_e32 v11, 19, v15
	v_lshlrev_b64_e64 v[8:9], v8, -1
	s_delay_alu instid0(VALU_DEP_3) | instskip(NEXT) | instid1(VALU_DEP_3)
	v_cndmask_b32_e64 v2, v10, v2, s13
	v_lshlrev_b64_e64 v[10:11], v11, 1
	s_delay_alu instid0(VALU_DEP_3) | instskip(NEXT) | instid1(VALU_DEP_3)
	v_bfi_b32 v19, v9, 0, 0
	v_bfi_b32 v18, v8, 0, v2
	v_lshrrev_b64 v[8:9], v15, v[2:3]
	s_delay_alu instid0(VALU_DEP_2) | instskip(NEXT) | instid1(VALU_DEP_2)
	v_cmp_eq_u64_e64 s14, v[18:19], v[10:11]
	v_mov_b64_e32 v[10:11], v[8:9]
	s_and_saveexec_b32 s78, s14
; %bb.1337:                             ;   in Loop: Header=BB2_853 Depth=4
	v_bfe_u32 v2, v8, 20, 1
	s_delay_alu instid0(VALU_DEP_1) | instskip(NEXT) | instid1(VALU_DEP_1)
	v_add_nc_u64_e32 v[10:11], v[8:9], v[2:3]
	v_add_nc_u64_e32 v[10:11], -1, v[10:11]
; %bb.1338:                             ;   in Loop: Header=BB2_853 Depth=4
	s_or_b32 exec_lo, exec_lo, s78
	v_add_nc_u32_e32 v2, 0xffffff81, v14
	v_lshrrev_b32_e32 v9, 23, v8
	s_mov_b32 s14, exec_lo
	s_delay_alu instid0(VALU_DEP_2) | instskip(NEXT) | instid1(VALU_DEP_1)
	v_cndmask_b32_e64 v2, v2, 0xffffff82, s13
	v_add3_u32 v11, v15, v2, v9
	v_and_b32_e32 v2, 0xfffff, v10
                                        ; implicit-def: $vgpr10
	s_delay_alu instid0(VALU_DEP_1) | instskip(NEXT) | instid1(VALU_DEP_1)
	v_dual_add_nc_u32 v14, 6, v11 :: v_dual_add_nc_u32 v2, v2, v8
                                        ; implicit-def: $vgpr8_vgpr9
	v_cmpx_ne_u32_e32 0, v14
	s_xor_b32 s14, exec_lo, s14
; %bb.1339:                             ;   in Loop: Header=BB2_853 Depth=4
	s_delay_alu instid0(VALU_DEP_2) | instskip(SKIP_1) | instid1(VALU_DEP_1)
	v_cmp_lt_u64_e64 s13, 0xffffff, v[2:3]
	v_add_nc_u32_e32 v8, 7, v11
	v_cndmask_b32_e64 v10, v14, v8, s13
	v_cndmask_b32_e64 v8, 0, 1, s13
	s_delay_alu instid0(VALU_DEP_1)
	v_lshrrev_b64 v[8:9], v8, v[2:3]
; %bb.1340:                             ;   in Loop: Header=BB2_853 Depth=4
	s_and_not1_saveexec_b32 s13, s14
; %bb.1341:                             ;   in Loop: Header=BB2_853 Depth=4
	v_mov_b64_e32 v[8:9], v[2:3]
	v_bfe_u32 v10, v2, 23, 1
; %bb.1342:                             ;   in Loop: Header=BB2_853 Depth=4
	s_or_b32 exec_lo, exec_lo, s13
	s_delay_alu instid0(VALU_DEP_2) | instskip(NEXT) | instid1(VALU_DEP_2)
	v_lshrrev_b64 v[8:9], 20, v[8:9]
	v_cmp_gt_i32_e64 s13, 16, v10
	v_min_i32_e32 v2, 15, v10
	v_cmp_eq_u32_e64 s14, 0, v10
	s_delay_alu instid0(VALU_DEP_2) | instskip(SKIP_1) | instid1(VALU_DEP_2)
	v_dual_cndmask_b32 v9, 0, v9, s13 :: v_dual_lshlrev_b32 v2, 3, v2
	v_cndmask_b32_e64 v8, 7, v8, s13
	v_and_b32_e32 v2, 0xf8, v2
	s_delay_alu instid0(VALU_DEP_2) | instskip(NEXT) | instid1(VALU_DEP_2)
	v_cmp_eq_u64_e64 s13, 0, v[8:9]
	v_and_or_b32 v2, v8, 7, v2
	s_and_b32 s13, s14, s13
	s_delay_alu instid0(VALU_DEP_1) | instid1(SALU_CYCLE_1)
	v_cndmask_b32_e64 v2, v2, 0, s13
	s_delay_alu instid0(VALU_DEP_1)
	v_or_b32_e32 v2, v2, v13
.LBB2_1343:                             ;   in Loop: Header=BB2_853 Depth=4
	s_or_b32 exec_lo, exec_lo, s77
                                        ; implicit-def: $vgpr13
.LBB2_1344:                             ;   in Loop: Header=BB2_853 Depth=4
	s_and_not1_saveexec_b32 s13, s76
; %bb.1345:                             ;   in Loop: Header=BB2_853 Depth=4
	v_or_b32_e32 v2, 0x7e, v13
; %bb.1346:                             ;   in Loop: Header=BB2_853 Depth=4
	s_or_b32 exec_lo, exec_lo, s13
                                        ; implicit-def: $vgpr9
.LBB2_1347:                             ;   in Loop: Header=BB2_853 Depth=4
	s_and_not1_saveexec_b32 s13, s15
	s_cbranch_execz .LBB2_852
; %bb.1348:                             ;   in Loop: Header=BB2_853 Depth=4
	v_or_b32_e32 v2, 0x7f, v9
	s_branch .LBB2_852
.LBB2_1349:                             ;   in Loop: Header=BB2_274 Depth=3
	s_or_b32 exec_lo, exec_lo, s75
.LBB2_1350:                             ;   in Loop: Header=BB2_274 Depth=3
	s_delay_alu instid0(SALU_CYCLE_1) | instskip(SKIP_3) | instid1(VALU_DEP_1)
	s_or_b32 exec_lo, exec_lo, s74
	v_dual_mov_b32 v42, 0 :: v_dual_bitop2_b32 v8, 15, v115 bitop3:0x40
	s_mov_b32 s14, 0
	s_mov_b32 s15, exec_lo
                                        ; implicit-def: $vgpr44
                                        ; implicit-def: $vgpr2
	v_cndmask_b32_e32 v43, v72, v8, vcc_lo
	s_delay_alu instid0(VALU_DEP_1)
	v_cmpx_ne_u32_e32 0, v43
	s_cbranch_execz .LBB2_1352
; %bb.1351:                             ;   in Loop: Header=BB2_274 Depth=3
	v_cmp_lt_i32_e64 s13, 0, v91
	s_mov_b32 s14, exec_lo
	v_sub_nc_u32_e32 v8, v72, v8
	v_cndmask_b32_e64 v2, 0, v36, s13
	s_delay_alu instid0(VALU_DEP_1) | instskip(NEXT) | instid1(VALU_DEP_1)
	v_dual_cndmask_b32 v8, 0, v8, vcc_lo :: v_dual_sub_nc_u32 v2, v2, v91
	v_add3_u32 v42, v73, v63, v8
	s_delay_alu instid0(VALU_DEP_2) | instskip(NEXT) | instid1(VALU_DEP_1)
	v_lshl_add_u32 v44, v2, 5, v90
	v_ashrrev_i32_e32 v2, 31, v44
	s_delay_alu instid0(VALU_DEP_1) | instskip(NEXT) | instid1(VALU_DEP_1)
	v_lshrrev_b32_e32 v2, 27, v2
	v_add_nc_u32_e32 v2, v44, v2
	s_delay_alu instid0(VALU_DEP_1)
	v_ashrrev_i32_e32 v2, 5, v2
.LBB2_1352:                             ;   in Loop: Header=BB2_274 Depth=3
	s_or_b32 exec_lo, exec_lo, s15
	s_delay_alu instid0(SALU_CYCLE_1)
	s_and_b32 s15, s14, exec_lo
.LBB2_1353:                             ;   in Loop: Header=BB2_274 Depth=3
	s_or_b32 exec_lo, exec_lo, s73
	s_and_saveexec_b32 s14, s15
	s_cbranch_execz .LBB2_1686
.LBB2_1354:                             ;   in Loop: Header=BB2_274 Depth=3
	v_ashrrev_i32_e32 v8, 31, v43
	s_mov_b32 s15, exec_lo
	s_delay_alu instid0(VALU_DEP_1) | instskip(NEXT) | instid1(VALU_DEP_1)
	v_lshrrev_b32_e32 v8, 24, v8
	v_add_nc_u32_e32 v8, v43, v8
	s_delay_alu instid0(VALU_DEP_1) | instskip(SKIP_1) | instid1(VALU_DEP_1)
	v_ashrrev_i32_e32 v46, 8, v8
	v_ashrrev_i32_e32 v8, 31, v44
	v_dual_lshrrev_b32 v45, 27, v8 :: v_dual_sub_nc_u32 v115, v46, v2
	s_delay_alu instid0(VALU_DEP_1)
	v_cmpx_lt_i32_e32 0, v115
	s_cbranch_execz .LBB2_1646
; %bb.1355:                             ;   in Loop: Header=BB2_274 Depth=3
	s_delay_alu instid0(VALU_DEP_2)
	v_dual_add_nc_u32 v8, v44, v45 :: v_dual_lshlrev_b32 v2, 8, v2
	s_trap 2
	ds_load_b64 v[10:11], v0
	v_add_nc_u64_e32 v[14:15], 0xe0, v[40:41]
	v_and_b32_e32 v8, 0xffffffe0, v8
	s_mov_b32 s73, 0
	s_delay_alu instid0(VALU_DEP_1) | instskip(NEXT) | instid1(VALU_DEP_1)
	v_sub_nc_u32_e32 v8, v44, v8
	v_add3_u32 v12, v42, v8, v2
	s_delay_alu instid0(VALU_DEP_1) | instskip(NEXT) | instid1(VALU_DEP_1)
	v_ashrrev_i32_e32 v13, 31, v12
	v_add_nc_u64_e32 v[8:9], v[12:13], v[118:119]
	s_wait_dscnt 0x0
	v_add_nc_u64_e32 v[10:11], v[10:11], v[12:13]
	v_add_nc_u64_e32 v[12:13], v[14:15], v[12:13]
	s_branch .LBB2_1357
.LBB2_1356:                             ;   in Loop: Header=BB2_1357 Depth=4
	s_or_b32 exec_lo, exec_lo, s13
	v_sub_nc_u32_e32 v115, v115, v36
	s_clause 0x7
	flat_store_b8 v[12:13], v41 offset:-224 th:TH_STORE_NT
	flat_store_b8 v[12:13], v57 offset:-192 th:TH_STORE_NT
	;; [unrolled: 1-line block ×7, first 2 shown]
	flat_store_b8 v[12:13], v2 th:TH_STORE_NT
	v_add_nc_u64_e32 v[8:9], v[8:9], v[68:69]
	v_add_nc_u64_e32 v[10:11], v[10:11], v[68:69]
	s_wait_xcnt 0x0
	v_add_nc_u64_e32 v[12:13], v[12:13], v[68:69]
	v_cmp_gt_i32_e32 vcc_lo, 1, v115
	s_or_b32 s73, vcc_lo, s73
	s_delay_alu instid0(SALU_CYCLE_1)
	s_and_not1_b32 exec_lo, exec_lo, s73
	s_cbranch_execz .LBB2_1645
.LBB2_1357:                             ;   Parent Loop BB2_47 Depth=1
                                        ;     Parent Loop BB2_271 Depth=2
                                        ;       Parent Loop BB2_274 Depth=3
                                        ; =>      This Inner Loop Header: Depth=4
	s_clause 0x7
	flat_load_u8 v119, v[8:9] th:TH_LOAD_NT
	flat_load_u8 v92, v[8:9] offset:32 th:TH_LOAD_NT
	flat_load_u8 v91, v[8:9] offset:64 th:TH_LOAD_NT
	;; [unrolled: 1-line block ×7, first 2 shown]
	s_clause 0x7
	flat_load_u8 v14, v[10:11] th:TH_LOAD_NT
	flat_load_u8 v57, v[10:11] offset:32 th:TH_LOAD_NT
	flat_load_u8 v60, v[10:11] offset:64 th:TH_LOAD_NT
	;; [unrolled: 1-line block ×7, first 2 shown]
	v_dual_mov_b32 v15, 0 :: v_dual_mov_b32 v118, 0
	s_mov_b32 s13, exec_lo
	s_wait_loadcnt_dscnt 0xf0f
	s_wait_xcnt 0x0
	v_cmpx_ne_u16_e32 0, v119
	s_cbranch_execz .LBB2_1365
; %bb.1358:                             ;   in Loop: Header=BB2_1357 Depth=4
	v_bfrev_b32_e32 v118, 1
	s_mov_b32 s74, exec_lo
	v_cmpx_ne_u16_e32 0x80, v119
	s_cbranch_execz .LBB2_1364
; %bb.1359:                             ;   in Loop: Header=BB2_1357 Depth=4
	v_and_b32_e32 v2, 0xffff, v119
	v_mov_b32_e32 v118, 0x7f800001
	s_mov_b32 s75, exec_lo
	s_delay_alu instid0(VALU_DEP_2) | instskip(NEXT) | instid1(VALU_DEP_1)
	v_and_b32_e32 v41, 0x7f, v2
	v_cmpx_ne_u32_e32 0x7f, v41
	s_cbranch_execz .LBB2_1363
; %bb.1360:                             ;   in Loop: Header=BB2_1357 Depth=4
	v_dual_lshrrev_b32 v118, 3, v41 :: v_dual_bitop2_b32 v2, 7, v2 bitop3:0x40
	s_mov_b32 s76, exec_lo
	v_cmpx_gt_u32_e32 8, v41
; %bb.1361:                             ;   in Loop: Header=BB2_1357 Depth=4
	s_delay_alu instid0(VALU_DEP_2) | instskip(NEXT) | instid1(VALU_DEP_1)
	v_clz_i32_u32_e32 v18, v2
	v_min_u32_e32 v118, 32, v18
	s_delay_alu instid0(VALU_DEP_1) | instskip(SKIP_1) | instid1(VALU_DEP_2)
	v_subrev_nc_u32_e32 v18, 28, v118
	v_sub_nc_u32_e32 v118, 29, v118
	v_lshlrev_b64_e32 v[18:19], v18, v[2:3]
	s_delay_alu instid0(VALU_DEP_1)
	v_and_b32_e32 v2, 7, v18
; %bb.1362:                             ;   in Loop: Header=BB2_1357 Depth=4
	s_or_b32 exec_lo, exec_lo, s76
	s_delay_alu instid0(VALU_DEP_1) | instskip(SKIP_1) | instid1(VALU_DEP_2)
	v_dual_lshlrev_b32 v18, 24, v119 :: v_dual_lshlrev_b32 v2, 20, v2
	v_lshl_add_u32 v19, v118, 23, 0x3c000000
	v_and_b32_e32 v18, 0x80000000, v18
	s_delay_alu instid0(VALU_DEP_1)
	v_or3_b32 v118, v2, v18, v19
.LBB2_1363:                             ;   in Loop: Header=BB2_1357 Depth=4
	s_or_b32 exec_lo, exec_lo, s75
.LBB2_1364:                             ;   in Loop: Header=BB2_1357 Depth=4
	s_delay_alu instid0(SALU_CYCLE_1)
	s_or_b32 exec_lo, exec_lo, s74
.LBB2_1365:                             ;   in Loop: Header=BB2_1357 Depth=4
	s_delay_alu instid0(SALU_CYCLE_1) | instskip(SKIP_3) | instid1(VALU_DEP_1)
	s_or_b32 exec_lo, exec_lo, s13
	s_wait_loadcnt_dscnt 0x707
	v_and_b32_e32 v2, 0xff, v14
	s_mov_b32 s13, exec_lo
	v_cmpx_ne_u16_e32 0, v2
	s_cbranch_execz .LBB2_1373
; %bb.1366:                             ;   in Loop: Header=BB2_1357 Depth=4
	v_bfrev_b32_e32 v15, 1
	s_mov_b32 s74, exec_lo
	v_cmpx_ne_u16_e32 0x80, v2
	s_cbranch_execz .LBB2_1372
; %bb.1367:                             ;   in Loop: Header=BB2_1357 Depth=4
	v_and_b32_e32 v119, 0x7f, v14
	v_mov_b32_e32 v15, 0x7f800001
	s_mov_b32 s75, exec_lo
	s_delay_alu instid0(VALU_DEP_2)
	v_cmpx_ne_u32_e32 0x7f, v119
	s_cbranch_execz .LBB2_1371
; %bb.1368:                             ;   in Loop: Header=BB2_1357 Depth=4
	v_dual_lshrrev_b32 v15, 3, v119 :: v_dual_bitop2_b32 v2, 7, v2 bitop3:0x40
	s_mov_b32 s76, exec_lo
	v_cmpx_gt_u32_e32 8, v119
; %bb.1369:                             ;   in Loop: Header=BB2_1357 Depth=4
	s_delay_alu instid0(VALU_DEP_2) | instskip(NEXT) | instid1(VALU_DEP_1)
	v_clz_i32_u32_e32 v15, v2
	v_min_u32_e32 v15, 32, v15
	s_delay_alu instid0(VALU_DEP_1) | instskip(NEXT) | instid1(VALU_DEP_1)
	v_subrev_nc_u32_e32 v18, 28, v15
	v_lshlrev_b64_e32 v[18:19], v18, v[2:3]
	s_delay_alu instid0(VALU_DEP_1)
	v_dual_sub_nc_u32 v15, 29, v15 :: v_dual_bitop2_b32 v2, 7, v18 bitop3:0x40
; %bb.1370:                             ;   in Loop: Header=BB2_1357 Depth=4
	s_or_b32 exec_lo, exec_lo, s76
	v_lshlrev_b32_e32 v14, 24, v14
	s_delay_alu instid0(VALU_DEP_2) | instskip(NEXT) | instid1(VALU_DEP_3)
	v_lshlrev_b32_e32 v2, 20, v2
	v_lshl_add_u32 v15, v15, 23, 0x3c000000
	s_delay_alu instid0(VALU_DEP_3) | instskip(NEXT) | instid1(VALU_DEP_1)
	v_and_b32_e32 v14, 0x80000000, v14
	v_or3_b32 v15, v2, v14, v15
.LBB2_1371:                             ;   in Loop: Header=BB2_1357 Depth=4
	s_or_b32 exec_lo, exec_lo, s75
.LBB2_1372:                             ;   in Loop: Header=BB2_1357 Depth=4
	s_delay_alu instid0(SALU_CYCLE_1)
	s_or_b32 exec_lo, exec_lo, s74
.LBB2_1373:                             ;   in Loop: Header=BB2_1357 Depth=4
	s_delay_alu instid0(SALU_CYCLE_1) | instskip(NEXT) | instid1(VALU_DEP_1)
	s_or_b32 exec_lo, exec_lo, s13
	v_add_f32_e32 v14, v118, v15
                                        ; implicit-def: $vgpr41
	s_mov_b32 s13, exec_lo
	s_delay_alu instid0(VALU_DEP_1) | instskip(SKIP_1) | instid1(VALU_DEP_2)
	v_and_b32_e32 v2, 0x7f800000, v14
	v_lshrrev_b32_e32 v15, 24, v14
	v_cmpx_ne_u64_e32 0x7f800000, v[2:3]
	s_xor_b32 s74, exec_lo, s13
	s_cbranch_execz .LBB2_1391
; %bb.1374:                             ;   in Loop: Header=BB2_1357 Depth=4
	v_and_b32_e32 v2, 0x7fffffff, v14
	v_and_b32_e32 v93, 0x80, v15
                                        ; implicit-def: $vgpr41
	s_mov_b32 s13, exec_lo
	s_delay_alu instid0(VALU_DEP_2)
	v_cmpx_gt_u64_e32 0x43e00001, v[2:3]
	s_xor_b32 s75, exec_lo, s13
	s_cbranch_execz .LBB2_1388
; %bb.1375:                             ;   in Loop: Header=BB2_1357 Depth=4
	v_mov_b32_e32 v41, 0
	s_mov_b32 s76, exec_lo
	v_cmpx_ne_u32_e32 0, v14
	s_cbranch_execz .LBB2_1387
; %bb.1376:                             ;   in Loop: Header=BB2_1357 Depth=4
	v_bfe_u32 v41, v14, 23, 8
	s_delay_alu instid0(VALU_DEP_1) | instskip(SKIP_1) | instid1(VALU_DEP_2)
	v_sub_nc_u32_e32 v2, 0x79, v41
	v_cmp_gt_u32_e32 vcc_lo, 0x7a, v41
	v_cndmask_b32_e32 v2, 0, v2, vcc_lo
	v_cmp_eq_u32_e32 vcc_lo, 0, v41
	s_delay_alu instid0(VALU_DEP_2) | instskip(SKIP_1) | instid1(VALU_DEP_2)
	v_cndmask_b32_e64 v94, v2, 0x78, vcc_lo
	v_and_b32_e32 v2, 0x7fffff, v14
	v_dual_add_nc_u32 v14, 20, v94 :: v_dual_add_nc_u32 v19, 19, v94
	s_delay_alu instid0(VALU_DEP_2) | instskip(NEXT) | instid1(VALU_DEP_2)
	v_or_b32_e32 v18, 0x800000, v2
	v_lshlrev_b64_e64 v[14:15], v14, -1
	s_delay_alu instid0(VALU_DEP_2) | instskip(NEXT) | instid1(VALU_DEP_4)
	v_cndmask_b32_e32 v2, v18, v2, vcc_lo
	v_lshlrev_b64_e64 v[18:19], v19, 1
	s_delay_alu instid0(VALU_DEP_3) | instskip(NEXT) | instid1(VALU_DEP_3)
	v_bfi_b32 v119, v15, 0, 0
	v_bfi_b32 v118, v14, 0, v2
	v_lshrrev_b64 v[14:15], v94, v[2:3]
	s_delay_alu instid0(VALU_DEP_2) | instskip(NEXT) | instid1(VALU_DEP_2)
	v_cmp_eq_u64_e64 s13, v[118:119], v[18:19]
	v_mov_b64_e32 v[118:119], v[14:15]
	s_and_saveexec_b32 s77, s13
; %bb.1377:                             ;   in Loop: Header=BB2_1357 Depth=4
	v_bfe_u32 v2, v14, 20, 1
	s_delay_alu instid0(VALU_DEP_1) | instskip(NEXT) | instid1(VALU_DEP_1)
	v_add_nc_u64_e32 v[18:19], v[14:15], v[2:3]
	v_add_nc_u64_e32 v[118:119], -1, v[18:19]
; %bb.1378:                             ;   in Loop: Header=BB2_1357 Depth=4
	s_or_b32 exec_lo, exec_lo, s77
	v_add_nc_u32_e32 v2, 0xffffff81, v41
	v_lshrrev_b32_e32 v15, 23, v14
	s_mov_b32 s13, exec_lo
	s_delay_alu instid0(VALU_DEP_2) | instskip(NEXT) | instid1(VALU_DEP_1)
	v_cndmask_b32_e64 v2, v2, 0xffffff82, vcc_lo
	v_add3_u32 v119, v94, v2, v15
	v_and_b32_e32 v2, 0xfffff, v118
                                        ; implicit-def: $vgpr118
	s_delay_alu instid0(VALU_DEP_1) | instskip(NEXT) | instid1(VALU_DEP_1)
	v_dual_add_nc_u32 v41, 6, v119 :: v_dual_add_nc_u32 v2, v2, v14
                                        ; implicit-def: $vgpr14_vgpr15
	v_cmpx_ne_u32_e32 0, v41
	s_xor_b32 s13, exec_lo, s13
; %bb.1379:                             ;   in Loop: Header=BB2_1357 Depth=4
	s_delay_alu instid0(VALU_DEP_2) | instskip(SKIP_1) | instid1(VALU_DEP_1)
	v_cmp_lt_u64_e32 vcc_lo, 0xffffff, v[2:3]
	v_add_nc_u32_e32 v14, 7, v119
	v_cndmask_b32_e32 v118, v41, v14, vcc_lo
	v_cndmask_b32_e64 v14, 0, 1, vcc_lo
	s_delay_alu instid0(VALU_DEP_1)
	v_lshrrev_b64 v[14:15], v14, v[2:3]
; %bb.1380:                             ;   in Loop: Header=BB2_1357 Depth=4
	s_and_not1_saveexec_b32 s13, s13
; %bb.1381:                             ;   in Loop: Header=BB2_1357 Depth=4
	v_mov_b64_e32 v[14:15], v[2:3]
	v_bfe_u32 v118, v2, 23, 1
; %bb.1382:                             ;   in Loop: Header=BB2_1357 Depth=4
	s_or_b32 exec_lo, exec_lo, s13
	s_delay_alu instid0(VALU_DEP_2) | instskip(NEXT) | instid1(VALU_DEP_2)
	v_lshrrev_b64 v[14:15], 20, v[14:15]
	v_cmp_gt_i32_e32 vcc_lo, 16, v118
	v_cmp_ne_u32_e64 s13, 0, v118
                                        ; implicit-def: $vgpr41
	s_delay_alu instid0(VALU_DEP_3) | instskip(NEXT) | instid1(VALU_DEP_1)
	v_dual_cndmask_b32 v15, 0, v15 :: v_dual_cndmask_b32 v14, 7, v14
	v_cmp_ne_u64_e32 vcc_lo, 0, v[14:15]
	s_or_b32 s13, s13, vcc_lo
	s_delay_alu instid0(SALU_CYCLE_1) | instskip(NEXT) | instid1(SALU_CYCLE_1)
	s_and_saveexec_b32 s77, s13
	s_xor_b32 s13, exec_lo, s77
; %bb.1383:                             ;   in Loop: Header=BB2_1357 Depth=4
	v_min_i32_e32 v2, 15, v118
	s_delay_alu instid0(VALU_DEP_1) | instskip(NEXT) | instid1(VALU_DEP_1)
	v_lshl_or_b32 v2, v2, 3, v93
                                        ; implicit-def: $vgpr93
	v_and_or_b32 v41, v14, 7, v2
; %bb.1384:                             ;   in Loop: Header=BB2_1357 Depth=4
	s_and_not1_saveexec_b32 s13, s13
; %bb.1385:                             ;   in Loop: Header=BB2_1357 Depth=4
	v_mov_b32_e32 v41, v93
; %bb.1386:                             ;   in Loop: Header=BB2_1357 Depth=4
	s_or_b32 exec_lo, exec_lo, s13
.LBB2_1387:                             ;   in Loop: Header=BB2_1357 Depth=4
	s_delay_alu instid0(SALU_CYCLE_1)
	s_or_b32 exec_lo, exec_lo, s76
                                        ; implicit-def: $vgpr93
.LBB2_1388:                             ;   in Loop: Header=BB2_1357 Depth=4
	s_and_not1_saveexec_b32 s13, s75
; %bb.1389:                             ;   in Loop: Header=BB2_1357 Depth=4
	v_or_b32_e32 v41, 0x7e, v93
; %bb.1390:                             ;   in Loop: Header=BB2_1357 Depth=4
	s_or_b32 exec_lo, exec_lo, s13
                                        ; implicit-def: $vgpr15
.LBB2_1391:                             ;   in Loop: Header=BB2_1357 Depth=4
	s_and_not1_saveexec_b32 s13, s74
; %bb.1392:                             ;   in Loop: Header=BB2_1357 Depth=4
	v_or_b32_e32 v41, 0x7f, v15
; %bb.1393:                             ;   in Loop: Header=BB2_1357 Depth=4
	s_or_b32 exec_lo, exec_lo, s13
	v_and_b32_e32 v2, 0xff, v92
	v_dual_mov_b32 v14, 0 :: v_dual_mov_b32 v15, 0
	s_mov_b32 s13, exec_lo
	s_delay_alu instid0(VALU_DEP_2)
	v_cmpx_ne_u16_e32 0, v2
	s_cbranch_execz .LBB2_1401
; %bb.1394:                             ;   in Loop: Header=BB2_1357 Depth=4
	v_bfrev_b32_e32 v15, 1
	s_mov_b32 s74, exec_lo
	v_cmpx_ne_u16_e32 0x80, v2
	s_cbranch_execz .LBB2_1400
; %bb.1395:                             ;   in Loop: Header=BB2_1357 Depth=4
	v_and_b32_e32 v118, 0x7f, v92
	v_mov_b32_e32 v15, 0x7f800001
	s_mov_b32 s75, exec_lo
	s_delay_alu instid0(VALU_DEP_2)
	v_cmpx_ne_u32_e32 0x7f, v118
	s_cbranch_execz .LBB2_1399
; %bb.1396:                             ;   in Loop: Header=BB2_1357 Depth=4
	v_and_b32_e32 v2, 7, v2
	v_lshrrev_b32_e32 v15, 3, v118
	s_mov_b32 s76, exec_lo
	v_cmpx_gt_u32_e32 8, v118
; %bb.1397:                             ;   in Loop: Header=BB2_1357 Depth=4
	s_delay_alu instid0(VALU_DEP_3) | instskip(NEXT) | instid1(VALU_DEP_1)
	v_clz_i32_u32_e32 v15, v2
	v_min_u32_e32 v15, 32, v15
	s_delay_alu instid0(VALU_DEP_1) | instskip(NEXT) | instid1(VALU_DEP_1)
	v_subrev_nc_u32_e32 v18, 28, v15
	v_lshlrev_b64_e32 v[18:19], v18, v[2:3]
	s_delay_alu instid0(VALU_DEP_1)
	v_dual_sub_nc_u32 v15, 29, v15 :: v_dual_bitop2_b32 v2, 7, v18 bitop3:0x40
; %bb.1398:                             ;   in Loop: Header=BB2_1357 Depth=4
	s_or_b32 exec_lo, exec_lo, s76
	s_delay_alu instid0(VALU_DEP_1) | instskip(NEXT) | instid1(VALU_DEP_2)
	v_dual_lshlrev_b32 v18, 24, v92 :: v_dual_lshlrev_b32 v2, 20, v2
	v_lshl_add_u32 v15, v15, 23, 0x3c000000
	s_delay_alu instid0(VALU_DEP_2) | instskip(NEXT) | instid1(VALU_DEP_1)
	v_and_b32_e32 v18, 0x80000000, v18
	v_or3_b32 v15, v2, v18, v15
.LBB2_1399:                             ;   in Loop: Header=BB2_1357 Depth=4
	s_or_b32 exec_lo, exec_lo, s75
.LBB2_1400:                             ;   in Loop: Header=BB2_1357 Depth=4
	s_delay_alu instid0(SALU_CYCLE_1)
	s_or_b32 exec_lo, exec_lo, s74
.LBB2_1401:                             ;   in Loop: Header=BB2_1357 Depth=4
	s_delay_alu instid0(SALU_CYCLE_1) | instskip(SKIP_3) | instid1(VALU_DEP_1)
	s_or_b32 exec_lo, exec_lo, s13
	s_wait_loadcnt_dscnt 0x606
	v_and_b32_e32 v2, 0xff, v57
	s_mov_b32 s13, exec_lo
	v_cmpx_ne_u16_e32 0, v2
	s_cbranch_execz .LBB2_1409
; %bb.1402:                             ;   in Loop: Header=BB2_1357 Depth=4
	v_bfrev_b32_e32 v14, 1
	s_mov_b32 s74, exec_lo
	v_cmpx_ne_u16_e32 0x80, v2
	s_cbranch_execz .LBB2_1408
; %bb.1403:                             ;   in Loop: Header=BB2_1357 Depth=4
	v_and_b32_e32 v118, 0x7f, v57
	v_mov_b32_e32 v14, 0x7f800001
	s_mov_b32 s75, exec_lo
	s_delay_alu instid0(VALU_DEP_2)
	v_cmpx_ne_u32_e32 0x7f, v118
	s_cbranch_execz .LBB2_1407
; %bb.1404:                             ;   in Loop: Header=BB2_1357 Depth=4
	v_and_b32_e32 v2, 7, v2
	v_lshrrev_b32_e32 v14, 3, v118
	s_mov_b32 s76, exec_lo
	v_cmpx_gt_u32_e32 8, v118
; %bb.1405:                             ;   in Loop: Header=BB2_1357 Depth=4
	s_delay_alu instid0(VALU_DEP_3) | instskip(NEXT) | instid1(VALU_DEP_1)
	v_clz_i32_u32_e32 v14, v2
	v_min_u32_e32 v14, 32, v14
	s_delay_alu instid0(VALU_DEP_1) | instskip(SKIP_1) | instid1(VALU_DEP_2)
	v_subrev_nc_u32_e32 v18, 28, v14
	v_sub_nc_u32_e32 v14, 29, v14
	v_lshlrev_b64_e32 v[18:19], v18, v[2:3]
	s_delay_alu instid0(VALU_DEP_1)
	v_and_b32_e32 v2, 7, v18
; %bb.1406:                             ;   in Loop: Header=BB2_1357 Depth=4
	s_or_b32 exec_lo, exec_lo, s76
	s_delay_alu instid0(VALU_DEP_1) | instskip(SKIP_1) | instid1(VALU_DEP_2)
	v_dual_lshlrev_b32 v18, 24, v57 :: v_dual_lshlrev_b32 v2, 20, v2
	v_lshl_add_u32 v14, v14, 23, 0x3c000000
	v_and_b32_e32 v18, 0x80000000, v18
	s_delay_alu instid0(VALU_DEP_1)
	v_or3_b32 v14, v2, v18, v14
.LBB2_1407:                             ;   in Loop: Header=BB2_1357 Depth=4
	s_or_b32 exec_lo, exec_lo, s75
.LBB2_1408:                             ;   in Loop: Header=BB2_1357 Depth=4
	s_delay_alu instid0(SALU_CYCLE_1)
	s_or_b32 exec_lo, exec_lo, s74
.LBB2_1409:                             ;   in Loop: Header=BB2_1357 Depth=4
	s_delay_alu instid0(SALU_CYCLE_1) | instskip(NEXT) | instid1(VALU_DEP_1)
	s_or_b32 exec_lo, exec_lo, s13
	v_add_f32_e32 v14, v15, v14
                                        ; implicit-def: $vgpr57
	s_mov_b32 s13, exec_lo
	s_delay_alu instid0(VALU_DEP_1) | instskip(SKIP_1) | instid1(VALU_DEP_2)
	v_and_b32_e32 v2, 0x7f800000, v14
	v_lshrrev_b32_e32 v15, 24, v14
	v_cmpx_ne_u64_e32 0x7f800000, v[2:3]
	s_xor_b32 s74, exec_lo, s13
	s_cbranch_execz .LBB2_1427
; %bb.1410:                             ;   in Loop: Header=BB2_1357 Depth=4
	v_and_b32_e32 v2, 0x7fffffff, v14
	v_and_b32_e32 v92, 0x80, v15
                                        ; implicit-def: $vgpr57
	s_mov_b32 s13, exec_lo
	s_delay_alu instid0(VALU_DEP_2)
	v_cmpx_gt_u64_e32 0x43e00001, v[2:3]
	s_xor_b32 s75, exec_lo, s13
	s_cbranch_execz .LBB2_1424
; %bb.1411:                             ;   in Loop: Header=BB2_1357 Depth=4
	v_mov_b32_e32 v57, 0
	s_mov_b32 s76, exec_lo
	v_cmpx_ne_u32_e32 0, v14
	s_cbranch_execz .LBB2_1423
; %bb.1412:                             ;   in Loop: Header=BB2_1357 Depth=4
	v_bfe_u32 v57, v14, 23, 8
	s_delay_alu instid0(VALU_DEP_1) | instskip(SKIP_1) | instid1(VALU_DEP_2)
	v_sub_nc_u32_e32 v2, 0x79, v57
	v_cmp_gt_u32_e32 vcc_lo, 0x7a, v57
	v_cndmask_b32_e32 v2, 0, v2, vcc_lo
	v_cmp_eq_u32_e32 vcc_lo, 0, v57
	s_delay_alu instid0(VALU_DEP_2) | instskip(SKIP_1) | instid1(VALU_DEP_2)
	v_cndmask_b32_e64 v93, v2, 0x78, vcc_lo
	v_and_b32_e32 v2, 0x7fffff, v14
	v_add_nc_u32_e32 v14, 20, v93
	s_delay_alu instid0(VALU_DEP_2) | instskip(SKIP_1) | instid1(VALU_DEP_3)
	v_or_b32_e32 v18, 0x800000, v2
	v_add_nc_u32_e32 v19, 19, v93
	v_lshlrev_b64_e64 v[14:15], v14, -1
	s_delay_alu instid0(VALU_DEP_3) | instskip(NEXT) | instid1(VALU_DEP_3)
	v_cndmask_b32_e32 v2, v18, v2, vcc_lo
	v_lshlrev_b64_e64 v[18:19], v19, 1
	s_delay_alu instid0(VALU_DEP_3) | instskip(NEXT) | instid1(VALU_DEP_3)
	v_bfi_b32 v119, v15, 0, 0
	v_bfi_b32 v118, v14, 0, v2
	v_lshrrev_b64 v[14:15], v93, v[2:3]
	s_delay_alu instid0(VALU_DEP_2) | instskip(NEXT) | instid1(VALU_DEP_2)
	v_cmp_eq_u64_e64 s13, v[118:119], v[18:19]
	v_mov_b64_e32 v[118:119], v[14:15]
	s_and_saveexec_b32 s77, s13
; %bb.1413:                             ;   in Loop: Header=BB2_1357 Depth=4
	v_bfe_u32 v2, v14, 20, 1
	s_delay_alu instid0(VALU_DEP_1) | instskip(NEXT) | instid1(VALU_DEP_1)
	v_add_nc_u64_e32 v[18:19], v[14:15], v[2:3]
	v_add_nc_u64_e32 v[118:119], -1, v[18:19]
; %bb.1414:                             ;   in Loop: Header=BB2_1357 Depth=4
	s_or_b32 exec_lo, exec_lo, s77
	v_add_nc_u32_e32 v2, 0xffffff81, v57
	v_lshrrev_b32_e32 v15, 23, v14
	s_mov_b32 s13, exec_lo
	s_delay_alu instid0(VALU_DEP_2) | instskip(NEXT) | instid1(VALU_DEP_1)
	v_cndmask_b32_e64 v2, v2, 0xffffff82, vcc_lo
	v_add3_u32 v119, v93, v2, v15
	v_and_b32_e32 v2, 0xfffff, v118
                                        ; implicit-def: $vgpr118
	s_delay_alu instid0(VALU_DEP_1) | instskip(NEXT) | instid1(VALU_DEP_1)
	v_dual_add_nc_u32 v57, 6, v119 :: v_dual_add_nc_u32 v2, v2, v14
                                        ; implicit-def: $vgpr14_vgpr15
	v_cmpx_ne_u32_e32 0, v57
	s_xor_b32 s13, exec_lo, s13
; %bb.1415:                             ;   in Loop: Header=BB2_1357 Depth=4
	s_delay_alu instid0(VALU_DEP_2) | instskip(SKIP_1) | instid1(VALU_DEP_1)
	v_cmp_lt_u64_e32 vcc_lo, 0xffffff, v[2:3]
	v_add_nc_u32_e32 v14, 7, v119
	v_cndmask_b32_e32 v118, v57, v14, vcc_lo
	v_cndmask_b32_e64 v14, 0, 1, vcc_lo
	s_delay_alu instid0(VALU_DEP_1)
	v_lshrrev_b64 v[14:15], v14, v[2:3]
; %bb.1416:                             ;   in Loop: Header=BB2_1357 Depth=4
	s_and_not1_saveexec_b32 s13, s13
; %bb.1417:                             ;   in Loop: Header=BB2_1357 Depth=4
	v_mov_b64_e32 v[14:15], v[2:3]
	v_bfe_u32 v118, v2, 23, 1
; %bb.1418:                             ;   in Loop: Header=BB2_1357 Depth=4
	s_or_b32 exec_lo, exec_lo, s13
	s_delay_alu instid0(VALU_DEP_2) | instskip(NEXT) | instid1(VALU_DEP_2)
	v_lshrrev_b64 v[14:15], 20, v[14:15]
	v_cmp_gt_i32_e32 vcc_lo, 16, v118
	v_cmp_ne_u32_e64 s13, 0, v118
                                        ; implicit-def: $vgpr57
	s_delay_alu instid0(VALU_DEP_3) | instskip(NEXT) | instid1(VALU_DEP_1)
	v_dual_cndmask_b32 v15, 0, v15 :: v_dual_cndmask_b32 v14, 7, v14
	v_cmp_ne_u64_e32 vcc_lo, 0, v[14:15]
	s_or_b32 s13, s13, vcc_lo
	s_delay_alu instid0(SALU_CYCLE_1) | instskip(NEXT) | instid1(SALU_CYCLE_1)
	s_and_saveexec_b32 s77, s13
	s_xor_b32 s13, exec_lo, s77
; %bb.1419:                             ;   in Loop: Header=BB2_1357 Depth=4
	v_min_i32_e32 v2, 15, v118
	s_delay_alu instid0(VALU_DEP_1) | instskip(NEXT) | instid1(VALU_DEP_1)
	v_lshl_or_b32 v2, v2, 3, v92
                                        ; implicit-def: $vgpr92
	v_and_or_b32 v57, v14, 7, v2
; %bb.1420:                             ;   in Loop: Header=BB2_1357 Depth=4
	s_and_not1_saveexec_b32 s13, s13
; %bb.1421:                             ;   in Loop: Header=BB2_1357 Depth=4
	v_mov_b32_e32 v57, v92
; %bb.1422:                             ;   in Loop: Header=BB2_1357 Depth=4
	s_or_b32 exec_lo, exec_lo, s13
.LBB2_1423:                             ;   in Loop: Header=BB2_1357 Depth=4
	s_delay_alu instid0(SALU_CYCLE_1)
	s_or_b32 exec_lo, exec_lo, s76
                                        ; implicit-def: $vgpr92
.LBB2_1424:                             ;   in Loop: Header=BB2_1357 Depth=4
	s_and_not1_saveexec_b32 s13, s75
; %bb.1425:                             ;   in Loop: Header=BB2_1357 Depth=4
	v_or_b32_e32 v57, 0x7e, v92
; %bb.1426:                             ;   in Loop: Header=BB2_1357 Depth=4
	s_or_b32 exec_lo, exec_lo, s13
                                        ; implicit-def: $vgpr15
.LBB2_1427:                             ;   in Loop: Header=BB2_1357 Depth=4
	s_and_not1_saveexec_b32 s13, s74
; %bb.1428:                             ;   in Loop: Header=BB2_1357 Depth=4
	v_or_b32_e32 v57, 0x7f, v15
; %bb.1429:                             ;   in Loop: Header=BB2_1357 Depth=4
	s_or_b32 exec_lo, exec_lo, s13
	v_and_b32_e32 v2, 0xff, v91
	v_dual_mov_b32 v14, 0 :: v_dual_mov_b32 v15, 0
	s_mov_b32 s13, exec_lo
	s_delay_alu instid0(VALU_DEP_2)
	v_cmpx_ne_u16_e32 0, v2
	s_cbranch_execz .LBB2_1437
; %bb.1430:                             ;   in Loop: Header=BB2_1357 Depth=4
	v_bfrev_b32_e32 v15, 1
	s_mov_b32 s74, exec_lo
	v_cmpx_ne_u16_e32 0x80, v2
	s_cbranch_execz .LBB2_1436
; %bb.1431:                             ;   in Loop: Header=BB2_1357 Depth=4
	v_and_b32_e32 v118, 0x7f, v91
	v_mov_b32_e32 v15, 0x7f800001
	s_mov_b32 s75, exec_lo
	s_delay_alu instid0(VALU_DEP_2)
	v_cmpx_ne_u32_e32 0x7f, v118
	s_cbranch_execz .LBB2_1435
; %bb.1432:                             ;   in Loop: Header=BB2_1357 Depth=4
	v_and_b32_e32 v2, 7, v2
	v_lshrrev_b32_e32 v15, 3, v118
	s_mov_b32 s76, exec_lo
	v_cmpx_gt_u32_e32 8, v118
; %bb.1433:                             ;   in Loop: Header=BB2_1357 Depth=4
	s_delay_alu instid0(VALU_DEP_3) | instskip(NEXT) | instid1(VALU_DEP_1)
	v_clz_i32_u32_e32 v15, v2
	v_min_u32_e32 v15, 32, v15
	s_delay_alu instid0(VALU_DEP_1) | instskip(NEXT) | instid1(VALU_DEP_1)
	v_subrev_nc_u32_e32 v18, 28, v15
	v_lshlrev_b64_e32 v[18:19], v18, v[2:3]
	s_delay_alu instid0(VALU_DEP_1)
	v_dual_sub_nc_u32 v15, 29, v15 :: v_dual_bitop2_b32 v2, 7, v18 bitop3:0x40
; %bb.1434:                             ;   in Loop: Header=BB2_1357 Depth=4
	s_or_b32 exec_lo, exec_lo, s76
	s_delay_alu instid0(VALU_DEP_1) | instskip(NEXT) | instid1(VALU_DEP_2)
	v_dual_lshlrev_b32 v18, 24, v91 :: v_dual_lshlrev_b32 v2, 20, v2
	v_lshl_add_u32 v15, v15, 23, 0x3c000000
	s_delay_alu instid0(VALU_DEP_2) | instskip(NEXT) | instid1(VALU_DEP_1)
	v_and_b32_e32 v18, 0x80000000, v18
	v_or3_b32 v15, v2, v18, v15
.LBB2_1435:                             ;   in Loop: Header=BB2_1357 Depth=4
	s_or_b32 exec_lo, exec_lo, s75
.LBB2_1436:                             ;   in Loop: Header=BB2_1357 Depth=4
	s_delay_alu instid0(SALU_CYCLE_1)
	s_or_b32 exec_lo, exec_lo, s74
.LBB2_1437:                             ;   in Loop: Header=BB2_1357 Depth=4
	s_delay_alu instid0(SALU_CYCLE_1) | instskip(SKIP_3) | instid1(VALU_DEP_1)
	s_or_b32 exec_lo, exec_lo, s13
	s_wait_loadcnt_dscnt 0x505
	v_and_b32_e32 v2, 0xff, v60
	s_mov_b32 s13, exec_lo
	v_cmpx_ne_u16_e32 0, v2
	s_cbranch_execz .LBB2_1445
; %bb.1438:                             ;   in Loop: Header=BB2_1357 Depth=4
	v_bfrev_b32_e32 v14, 1
	s_mov_b32 s74, exec_lo
	v_cmpx_ne_u16_e32 0x80, v2
	s_cbranch_execz .LBB2_1444
; %bb.1439:                             ;   in Loop: Header=BB2_1357 Depth=4
	v_and_b32_e32 v118, 0x7f, v60
	v_mov_b32_e32 v14, 0x7f800001
	s_mov_b32 s75, exec_lo
	s_delay_alu instid0(VALU_DEP_2)
	v_cmpx_ne_u32_e32 0x7f, v118
	s_cbranch_execz .LBB2_1443
; %bb.1440:                             ;   in Loop: Header=BB2_1357 Depth=4
	v_and_b32_e32 v2, 7, v2
	v_lshrrev_b32_e32 v14, 3, v118
	s_mov_b32 s76, exec_lo
	v_cmpx_gt_u32_e32 8, v118
; %bb.1441:                             ;   in Loop: Header=BB2_1357 Depth=4
	s_delay_alu instid0(VALU_DEP_3) | instskip(NEXT) | instid1(VALU_DEP_1)
	v_clz_i32_u32_e32 v14, v2
	v_min_u32_e32 v14, 32, v14
	s_delay_alu instid0(VALU_DEP_1) | instskip(SKIP_1) | instid1(VALU_DEP_2)
	v_subrev_nc_u32_e32 v18, 28, v14
	v_sub_nc_u32_e32 v14, 29, v14
	v_lshlrev_b64_e32 v[18:19], v18, v[2:3]
	s_delay_alu instid0(VALU_DEP_1)
	v_and_b32_e32 v2, 7, v18
; %bb.1442:                             ;   in Loop: Header=BB2_1357 Depth=4
	s_or_b32 exec_lo, exec_lo, s76
	s_delay_alu instid0(VALU_DEP_1) | instskip(SKIP_1) | instid1(VALU_DEP_2)
	v_dual_lshlrev_b32 v18, 24, v60 :: v_dual_lshlrev_b32 v2, 20, v2
	v_lshl_add_u32 v14, v14, 23, 0x3c000000
	v_and_b32_e32 v18, 0x80000000, v18
	s_delay_alu instid0(VALU_DEP_1)
	v_or3_b32 v14, v2, v18, v14
.LBB2_1443:                             ;   in Loop: Header=BB2_1357 Depth=4
	s_or_b32 exec_lo, exec_lo, s75
.LBB2_1444:                             ;   in Loop: Header=BB2_1357 Depth=4
	s_delay_alu instid0(SALU_CYCLE_1)
	s_or_b32 exec_lo, exec_lo, s74
.LBB2_1445:                             ;   in Loop: Header=BB2_1357 Depth=4
	s_delay_alu instid0(SALU_CYCLE_1) | instskip(NEXT) | instid1(VALU_DEP_1)
	s_or_b32 exec_lo, exec_lo, s13
	v_add_f32_e32 v14, v15, v14
                                        ; implicit-def: $vgpr60
	s_mov_b32 s13, exec_lo
	s_delay_alu instid0(VALU_DEP_1) | instskip(SKIP_1) | instid1(VALU_DEP_2)
	v_and_b32_e32 v2, 0x7f800000, v14
	v_lshrrev_b32_e32 v15, 24, v14
	v_cmpx_ne_u64_e32 0x7f800000, v[2:3]
	s_xor_b32 s74, exec_lo, s13
	s_cbranch_execz .LBB2_1463
; %bb.1446:                             ;   in Loop: Header=BB2_1357 Depth=4
	v_and_b32_e32 v2, 0x7fffffff, v14
	v_and_b32_e32 v91, 0x80, v15
                                        ; implicit-def: $vgpr60
	s_mov_b32 s13, exec_lo
	s_delay_alu instid0(VALU_DEP_2)
	v_cmpx_gt_u64_e32 0x43e00001, v[2:3]
	s_xor_b32 s75, exec_lo, s13
	s_cbranch_execz .LBB2_1460
; %bb.1447:                             ;   in Loop: Header=BB2_1357 Depth=4
	v_mov_b32_e32 v60, 0
	s_mov_b32 s76, exec_lo
	v_cmpx_ne_u32_e32 0, v14
	s_cbranch_execz .LBB2_1459
; %bb.1448:                             ;   in Loop: Header=BB2_1357 Depth=4
	v_bfe_u32 v60, v14, 23, 8
	s_delay_alu instid0(VALU_DEP_1) | instskip(SKIP_1) | instid1(VALU_DEP_2)
	v_sub_nc_u32_e32 v2, 0x79, v60
	v_cmp_gt_u32_e32 vcc_lo, 0x7a, v60
	v_cndmask_b32_e32 v2, 0, v2, vcc_lo
	v_cmp_eq_u32_e32 vcc_lo, 0, v60
	s_delay_alu instid0(VALU_DEP_2) | instskip(SKIP_1) | instid1(VALU_DEP_2)
	v_cndmask_b32_e64 v92, v2, 0x78, vcc_lo
	v_and_b32_e32 v2, 0x7fffff, v14
	v_add_nc_u32_e32 v14, 20, v92
	s_delay_alu instid0(VALU_DEP_2) | instskip(SKIP_1) | instid1(VALU_DEP_3)
	v_or_b32_e32 v18, 0x800000, v2
	v_add_nc_u32_e32 v19, 19, v92
	v_lshlrev_b64_e64 v[14:15], v14, -1
	s_delay_alu instid0(VALU_DEP_3) | instskip(NEXT) | instid1(VALU_DEP_3)
	v_cndmask_b32_e32 v2, v18, v2, vcc_lo
	v_lshlrev_b64_e64 v[18:19], v19, 1
	s_delay_alu instid0(VALU_DEP_3) | instskip(NEXT) | instid1(VALU_DEP_3)
	v_bfi_b32 v119, v15, 0, 0
	v_bfi_b32 v118, v14, 0, v2
	v_lshrrev_b64 v[14:15], v92, v[2:3]
	s_delay_alu instid0(VALU_DEP_2) | instskip(NEXT) | instid1(VALU_DEP_2)
	v_cmp_eq_u64_e64 s13, v[118:119], v[18:19]
	v_mov_b64_e32 v[118:119], v[14:15]
	s_and_saveexec_b32 s77, s13
; %bb.1449:                             ;   in Loop: Header=BB2_1357 Depth=4
	v_bfe_u32 v2, v14, 20, 1
	s_delay_alu instid0(VALU_DEP_1) | instskip(NEXT) | instid1(VALU_DEP_1)
	v_add_nc_u64_e32 v[18:19], v[14:15], v[2:3]
	v_add_nc_u64_e32 v[118:119], -1, v[18:19]
; %bb.1450:                             ;   in Loop: Header=BB2_1357 Depth=4
	s_or_b32 exec_lo, exec_lo, s77
	v_add_nc_u32_e32 v2, 0xffffff81, v60
	v_lshrrev_b32_e32 v15, 23, v14
	s_mov_b32 s13, exec_lo
	s_delay_alu instid0(VALU_DEP_2) | instskip(NEXT) | instid1(VALU_DEP_1)
	v_cndmask_b32_e64 v2, v2, 0xffffff82, vcc_lo
	v_add3_u32 v119, v92, v2, v15
	v_and_b32_e32 v2, 0xfffff, v118
                                        ; implicit-def: $vgpr118
	s_delay_alu instid0(VALU_DEP_1) | instskip(NEXT) | instid1(VALU_DEP_1)
	v_dual_add_nc_u32 v60, 6, v119 :: v_dual_add_nc_u32 v2, v2, v14
                                        ; implicit-def: $vgpr14_vgpr15
	v_cmpx_ne_u32_e32 0, v60
	s_xor_b32 s13, exec_lo, s13
; %bb.1451:                             ;   in Loop: Header=BB2_1357 Depth=4
	s_delay_alu instid0(VALU_DEP_2) | instskip(SKIP_1) | instid1(VALU_DEP_1)
	v_cmp_lt_u64_e32 vcc_lo, 0xffffff, v[2:3]
	v_add_nc_u32_e32 v14, 7, v119
	v_cndmask_b32_e32 v118, v60, v14, vcc_lo
	v_cndmask_b32_e64 v14, 0, 1, vcc_lo
	s_delay_alu instid0(VALU_DEP_1)
	v_lshrrev_b64 v[14:15], v14, v[2:3]
; %bb.1452:                             ;   in Loop: Header=BB2_1357 Depth=4
	s_and_not1_saveexec_b32 s13, s13
; %bb.1453:                             ;   in Loop: Header=BB2_1357 Depth=4
	v_mov_b64_e32 v[14:15], v[2:3]
	v_bfe_u32 v118, v2, 23, 1
; %bb.1454:                             ;   in Loop: Header=BB2_1357 Depth=4
	s_or_b32 exec_lo, exec_lo, s13
	s_delay_alu instid0(VALU_DEP_2) | instskip(NEXT) | instid1(VALU_DEP_2)
	v_lshrrev_b64 v[14:15], 20, v[14:15]
	v_cmp_gt_i32_e32 vcc_lo, 16, v118
	v_cmp_ne_u32_e64 s13, 0, v118
                                        ; implicit-def: $vgpr60
	s_delay_alu instid0(VALU_DEP_3) | instskip(NEXT) | instid1(VALU_DEP_1)
	v_dual_cndmask_b32 v15, 0, v15 :: v_dual_cndmask_b32 v14, 7, v14
	v_cmp_ne_u64_e32 vcc_lo, 0, v[14:15]
	s_or_b32 s13, s13, vcc_lo
	s_delay_alu instid0(SALU_CYCLE_1) | instskip(NEXT) | instid1(SALU_CYCLE_1)
	s_and_saveexec_b32 s77, s13
	s_xor_b32 s13, exec_lo, s77
; %bb.1455:                             ;   in Loop: Header=BB2_1357 Depth=4
	v_min_i32_e32 v2, 15, v118
	s_delay_alu instid0(VALU_DEP_1) | instskip(NEXT) | instid1(VALU_DEP_1)
	v_lshl_or_b32 v2, v2, 3, v91
                                        ; implicit-def: $vgpr91
	v_and_or_b32 v60, v14, 7, v2
; %bb.1456:                             ;   in Loop: Header=BB2_1357 Depth=4
	s_and_not1_saveexec_b32 s13, s13
; %bb.1457:                             ;   in Loop: Header=BB2_1357 Depth=4
	v_mov_b32_e32 v60, v91
; %bb.1458:                             ;   in Loop: Header=BB2_1357 Depth=4
	s_or_b32 exec_lo, exec_lo, s13
.LBB2_1459:                             ;   in Loop: Header=BB2_1357 Depth=4
	s_delay_alu instid0(SALU_CYCLE_1)
	s_or_b32 exec_lo, exec_lo, s76
                                        ; implicit-def: $vgpr91
.LBB2_1460:                             ;   in Loop: Header=BB2_1357 Depth=4
	s_and_not1_saveexec_b32 s13, s75
; %bb.1461:                             ;   in Loop: Header=BB2_1357 Depth=4
	v_or_b32_e32 v60, 0x7e, v91
; %bb.1462:                             ;   in Loop: Header=BB2_1357 Depth=4
	s_or_b32 exec_lo, exec_lo, s13
                                        ; implicit-def: $vgpr15
.LBB2_1463:                             ;   in Loop: Header=BB2_1357 Depth=4
	s_and_not1_saveexec_b32 s13, s74
; %bb.1464:                             ;   in Loop: Header=BB2_1357 Depth=4
	v_or_b32_e32 v60, 0x7f, v15
; %bb.1465:                             ;   in Loop: Header=BB2_1357 Depth=4
	s_or_b32 exec_lo, exec_lo, s13
	v_and_b32_e32 v2, 0xff, v90
	v_dual_mov_b32 v14, 0 :: v_dual_mov_b32 v15, 0
	s_mov_b32 s13, exec_lo
	s_delay_alu instid0(VALU_DEP_2)
	v_cmpx_ne_u16_e32 0, v2
	s_cbranch_execz .LBB2_1473
; %bb.1466:                             ;   in Loop: Header=BB2_1357 Depth=4
	v_bfrev_b32_e32 v15, 1
	s_mov_b32 s74, exec_lo
	v_cmpx_ne_u16_e32 0x80, v2
	s_cbranch_execz .LBB2_1472
; %bb.1467:                             ;   in Loop: Header=BB2_1357 Depth=4
	v_and_b32_e32 v118, 0x7f, v90
	v_mov_b32_e32 v15, 0x7f800001
	s_mov_b32 s75, exec_lo
	s_delay_alu instid0(VALU_DEP_2)
	v_cmpx_ne_u32_e32 0x7f, v118
	s_cbranch_execz .LBB2_1471
; %bb.1468:                             ;   in Loop: Header=BB2_1357 Depth=4
	v_and_b32_e32 v2, 7, v2
	v_lshrrev_b32_e32 v15, 3, v118
	s_mov_b32 s76, exec_lo
	v_cmpx_gt_u32_e32 8, v118
; %bb.1469:                             ;   in Loop: Header=BB2_1357 Depth=4
	s_delay_alu instid0(VALU_DEP_3) | instskip(NEXT) | instid1(VALU_DEP_1)
	v_clz_i32_u32_e32 v15, v2
	v_min_u32_e32 v15, 32, v15
	s_delay_alu instid0(VALU_DEP_1) | instskip(NEXT) | instid1(VALU_DEP_1)
	v_subrev_nc_u32_e32 v18, 28, v15
	v_lshlrev_b64_e32 v[18:19], v18, v[2:3]
	s_delay_alu instid0(VALU_DEP_1)
	v_dual_sub_nc_u32 v15, 29, v15 :: v_dual_bitop2_b32 v2, 7, v18 bitop3:0x40
; %bb.1470:                             ;   in Loop: Header=BB2_1357 Depth=4
	s_or_b32 exec_lo, exec_lo, s76
	v_lshlrev_b32_e32 v18, 24, v90
	s_delay_alu instid0(VALU_DEP_2) | instskip(NEXT) | instid1(VALU_DEP_3)
	v_lshlrev_b32_e32 v2, 20, v2
	v_lshl_add_u32 v15, v15, 23, 0x3c000000
	s_delay_alu instid0(VALU_DEP_3) | instskip(NEXT) | instid1(VALU_DEP_1)
	v_and_b32_e32 v18, 0x80000000, v18
	v_or3_b32 v15, v2, v18, v15
.LBB2_1471:                             ;   in Loop: Header=BB2_1357 Depth=4
	s_or_b32 exec_lo, exec_lo, s75
.LBB2_1472:                             ;   in Loop: Header=BB2_1357 Depth=4
	s_delay_alu instid0(SALU_CYCLE_1)
	s_or_b32 exec_lo, exec_lo, s74
.LBB2_1473:                             ;   in Loop: Header=BB2_1357 Depth=4
	s_delay_alu instid0(SALU_CYCLE_1) | instskip(SKIP_3) | instid1(VALU_DEP_1)
	s_or_b32 exec_lo, exec_lo, s13
	s_wait_loadcnt_dscnt 0x404
	v_and_b32_e32 v2, 0xff, v72
	s_mov_b32 s13, exec_lo
	v_cmpx_ne_u16_e32 0, v2
	s_cbranch_execz .LBB2_1481
; %bb.1474:                             ;   in Loop: Header=BB2_1357 Depth=4
	v_bfrev_b32_e32 v14, 1
	s_mov_b32 s74, exec_lo
	v_cmpx_ne_u16_e32 0x80, v2
	s_cbranch_execz .LBB2_1480
; %bb.1475:                             ;   in Loop: Header=BB2_1357 Depth=4
	v_and_b32_e32 v118, 0x7f, v72
	v_mov_b32_e32 v14, 0x7f800001
	s_mov_b32 s75, exec_lo
	s_delay_alu instid0(VALU_DEP_2)
	v_cmpx_ne_u32_e32 0x7f, v118
	s_cbranch_execz .LBB2_1479
; %bb.1476:                             ;   in Loop: Header=BB2_1357 Depth=4
	v_and_b32_e32 v2, 7, v2
	v_lshrrev_b32_e32 v14, 3, v118
	s_mov_b32 s76, exec_lo
	v_cmpx_gt_u32_e32 8, v118
; %bb.1477:                             ;   in Loop: Header=BB2_1357 Depth=4
	s_delay_alu instid0(VALU_DEP_3) | instskip(NEXT) | instid1(VALU_DEP_1)
	v_clz_i32_u32_e32 v14, v2
	v_min_u32_e32 v14, 32, v14
	s_delay_alu instid0(VALU_DEP_1) | instskip(SKIP_1) | instid1(VALU_DEP_2)
	v_subrev_nc_u32_e32 v18, 28, v14
	v_sub_nc_u32_e32 v14, 29, v14
	v_lshlrev_b64_e32 v[18:19], v18, v[2:3]
	s_delay_alu instid0(VALU_DEP_1)
	v_and_b32_e32 v2, 7, v18
; %bb.1478:                             ;   in Loop: Header=BB2_1357 Depth=4
	s_or_b32 exec_lo, exec_lo, s76
	s_delay_alu instid0(VALU_DEP_1) | instskip(SKIP_1) | instid1(VALU_DEP_2)
	v_dual_lshlrev_b32 v18, 24, v72 :: v_dual_lshlrev_b32 v2, 20, v2
	v_lshl_add_u32 v14, v14, 23, 0x3c000000
	v_and_b32_e32 v18, 0x80000000, v18
	s_delay_alu instid0(VALU_DEP_1)
	v_or3_b32 v14, v2, v18, v14
.LBB2_1479:                             ;   in Loop: Header=BB2_1357 Depth=4
	s_or_b32 exec_lo, exec_lo, s75
.LBB2_1480:                             ;   in Loop: Header=BB2_1357 Depth=4
	s_delay_alu instid0(SALU_CYCLE_1)
	s_or_b32 exec_lo, exec_lo, s74
.LBB2_1481:                             ;   in Loop: Header=BB2_1357 Depth=4
	s_delay_alu instid0(SALU_CYCLE_1) | instskip(NEXT) | instid1(VALU_DEP_1)
	s_or_b32 exec_lo, exec_lo, s13
	v_add_f32_e32 v14, v15, v14
                                        ; implicit-def: $vgpr72
	s_mov_b32 s13, exec_lo
	s_delay_alu instid0(VALU_DEP_1) | instskip(SKIP_1) | instid1(VALU_DEP_2)
	v_and_b32_e32 v2, 0x7f800000, v14
	v_lshrrev_b32_e32 v15, 24, v14
	v_cmpx_ne_u64_e32 0x7f800000, v[2:3]
	s_xor_b32 s74, exec_lo, s13
	s_cbranch_execz .LBB2_1499
; %bb.1482:                             ;   in Loop: Header=BB2_1357 Depth=4
	v_and_b32_e32 v2, 0x7fffffff, v14
	v_and_b32_e32 v90, 0x80, v15
                                        ; implicit-def: $vgpr72
	s_mov_b32 s13, exec_lo
	s_delay_alu instid0(VALU_DEP_2)
	v_cmpx_gt_u64_e32 0x43e00001, v[2:3]
	s_xor_b32 s75, exec_lo, s13
	s_cbranch_execz .LBB2_1496
; %bb.1483:                             ;   in Loop: Header=BB2_1357 Depth=4
	v_mov_b32_e32 v72, 0
	s_mov_b32 s76, exec_lo
	v_cmpx_ne_u32_e32 0, v14
	s_cbranch_execz .LBB2_1495
; %bb.1484:                             ;   in Loop: Header=BB2_1357 Depth=4
	v_bfe_u32 v72, v14, 23, 8
	s_delay_alu instid0(VALU_DEP_1) | instskip(SKIP_1) | instid1(VALU_DEP_2)
	v_sub_nc_u32_e32 v2, 0x79, v72
	v_cmp_gt_u32_e32 vcc_lo, 0x7a, v72
	v_cndmask_b32_e32 v2, 0, v2, vcc_lo
	v_cmp_eq_u32_e32 vcc_lo, 0, v72
	s_delay_alu instid0(VALU_DEP_2) | instskip(SKIP_1) | instid1(VALU_DEP_2)
	v_cndmask_b32_e64 v91, v2, 0x78, vcc_lo
	v_and_b32_e32 v2, 0x7fffff, v14
	v_add_nc_u32_e32 v14, 20, v91
	s_delay_alu instid0(VALU_DEP_2) | instskip(SKIP_1) | instid1(VALU_DEP_3)
	v_or_b32_e32 v18, 0x800000, v2
	v_add_nc_u32_e32 v19, 19, v91
	v_lshlrev_b64_e64 v[14:15], v14, -1
	s_delay_alu instid0(VALU_DEP_3) | instskip(NEXT) | instid1(VALU_DEP_3)
	v_cndmask_b32_e32 v2, v18, v2, vcc_lo
	v_lshlrev_b64_e64 v[18:19], v19, 1
	s_delay_alu instid0(VALU_DEP_3) | instskip(NEXT) | instid1(VALU_DEP_3)
	v_bfi_b32 v119, v15, 0, 0
	v_bfi_b32 v118, v14, 0, v2
	v_lshrrev_b64 v[14:15], v91, v[2:3]
	s_delay_alu instid0(VALU_DEP_2) | instskip(NEXT) | instid1(VALU_DEP_2)
	v_cmp_eq_u64_e64 s13, v[118:119], v[18:19]
	v_mov_b64_e32 v[118:119], v[14:15]
	s_and_saveexec_b32 s77, s13
; %bb.1485:                             ;   in Loop: Header=BB2_1357 Depth=4
	v_bfe_u32 v2, v14, 20, 1
	s_delay_alu instid0(VALU_DEP_1) | instskip(NEXT) | instid1(VALU_DEP_1)
	v_add_nc_u64_e32 v[18:19], v[14:15], v[2:3]
	v_add_nc_u64_e32 v[118:119], -1, v[18:19]
; %bb.1486:                             ;   in Loop: Header=BB2_1357 Depth=4
	s_or_b32 exec_lo, exec_lo, s77
	v_add_nc_u32_e32 v2, 0xffffff81, v72
	v_lshrrev_b32_e32 v15, 23, v14
	s_mov_b32 s13, exec_lo
	s_delay_alu instid0(VALU_DEP_2) | instskip(NEXT) | instid1(VALU_DEP_1)
	v_cndmask_b32_e64 v2, v2, 0xffffff82, vcc_lo
	v_add3_u32 v119, v91, v2, v15
	v_and_b32_e32 v2, 0xfffff, v118
                                        ; implicit-def: $vgpr118
	s_delay_alu instid0(VALU_DEP_1) | instskip(NEXT) | instid1(VALU_DEP_1)
	v_dual_add_nc_u32 v72, 6, v119 :: v_dual_add_nc_u32 v2, v2, v14
                                        ; implicit-def: $vgpr14_vgpr15
	v_cmpx_ne_u32_e32 0, v72
	s_xor_b32 s13, exec_lo, s13
; %bb.1487:                             ;   in Loop: Header=BB2_1357 Depth=4
	s_delay_alu instid0(VALU_DEP_2) | instskip(SKIP_1) | instid1(VALU_DEP_1)
	v_cmp_lt_u64_e32 vcc_lo, 0xffffff, v[2:3]
	v_add_nc_u32_e32 v14, 7, v119
	v_cndmask_b32_e32 v118, v72, v14, vcc_lo
	v_cndmask_b32_e64 v14, 0, 1, vcc_lo
	s_delay_alu instid0(VALU_DEP_1)
	v_lshrrev_b64 v[14:15], v14, v[2:3]
; %bb.1488:                             ;   in Loop: Header=BB2_1357 Depth=4
	s_and_not1_saveexec_b32 s13, s13
; %bb.1489:                             ;   in Loop: Header=BB2_1357 Depth=4
	v_mov_b64_e32 v[14:15], v[2:3]
	v_bfe_u32 v118, v2, 23, 1
; %bb.1490:                             ;   in Loop: Header=BB2_1357 Depth=4
	s_or_b32 exec_lo, exec_lo, s13
	s_delay_alu instid0(VALU_DEP_2) | instskip(NEXT) | instid1(VALU_DEP_2)
	v_lshrrev_b64 v[14:15], 20, v[14:15]
	v_cmp_gt_i32_e32 vcc_lo, 16, v118
	v_cmp_ne_u32_e64 s13, 0, v118
                                        ; implicit-def: $vgpr72
	s_delay_alu instid0(VALU_DEP_3) | instskip(NEXT) | instid1(VALU_DEP_1)
	v_dual_cndmask_b32 v15, 0, v15 :: v_dual_cndmask_b32 v14, 7, v14
	v_cmp_ne_u64_e32 vcc_lo, 0, v[14:15]
	s_or_b32 s13, s13, vcc_lo
	s_delay_alu instid0(SALU_CYCLE_1) | instskip(NEXT) | instid1(SALU_CYCLE_1)
	s_and_saveexec_b32 s77, s13
	s_xor_b32 s13, exec_lo, s77
; %bb.1491:                             ;   in Loop: Header=BB2_1357 Depth=4
	v_min_i32_e32 v2, 15, v118
	s_delay_alu instid0(VALU_DEP_1) | instskip(NEXT) | instid1(VALU_DEP_1)
	v_lshl_or_b32 v2, v2, 3, v90
                                        ; implicit-def: $vgpr90
	v_and_or_b32 v72, v14, 7, v2
; %bb.1492:                             ;   in Loop: Header=BB2_1357 Depth=4
	s_and_not1_saveexec_b32 s13, s13
; %bb.1493:                             ;   in Loop: Header=BB2_1357 Depth=4
	v_mov_b32_e32 v72, v90
; %bb.1494:                             ;   in Loop: Header=BB2_1357 Depth=4
	s_or_b32 exec_lo, exec_lo, s13
.LBB2_1495:                             ;   in Loop: Header=BB2_1357 Depth=4
	s_delay_alu instid0(SALU_CYCLE_1)
	s_or_b32 exec_lo, exec_lo, s76
                                        ; implicit-def: $vgpr90
.LBB2_1496:                             ;   in Loop: Header=BB2_1357 Depth=4
	s_and_not1_saveexec_b32 s13, s75
; %bb.1497:                             ;   in Loop: Header=BB2_1357 Depth=4
	v_or_b32_e32 v72, 0x7e, v90
; %bb.1498:                             ;   in Loop: Header=BB2_1357 Depth=4
	s_or_b32 exec_lo, exec_lo, s13
                                        ; implicit-def: $vgpr15
.LBB2_1499:                             ;   in Loop: Header=BB2_1357 Depth=4
	s_and_not1_saveexec_b32 s13, s74
; %bb.1500:                             ;   in Loop: Header=BB2_1357 Depth=4
	v_or_b32_e32 v72, 0x7f, v15
; %bb.1501:                             ;   in Loop: Header=BB2_1357 Depth=4
	s_or_b32 exec_lo, exec_lo, s13
	v_and_b32_e32 v2, 0xff, v73
	v_dual_mov_b32 v14, 0 :: v_dual_mov_b32 v15, 0
	s_mov_b32 s13, exec_lo
	s_delay_alu instid0(VALU_DEP_2)
	v_cmpx_ne_u16_e32 0, v2
	s_cbranch_execz .LBB2_1509
; %bb.1502:                             ;   in Loop: Header=BB2_1357 Depth=4
	v_bfrev_b32_e32 v15, 1
	s_mov_b32 s74, exec_lo
	v_cmpx_ne_u16_e32 0x80, v2
	s_cbranch_execz .LBB2_1508
; %bb.1503:                             ;   in Loop: Header=BB2_1357 Depth=4
	v_and_b32_e32 v118, 0x7f, v73
	v_mov_b32_e32 v15, 0x7f800001
	s_mov_b32 s75, exec_lo
	s_delay_alu instid0(VALU_DEP_2)
	v_cmpx_ne_u32_e32 0x7f, v118
	s_cbranch_execz .LBB2_1507
; %bb.1504:                             ;   in Loop: Header=BB2_1357 Depth=4
	v_and_b32_e32 v2, 7, v2
	v_lshrrev_b32_e32 v15, 3, v118
	s_mov_b32 s76, exec_lo
	v_cmpx_gt_u32_e32 8, v118
; %bb.1505:                             ;   in Loop: Header=BB2_1357 Depth=4
	s_delay_alu instid0(VALU_DEP_3) | instskip(NEXT) | instid1(VALU_DEP_1)
	v_clz_i32_u32_e32 v15, v2
	v_min_u32_e32 v15, 32, v15
	s_delay_alu instid0(VALU_DEP_1) | instskip(NEXT) | instid1(VALU_DEP_1)
	v_subrev_nc_u32_e32 v18, 28, v15
	v_lshlrev_b64_e32 v[18:19], v18, v[2:3]
	s_delay_alu instid0(VALU_DEP_1)
	v_dual_sub_nc_u32 v15, 29, v15 :: v_dual_bitop2_b32 v2, 7, v18 bitop3:0x40
; %bb.1506:                             ;   in Loop: Header=BB2_1357 Depth=4
	s_or_b32 exec_lo, exec_lo, s76
	s_delay_alu instid0(VALU_DEP_1) | instskip(NEXT) | instid1(VALU_DEP_2)
	v_dual_lshlrev_b32 v18, 24, v73 :: v_dual_lshlrev_b32 v2, 20, v2
	v_lshl_add_u32 v15, v15, 23, 0x3c000000
	s_delay_alu instid0(VALU_DEP_2) | instskip(NEXT) | instid1(VALU_DEP_1)
	v_and_b32_e32 v18, 0x80000000, v18
	v_or3_b32 v15, v2, v18, v15
.LBB2_1507:                             ;   in Loop: Header=BB2_1357 Depth=4
	s_or_b32 exec_lo, exec_lo, s75
.LBB2_1508:                             ;   in Loop: Header=BB2_1357 Depth=4
	s_delay_alu instid0(SALU_CYCLE_1)
	s_or_b32 exec_lo, exec_lo, s74
.LBB2_1509:                             ;   in Loop: Header=BB2_1357 Depth=4
	s_delay_alu instid0(SALU_CYCLE_1) | instskip(SKIP_3) | instid1(VALU_DEP_1)
	s_or_b32 exec_lo, exec_lo, s13
	s_wait_loadcnt_dscnt 0x303
	v_and_b32_e32 v2, 0xff, v63
	s_mov_b32 s13, exec_lo
	v_cmpx_ne_u16_e32 0, v2
	s_cbranch_execz .LBB2_1517
; %bb.1510:                             ;   in Loop: Header=BB2_1357 Depth=4
	v_bfrev_b32_e32 v14, 1
	s_mov_b32 s74, exec_lo
	v_cmpx_ne_u16_e32 0x80, v2
	s_cbranch_execz .LBB2_1516
; %bb.1511:                             ;   in Loop: Header=BB2_1357 Depth=4
	v_and_b32_e32 v118, 0x7f, v63
	v_mov_b32_e32 v14, 0x7f800001
	s_mov_b32 s75, exec_lo
	s_delay_alu instid0(VALU_DEP_2)
	v_cmpx_ne_u32_e32 0x7f, v118
	s_cbranch_execz .LBB2_1515
; %bb.1512:                             ;   in Loop: Header=BB2_1357 Depth=4
	v_and_b32_e32 v2, 7, v2
	v_lshrrev_b32_e32 v14, 3, v118
	s_mov_b32 s76, exec_lo
	v_cmpx_gt_u32_e32 8, v118
; %bb.1513:                             ;   in Loop: Header=BB2_1357 Depth=4
	s_delay_alu instid0(VALU_DEP_3) | instskip(NEXT) | instid1(VALU_DEP_1)
	v_clz_i32_u32_e32 v14, v2
	v_min_u32_e32 v14, 32, v14
	s_delay_alu instid0(VALU_DEP_1) | instskip(SKIP_1) | instid1(VALU_DEP_2)
	v_subrev_nc_u32_e32 v18, 28, v14
	v_sub_nc_u32_e32 v14, 29, v14
	v_lshlrev_b64_e32 v[18:19], v18, v[2:3]
	s_delay_alu instid0(VALU_DEP_1)
	v_and_b32_e32 v2, 7, v18
; %bb.1514:                             ;   in Loop: Header=BB2_1357 Depth=4
	s_or_b32 exec_lo, exec_lo, s76
	s_delay_alu instid0(VALU_DEP_1) | instskip(SKIP_1) | instid1(VALU_DEP_2)
	v_dual_lshlrev_b32 v18, 24, v63 :: v_dual_lshlrev_b32 v2, 20, v2
	v_lshl_add_u32 v14, v14, 23, 0x3c000000
	v_and_b32_e32 v18, 0x80000000, v18
	s_delay_alu instid0(VALU_DEP_1)
	v_or3_b32 v14, v2, v18, v14
.LBB2_1515:                             ;   in Loop: Header=BB2_1357 Depth=4
	s_or_b32 exec_lo, exec_lo, s75
.LBB2_1516:                             ;   in Loop: Header=BB2_1357 Depth=4
	s_delay_alu instid0(SALU_CYCLE_1)
	s_or_b32 exec_lo, exec_lo, s74
.LBB2_1517:                             ;   in Loop: Header=BB2_1357 Depth=4
	s_delay_alu instid0(SALU_CYCLE_1) | instskip(NEXT) | instid1(VALU_DEP_1)
	s_or_b32 exec_lo, exec_lo, s13
	v_add_f32_e32 v14, v15, v14
                                        ; implicit-def: $vgpr63
	s_mov_b32 s13, exec_lo
	s_delay_alu instid0(VALU_DEP_1) | instskip(SKIP_1) | instid1(VALU_DEP_2)
	v_and_b32_e32 v2, 0x7f800000, v14
	v_lshrrev_b32_e32 v15, 24, v14
	v_cmpx_ne_u64_e32 0x7f800000, v[2:3]
	s_xor_b32 s74, exec_lo, s13
	s_cbranch_execz .LBB2_1535
; %bb.1518:                             ;   in Loop: Header=BB2_1357 Depth=4
	v_and_b32_e32 v2, 0x7fffffff, v14
	v_and_b32_e32 v73, 0x80, v15
                                        ; implicit-def: $vgpr63
	s_mov_b32 s13, exec_lo
	s_delay_alu instid0(VALU_DEP_2)
	v_cmpx_gt_u64_e32 0x43e00001, v[2:3]
	s_xor_b32 s75, exec_lo, s13
	s_cbranch_execz .LBB2_1532
; %bb.1519:                             ;   in Loop: Header=BB2_1357 Depth=4
	v_mov_b32_e32 v63, 0
	s_mov_b32 s76, exec_lo
	v_cmpx_ne_u32_e32 0, v14
	s_cbranch_execz .LBB2_1531
; %bb.1520:                             ;   in Loop: Header=BB2_1357 Depth=4
	v_bfe_u32 v63, v14, 23, 8
	s_delay_alu instid0(VALU_DEP_1) | instskip(SKIP_1) | instid1(VALU_DEP_2)
	v_sub_nc_u32_e32 v2, 0x79, v63
	v_cmp_gt_u32_e32 vcc_lo, 0x7a, v63
	v_cndmask_b32_e32 v2, 0, v2, vcc_lo
	v_cmp_eq_u32_e32 vcc_lo, 0, v63
	s_delay_alu instid0(VALU_DEP_2) | instskip(SKIP_1) | instid1(VALU_DEP_2)
	v_cndmask_b32_e64 v90, v2, 0x78, vcc_lo
	v_and_b32_e32 v2, 0x7fffff, v14
	v_dual_add_nc_u32 v14, 20, v90 :: v_dual_add_nc_u32 v19, 19, v90
	s_delay_alu instid0(VALU_DEP_2) | instskip(NEXT) | instid1(VALU_DEP_2)
	v_or_b32_e32 v18, 0x800000, v2
	v_lshlrev_b64_e64 v[14:15], v14, -1
	s_delay_alu instid0(VALU_DEP_2) | instskip(NEXT) | instid1(VALU_DEP_4)
	v_cndmask_b32_e32 v2, v18, v2, vcc_lo
	v_lshlrev_b64_e64 v[18:19], v19, 1
	s_delay_alu instid0(VALU_DEP_3) | instskip(NEXT) | instid1(VALU_DEP_3)
	v_bfi_b32 v119, v15, 0, 0
	v_bfi_b32 v118, v14, 0, v2
	v_lshrrev_b64 v[14:15], v90, v[2:3]
	s_delay_alu instid0(VALU_DEP_2) | instskip(NEXT) | instid1(VALU_DEP_2)
	v_cmp_eq_u64_e64 s13, v[118:119], v[18:19]
	v_mov_b64_e32 v[118:119], v[14:15]
	s_and_saveexec_b32 s77, s13
; %bb.1521:                             ;   in Loop: Header=BB2_1357 Depth=4
	v_bfe_u32 v2, v14, 20, 1
	s_delay_alu instid0(VALU_DEP_1) | instskip(NEXT) | instid1(VALU_DEP_1)
	v_add_nc_u64_e32 v[18:19], v[14:15], v[2:3]
	v_add_nc_u64_e32 v[118:119], -1, v[18:19]
; %bb.1522:                             ;   in Loop: Header=BB2_1357 Depth=4
	s_or_b32 exec_lo, exec_lo, s77
	v_add_nc_u32_e32 v2, 0xffffff81, v63
	v_lshrrev_b32_e32 v15, 23, v14
	s_mov_b32 s13, exec_lo
	s_delay_alu instid0(VALU_DEP_2) | instskip(NEXT) | instid1(VALU_DEP_1)
	v_cndmask_b32_e64 v2, v2, 0xffffff82, vcc_lo
	v_add3_u32 v119, v90, v2, v15
	v_and_b32_e32 v2, 0xfffff, v118
                                        ; implicit-def: $vgpr118
	s_delay_alu instid0(VALU_DEP_1) | instskip(NEXT) | instid1(VALU_DEP_1)
	v_dual_add_nc_u32 v63, 6, v119 :: v_dual_add_nc_u32 v2, v2, v14
                                        ; implicit-def: $vgpr14_vgpr15
	v_cmpx_ne_u32_e32 0, v63
	s_xor_b32 s13, exec_lo, s13
; %bb.1523:                             ;   in Loop: Header=BB2_1357 Depth=4
	s_delay_alu instid0(VALU_DEP_2) | instskip(SKIP_1) | instid1(VALU_DEP_1)
	v_cmp_lt_u64_e32 vcc_lo, 0xffffff, v[2:3]
	v_add_nc_u32_e32 v14, 7, v119
	v_cndmask_b32_e32 v118, v63, v14, vcc_lo
	v_cndmask_b32_e64 v14, 0, 1, vcc_lo
	s_delay_alu instid0(VALU_DEP_1)
	v_lshrrev_b64 v[14:15], v14, v[2:3]
; %bb.1524:                             ;   in Loop: Header=BB2_1357 Depth=4
	s_and_not1_saveexec_b32 s13, s13
; %bb.1525:                             ;   in Loop: Header=BB2_1357 Depth=4
	v_mov_b64_e32 v[14:15], v[2:3]
	v_bfe_u32 v118, v2, 23, 1
; %bb.1526:                             ;   in Loop: Header=BB2_1357 Depth=4
	s_or_b32 exec_lo, exec_lo, s13
	s_delay_alu instid0(VALU_DEP_2) | instskip(NEXT) | instid1(VALU_DEP_2)
	v_lshrrev_b64 v[14:15], 20, v[14:15]
	v_cmp_gt_i32_e32 vcc_lo, 16, v118
	v_cmp_ne_u32_e64 s13, 0, v118
                                        ; implicit-def: $vgpr63
	s_delay_alu instid0(VALU_DEP_3) | instskip(NEXT) | instid1(VALU_DEP_1)
	v_dual_cndmask_b32 v15, 0, v15 :: v_dual_cndmask_b32 v14, 7, v14
	v_cmp_ne_u64_e32 vcc_lo, 0, v[14:15]
	s_or_b32 s13, s13, vcc_lo
	s_delay_alu instid0(SALU_CYCLE_1) | instskip(NEXT) | instid1(SALU_CYCLE_1)
	s_and_saveexec_b32 s77, s13
	s_xor_b32 s13, exec_lo, s77
; %bb.1527:                             ;   in Loop: Header=BB2_1357 Depth=4
	v_min_i32_e32 v2, 15, v118
	s_delay_alu instid0(VALU_DEP_1) | instskip(NEXT) | instid1(VALU_DEP_1)
	v_lshl_or_b32 v2, v2, 3, v73
                                        ; implicit-def: $vgpr73
	v_and_or_b32 v63, v14, 7, v2
; %bb.1528:                             ;   in Loop: Header=BB2_1357 Depth=4
	s_and_not1_saveexec_b32 s13, s13
; %bb.1529:                             ;   in Loop: Header=BB2_1357 Depth=4
	v_mov_b32_e32 v63, v73
; %bb.1530:                             ;   in Loop: Header=BB2_1357 Depth=4
	s_or_b32 exec_lo, exec_lo, s13
.LBB2_1531:                             ;   in Loop: Header=BB2_1357 Depth=4
	s_delay_alu instid0(SALU_CYCLE_1)
	s_or_b32 exec_lo, exec_lo, s76
                                        ; implicit-def: $vgpr73
.LBB2_1532:                             ;   in Loop: Header=BB2_1357 Depth=4
	s_and_not1_saveexec_b32 s13, s75
; %bb.1533:                             ;   in Loop: Header=BB2_1357 Depth=4
	v_or_b32_e32 v63, 0x7e, v73
; %bb.1534:                             ;   in Loop: Header=BB2_1357 Depth=4
	s_or_b32 exec_lo, exec_lo, s13
                                        ; implicit-def: $vgpr15
.LBB2_1535:                             ;   in Loop: Header=BB2_1357 Depth=4
	s_and_not1_saveexec_b32 s13, s74
; %bb.1536:                             ;   in Loop: Header=BB2_1357 Depth=4
	v_or_b32_e32 v63, 0x7f, v15
; %bb.1537:                             ;   in Loop: Header=BB2_1357 Depth=4
	s_or_b32 exec_lo, exec_lo, s13
	v_and_b32_e32 v2, 0xff, v61
	v_dual_mov_b32 v14, 0 :: v_dual_mov_b32 v15, 0
	s_mov_b32 s13, exec_lo
	s_delay_alu instid0(VALU_DEP_2)
	v_cmpx_ne_u16_e32 0, v2
	s_cbranch_execz .LBB2_1545
; %bb.1538:                             ;   in Loop: Header=BB2_1357 Depth=4
	v_bfrev_b32_e32 v15, 1
	s_mov_b32 s74, exec_lo
	v_cmpx_ne_u16_e32 0x80, v2
	s_cbranch_execz .LBB2_1544
; %bb.1539:                             ;   in Loop: Header=BB2_1357 Depth=4
	v_and_b32_e32 v118, 0x7f, v61
	v_mov_b32_e32 v15, 0x7f800001
	s_mov_b32 s75, exec_lo
	s_delay_alu instid0(VALU_DEP_2)
	v_cmpx_ne_u32_e32 0x7f, v118
	s_cbranch_execz .LBB2_1543
; %bb.1540:                             ;   in Loop: Header=BB2_1357 Depth=4
	v_and_b32_e32 v2, 7, v2
	v_lshrrev_b32_e32 v15, 3, v118
	s_mov_b32 s76, exec_lo
	v_cmpx_gt_u32_e32 8, v118
; %bb.1541:                             ;   in Loop: Header=BB2_1357 Depth=4
	s_delay_alu instid0(VALU_DEP_3) | instskip(NEXT) | instid1(VALU_DEP_1)
	v_clz_i32_u32_e32 v15, v2
	v_min_u32_e32 v15, 32, v15
	s_delay_alu instid0(VALU_DEP_1) | instskip(NEXT) | instid1(VALU_DEP_1)
	v_subrev_nc_u32_e32 v18, 28, v15
	v_lshlrev_b64_e32 v[18:19], v18, v[2:3]
	s_delay_alu instid0(VALU_DEP_1)
	v_dual_sub_nc_u32 v15, 29, v15 :: v_dual_bitop2_b32 v2, 7, v18 bitop3:0x40
; %bb.1542:                             ;   in Loop: Header=BB2_1357 Depth=4
	s_or_b32 exec_lo, exec_lo, s76
	s_delay_alu instid0(VALU_DEP_1) | instskip(NEXT) | instid1(VALU_DEP_2)
	v_dual_lshlrev_b32 v18, 24, v61 :: v_dual_lshlrev_b32 v2, 20, v2
	v_lshl_add_u32 v15, v15, 23, 0x3c000000
	s_delay_alu instid0(VALU_DEP_2) | instskip(NEXT) | instid1(VALU_DEP_1)
	v_and_b32_e32 v18, 0x80000000, v18
	v_or3_b32 v15, v2, v18, v15
.LBB2_1543:                             ;   in Loop: Header=BB2_1357 Depth=4
	s_or_b32 exec_lo, exec_lo, s75
.LBB2_1544:                             ;   in Loop: Header=BB2_1357 Depth=4
	s_delay_alu instid0(SALU_CYCLE_1)
	s_or_b32 exec_lo, exec_lo, s74
.LBB2_1545:                             ;   in Loop: Header=BB2_1357 Depth=4
	s_delay_alu instid0(SALU_CYCLE_1) | instskip(SKIP_3) | instid1(VALU_DEP_1)
	s_or_b32 exec_lo, exec_lo, s13
	s_wait_loadcnt_dscnt 0x202
	v_and_b32_e32 v2, 0xff, v59
	s_mov_b32 s13, exec_lo
	v_cmpx_ne_u16_e32 0, v2
	s_cbranch_execz .LBB2_1553
; %bb.1546:                             ;   in Loop: Header=BB2_1357 Depth=4
	v_bfrev_b32_e32 v14, 1
	s_mov_b32 s74, exec_lo
	v_cmpx_ne_u16_e32 0x80, v2
	s_cbranch_execz .LBB2_1552
; %bb.1547:                             ;   in Loop: Header=BB2_1357 Depth=4
	v_and_b32_e32 v118, 0x7f, v59
	v_mov_b32_e32 v14, 0x7f800001
	s_mov_b32 s75, exec_lo
	s_delay_alu instid0(VALU_DEP_2)
	v_cmpx_ne_u32_e32 0x7f, v118
	s_cbranch_execz .LBB2_1551
; %bb.1548:                             ;   in Loop: Header=BB2_1357 Depth=4
	v_and_b32_e32 v2, 7, v2
	v_lshrrev_b32_e32 v14, 3, v118
	s_mov_b32 s76, exec_lo
	v_cmpx_gt_u32_e32 8, v118
; %bb.1549:                             ;   in Loop: Header=BB2_1357 Depth=4
	s_delay_alu instid0(VALU_DEP_3) | instskip(NEXT) | instid1(VALU_DEP_1)
	v_clz_i32_u32_e32 v14, v2
	v_min_u32_e32 v14, 32, v14
	s_delay_alu instid0(VALU_DEP_1) | instskip(SKIP_1) | instid1(VALU_DEP_2)
	v_subrev_nc_u32_e32 v18, 28, v14
	v_sub_nc_u32_e32 v14, 29, v14
	v_lshlrev_b64_e32 v[18:19], v18, v[2:3]
	s_delay_alu instid0(VALU_DEP_1)
	v_and_b32_e32 v2, 7, v18
; %bb.1550:                             ;   in Loop: Header=BB2_1357 Depth=4
	s_or_b32 exec_lo, exec_lo, s76
	s_delay_alu instid0(VALU_DEP_1) | instskip(SKIP_1) | instid1(VALU_DEP_2)
	v_dual_lshlrev_b32 v18, 24, v59 :: v_dual_lshlrev_b32 v2, 20, v2
	v_lshl_add_u32 v14, v14, 23, 0x3c000000
	v_and_b32_e32 v18, 0x80000000, v18
	s_delay_alu instid0(VALU_DEP_1)
	v_or3_b32 v14, v2, v18, v14
.LBB2_1551:                             ;   in Loop: Header=BB2_1357 Depth=4
	s_or_b32 exec_lo, exec_lo, s75
.LBB2_1552:                             ;   in Loop: Header=BB2_1357 Depth=4
	s_delay_alu instid0(SALU_CYCLE_1)
	s_or_b32 exec_lo, exec_lo, s74
.LBB2_1553:                             ;   in Loop: Header=BB2_1357 Depth=4
	s_delay_alu instid0(SALU_CYCLE_1) | instskip(NEXT) | instid1(VALU_DEP_1)
	s_or_b32 exec_lo, exec_lo, s13
	v_add_f32_e32 v14, v15, v14
                                        ; implicit-def: $vgpr59
	s_mov_b32 s13, exec_lo
	s_delay_alu instid0(VALU_DEP_1) | instskip(SKIP_1) | instid1(VALU_DEP_2)
	v_and_b32_e32 v2, 0x7f800000, v14
	v_lshrrev_b32_e32 v15, 24, v14
	v_cmpx_ne_u64_e32 0x7f800000, v[2:3]
	s_xor_b32 s74, exec_lo, s13
	s_cbranch_execz .LBB2_1571
; %bb.1554:                             ;   in Loop: Header=BB2_1357 Depth=4
	v_and_b32_e32 v2, 0x7fffffff, v14
	v_and_b32_e32 v61, 0x80, v15
                                        ; implicit-def: $vgpr59
	s_mov_b32 s13, exec_lo
	s_delay_alu instid0(VALU_DEP_2)
	v_cmpx_gt_u64_e32 0x43e00001, v[2:3]
	s_xor_b32 s75, exec_lo, s13
	s_cbranch_execz .LBB2_1568
; %bb.1555:                             ;   in Loop: Header=BB2_1357 Depth=4
	v_mov_b32_e32 v59, 0
	s_mov_b32 s76, exec_lo
	v_cmpx_ne_u32_e32 0, v14
	s_cbranch_execz .LBB2_1567
; %bb.1556:                             ;   in Loop: Header=BB2_1357 Depth=4
	v_bfe_u32 v59, v14, 23, 8
	s_delay_alu instid0(VALU_DEP_1) | instskip(SKIP_1) | instid1(VALU_DEP_2)
	v_sub_nc_u32_e32 v2, 0x79, v59
	v_cmp_gt_u32_e32 vcc_lo, 0x7a, v59
	v_cndmask_b32_e32 v2, 0, v2, vcc_lo
	v_cmp_eq_u32_e32 vcc_lo, 0, v59
	s_delay_alu instid0(VALU_DEP_2) | instskip(SKIP_1) | instid1(VALU_DEP_2)
	v_cndmask_b32_e64 v73, v2, 0x78, vcc_lo
	v_and_b32_e32 v2, 0x7fffff, v14
	v_add_nc_u32_e32 v14, 20, v73
	s_delay_alu instid0(VALU_DEP_2) | instskip(SKIP_1) | instid1(VALU_DEP_3)
	v_or_b32_e32 v18, 0x800000, v2
	v_add_nc_u32_e32 v19, 19, v73
	v_lshlrev_b64_e64 v[14:15], v14, -1
	s_delay_alu instid0(VALU_DEP_3) | instskip(NEXT) | instid1(VALU_DEP_3)
	v_cndmask_b32_e32 v2, v18, v2, vcc_lo
	v_lshlrev_b64_e64 v[18:19], v19, 1
	s_delay_alu instid0(VALU_DEP_3) | instskip(NEXT) | instid1(VALU_DEP_3)
	v_bfi_b32 v119, v15, 0, 0
	v_bfi_b32 v118, v14, 0, v2
	v_lshrrev_b64 v[14:15], v73, v[2:3]
	s_delay_alu instid0(VALU_DEP_2) | instskip(NEXT) | instid1(VALU_DEP_2)
	v_cmp_eq_u64_e64 s13, v[118:119], v[18:19]
	v_mov_b64_e32 v[118:119], v[14:15]
	s_and_saveexec_b32 s77, s13
; %bb.1557:                             ;   in Loop: Header=BB2_1357 Depth=4
	v_bfe_u32 v2, v14, 20, 1
	s_delay_alu instid0(VALU_DEP_1) | instskip(NEXT) | instid1(VALU_DEP_1)
	v_add_nc_u64_e32 v[18:19], v[14:15], v[2:3]
	v_add_nc_u64_e32 v[118:119], -1, v[18:19]
; %bb.1558:                             ;   in Loop: Header=BB2_1357 Depth=4
	s_or_b32 exec_lo, exec_lo, s77
	v_add_nc_u32_e32 v2, 0xffffff81, v59
	v_lshrrev_b32_e32 v15, 23, v14
	s_mov_b32 s13, exec_lo
	s_delay_alu instid0(VALU_DEP_2) | instskip(NEXT) | instid1(VALU_DEP_1)
	v_cndmask_b32_e64 v2, v2, 0xffffff82, vcc_lo
	v_add3_u32 v119, v73, v2, v15
	v_and_b32_e32 v2, 0xfffff, v118
                                        ; implicit-def: $vgpr118
	s_delay_alu instid0(VALU_DEP_1) | instskip(NEXT) | instid1(VALU_DEP_1)
	v_dual_add_nc_u32 v59, 6, v119 :: v_dual_add_nc_u32 v2, v2, v14
                                        ; implicit-def: $vgpr14_vgpr15
	v_cmpx_ne_u32_e32 0, v59
	s_xor_b32 s13, exec_lo, s13
; %bb.1559:                             ;   in Loop: Header=BB2_1357 Depth=4
	s_delay_alu instid0(VALU_DEP_2) | instskip(SKIP_1) | instid1(VALU_DEP_1)
	v_cmp_lt_u64_e32 vcc_lo, 0xffffff, v[2:3]
	v_add_nc_u32_e32 v14, 7, v119
	v_cndmask_b32_e32 v118, v59, v14, vcc_lo
	v_cndmask_b32_e64 v14, 0, 1, vcc_lo
	s_delay_alu instid0(VALU_DEP_1)
	v_lshrrev_b64 v[14:15], v14, v[2:3]
; %bb.1560:                             ;   in Loop: Header=BB2_1357 Depth=4
	s_and_not1_saveexec_b32 s13, s13
; %bb.1561:                             ;   in Loop: Header=BB2_1357 Depth=4
	v_mov_b64_e32 v[14:15], v[2:3]
	v_bfe_u32 v118, v2, 23, 1
; %bb.1562:                             ;   in Loop: Header=BB2_1357 Depth=4
	s_or_b32 exec_lo, exec_lo, s13
	s_delay_alu instid0(VALU_DEP_2) | instskip(NEXT) | instid1(VALU_DEP_2)
	v_lshrrev_b64 v[14:15], 20, v[14:15]
	v_cmp_gt_i32_e32 vcc_lo, 16, v118
	v_cmp_ne_u32_e64 s13, 0, v118
                                        ; implicit-def: $vgpr59
	s_delay_alu instid0(VALU_DEP_3) | instskip(NEXT) | instid1(VALU_DEP_1)
	v_dual_cndmask_b32 v15, 0, v15 :: v_dual_cndmask_b32 v14, 7, v14
	v_cmp_ne_u64_e32 vcc_lo, 0, v[14:15]
	s_or_b32 s13, s13, vcc_lo
	s_delay_alu instid0(SALU_CYCLE_1) | instskip(NEXT) | instid1(SALU_CYCLE_1)
	s_and_saveexec_b32 s77, s13
	s_xor_b32 s13, exec_lo, s77
; %bb.1563:                             ;   in Loop: Header=BB2_1357 Depth=4
	v_min_i32_e32 v2, 15, v118
	s_delay_alu instid0(VALU_DEP_1) | instskip(NEXT) | instid1(VALU_DEP_1)
	v_lshl_or_b32 v2, v2, 3, v61
                                        ; implicit-def: $vgpr61
	v_and_or_b32 v59, v14, 7, v2
; %bb.1564:                             ;   in Loop: Header=BB2_1357 Depth=4
	s_and_not1_saveexec_b32 s13, s13
; %bb.1565:                             ;   in Loop: Header=BB2_1357 Depth=4
	v_mov_b32_e32 v59, v61
; %bb.1566:                             ;   in Loop: Header=BB2_1357 Depth=4
	s_or_b32 exec_lo, exec_lo, s13
.LBB2_1567:                             ;   in Loop: Header=BB2_1357 Depth=4
	s_delay_alu instid0(SALU_CYCLE_1)
	s_or_b32 exec_lo, exec_lo, s76
                                        ; implicit-def: $vgpr61
.LBB2_1568:                             ;   in Loop: Header=BB2_1357 Depth=4
	s_and_not1_saveexec_b32 s13, s75
; %bb.1569:                             ;   in Loop: Header=BB2_1357 Depth=4
	v_or_b32_e32 v59, 0x7e, v61
; %bb.1570:                             ;   in Loop: Header=BB2_1357 Depth=4
	s_or_b32 exec_lo, exec_lo, s13
                                        ; implicit-def: $vgpr15
.LBB2_1571:                             ;   in Loop: Header=BB2_1357 Depth=4
	s_and_not1_saveexec_b32 s13, s74
; %bb.1572:                             ;   in Loop: Header=BB2_1357 Depth=4
	v_or_b32_e32 v59, 0x7f, v15
; %bb.1573:                             ;   in Loop: Header=BB2_1357 Depth=4
	s_or_b32 exec_lo, exec_lo, s13
	v_and_b32_e32 v2, 0xff, v58
	v_dual_mov_b32 v14, 0 :: v_dual_mov_b32 v15, 0
	s_mov_b32 s13, exec_lo
	s_delay_alu instid0(VALU_DEP_2)
	v_cmpx_ne_u16_e32 0, v2
	s_cbranch_execz .LBB2_1581
; %bb.1574:                             ;   in Loop: Header=BB2_1357 Depth=4
	v_bfrev_b32_e32 v15, 1
	s_mov_b32 s74, exec_lo
	v_cmpx_ne_u16_e32 0x80, v2
	s_cbranch_execz .LBB2_1580
; %bb.1575:                             ;   in Loop: Header=BB2_1357 Depth=4
	v_and_b32_e32 v118, 0x7f, v58
	v_mov_b32_e32 v15, 0x7f800001
	s_mov_b32 s75, exec_lo
	s_delay_alu instid0(VALU_DEP_2)
	v_cmpx_ne_u32_e32 0x7f, v118
	s_cbranch_execz .LBB2_1579
; %bb.1576:                             ;   in Loop: Header=BB2_1357 Depth=4
	v_and_b32_e32 v2, 7, v2
	v_lshrrev_b32_e32 v15, 3, v118
	s_mov_b32 s76, exec_lo
	v_cmpx_gt_u32_e32 8, v118
; %bb.1577:                             ;   in Loop: Header=BB2_1357 Depth=4
	s_delay_alu instid0(VALU_DEP_3) | instskip(NEXT) | instid1(VALU_DEP_1)
	v_clz_i32_u32_e32 v15, v2
	v_min_u32_e32 v15, 32, v15
	s_delay_alu instid0(VALU_DEP_1) | instskip(NEXT) | instid1(VALU_DEP_1)
	v_subrev_nc_u32_e32 v18, 28, v15
	v_lshlrev_b64_e32 v[18:19], v18, v[2:3]
	s_delay_alu instid0(VALU_DEP_1)
	v_dual_sub_nc_u32 v15, 29, v15 :: v_dual_bitop2_b32 v2, 7, v18 bitop3:0x40
; %bb.1578:                             ;   in Loop: Header=BB2_1357 Depth=4
	s_or_b32 exec_lo, exec_lo, s76
	v_lshlrev_b32_e32 v18, 24, v58
	s_delay_alu instid0(VALU_DEP_2) | instskip(NEXT) | instid1(VALU_DEP_3)
	v_lshlrev_b32_e32 v2, 20, v2
	v_lshl_add_u32 v15, v15, 23, 0x3c000000
	s_delay_alu instid0(VALU_DEP_3) | instskip(NEXT) | instid1(VALU_DEP_1)
	v_and_b32_e32 v18, 0x80000000, v18
	v_or3_b32 v15, v2, v18, v15
.LBB2_1579:                             ;   in Loop: Header=BB2_1357 Depth=4
	s_or_b32 exec_lo, exec_lo, s75
.LBB2_1580:                             ;   in Loop: Header=BB2_1357 Depth=4
	s_delay_alu instid0(SALU_CYCLE_1)
	s_or_b32 exec_lo, exec_lo, s74
.LBB2_1581:                             ;   in Loop: Header=BB2_1357 Depth=4
	s_delay_alu instid0(SALU_CYCLE_1) | instskip(SKIP_3) | instid1(VALU_DEP_1)
	s_or_b32 exec_lo, exec_lo, s13
	s_wait_loadcnt_dscnt 0x101
	v_and_b32_e32 v2, 0xff, v56
	s_mov_b32 s13, exec_lo
	v_cmpx_ne_u16_e32 0, v2
	s_cbranch_execz .LBB2_1589
; %bb.1582:                             ;   in Loop: Header=BB2_1357 Depth=4
	v_bfrev_b32_e32 v14, 1
	s_mov_b32 s74, exec_lo
	v_cmpx_ne_u16_e32 0x80, v2
	s_cbranch_execz .LBB2_1588
; %bb.1583:                             ;   in Loop: Header=BB2_1357 Depth=4
	v_and_b32_e32 v118, 0x7f, v56
	v_mov_b32_e32 v14, 0x7f800001
	s_mov_b32 s75, exec_lo
	s_delay_alu instid0(VALU_DEP_2)
	v_cmpx_ne_u32_e32 0x7f, v118
	s_cbranch_execz .LBB2_1587
; %bb.1584:                             ;   in Loop: Header=BB2_1357 Depth=4
	v_and_b32_e32 v2, 7, v2
	v_lshrrev_b32_e32 v14, 3, v118
	s_mov_b32 s76, exec_lo
	v_cmpx_gt_u32_e32 8, v118
; %bb.1585:                             ;   in Loop: Header=BB2_1357 Depth=4
	s_delay_alu instid0(VALU_DEP_3) | instskip(NEXT) | instid1(VALU_DEP_1)
	v_clz_i32_u32_e32 v14, v2
	v_min_u32_e32 v14, 32, v14
	s_delay_alu instid0(VALU_DEP_1) | instskip(SKIP_1) | instid1(VALU_DEP_2)
	v_subrev_nc_u32_e32 v18, 28, v14
	v_sub_nc_u32_e32 v14, 29, v14
	v_lshlrev_b64_e32 v[18:19], v18, v[2:3]
	s_delay_alu instid0(VALU_DEP_1)
	v_and_b32_e32 v2, 7, v18
; %bb.1586:                             ;   in Loop: Header=BB2_1357 Depth=4
	s_or_b32 exec_lo, exec_lo, s76
	s_delay_alu instid0(VALU_DEP_1) | instskip(SKIP_1) | instid1(VALU_DEP_2)
	v_dual_lshlrev_b32 v18, 24, v56 :: v_dual_lshlrev_b32 v2, 20, v2
	v_lshl_add_u32 v14, v14, 23, 0x3c000000
	v_and_b32_e32 v18, 0x80000000, v18
	s_delay_alu instid0(VALU_DEP_1)
	v_or3_b32 v14, v2, v18, v14
.LBB2_1587:                             ;   in Loop: Header=BB2_1357 Depth=4
	s_or_b32 exec_lo, exec_lo, s75
.LBB2_1588:                             ;   in Loop: Header=BB2_1357 Depth=4
	s_delay_alu instid0(SALU_CYCLE_1)
	s_or_b32 exec_lo, exec_lo, s74
.LBB2_1589:                             ;   in Loop: Header=BB2_1357 Depth=4
	s_delay_alu instid0(SALU_CYCLE_1) | instskip(NEXT) | instid1(VALU_DEP_1)
	s_or_b32 exec_lo, exec_lo, s13
	v_add_f32_e32 v14, v15, v14
                                        ; implicit-def: $vgpr56
	s_mov_b32 s13, exec_lo
	s_delay_alu instid0(VALU_DEP_1) | instskip(SKIP_1) | instid1(VALU_DEP_2)
	v_and_b32_e32 v2, 0x7f800000, v14
	v_lshrrev_b32_e32 v15, 24, v14
	v_cmpx_ne_u64_e32 0x7f800000, v[2:3]
	s_xor_b32 s74, exec_lo, s13
	s_cbranch_execz .LBB2_1607
; %bb.1590:                             ;   in Loop: Header=BB2_1357 Depth=4
	v_and_b32_e32 v2, 0x7fffffff, v14
	v_and_b32_e32 v58, 0x80, v15
                                        ; implicit-def: $vgpr56
	s_mov_b32 s13, exec_lo
	s_delay_alu instid0(VALU_DEP_2)
	v_cmpx_gt_u64_e32 0x43e00001, v[2:3]
	s_xor_b32 s75, exec_lo, s13
	s_cbranch_execz .LBB2_1604
; %bb.1591:                             ;   in Loop: Header=BB2_1357 Depth=4
	v_mov_b32_e32 v56, 0
	s_mov_b32 s76, exec_lo
	v_cmpx_ne_u32_e32 0, v14
	s_cbranch_execz .LBB2_1603
; %bb.1592:                             ;   in Loop: Header=BB2_1357 Depth=4
	v_bfe_u32 v56, v14, 23, 8
	s_delay_alu instid0(VALU_DEP_1) | instskip(SKIP_1) | instid1(VALU_DEP_2)
	v_sub_nc_u32_e32 v2, 0x79, v56
	v_cmp_gt_u32_e32 vcc_lo, 0x7a, v56
	v_cndmask_b32_e32 v2, 0, v2, vcc_lo
	v_cmp_eq_u32_e32 vcc_lo, 0, v56
	s_delay_alu instid0(VALU_DEP_2) | instskip(SKIP_1) | instid1(VALU_DEP_2)
	v_cndmask_b32_e64 v61, v2, 0x78, vcc_lo
	v_and_b32_e32 v2, 0x7fffff, v14
	v_add_nc_u32_e32 v14, 20, v61
	s_delay_alu instid0(VALU_DEP_2) | instskip(SKIP_1) | instid1(VALU_DEP_3)
	v_or_b32_e32 v18, 0x800000, v2
	v_add_nc_u32_e32 v19, 19, v61
	v_lshlrev_b64_e64 v[14:15], v14, -1
	s_delay_alu instid0(VALU_DEP_3) | instskip(NEXT) | instid1(VALU_DEP_3)
	v_cndmask_b32_e32 v2, v18, v2, vcc_lo
	v_lshlrev_b64_e64 v[18:19], v19, 1
	s_delay_alu instid0(VALU_DEP_3) | instskip(NEXT) | instid1(VALU_DEP_3)
	v_bfi_b32 v119, v15, 0, 0
	v_bfi_b32 v118, v14, 0, v2
	v_lshrrev_b64 v[14:15], v61, v[2:3]
	s_delay_alu instid0(VALU_DEP_2) | instskip(NEXT) | instid1(VALU_DEP_2)
	v_cmp_eq_u64_e64 s13, v[118:119], v[18:19]
	v_mov_b64_e32 v[118:119], v[14:15]
	s_and_saveexec_b32 s77, s13
; %bb.1593:                             ;   in Loop: Header=BB2_1357 Depth=4
	v_bfe_u32 v2, v14, 20, 1
	s_delay_alu instid0(VALU_DEP_1) | instskip(NEXT) | instid1(VALU_DEP_1)
	v_add_nc_u64_e32 v[18:19], v[14:15], v[2:3]
	v_add_nc_u64_e32 v[118:119], -1, v[18:19]
; %bb.1594:                             ;   in Loop: Header=BB2_1357 Depth=4
	s_or_b32 exec_lo, exec_lo, s77
	v_add_nc_u32_e32 v2, 0xffffff81, v56
	v_lshrrev_b32_e32 v15, 23, v14
	s_mov_b32 s13, exec_lo
	s_delay_alu instid0(VALU_DEP_2) | instskip(NEXT) | instid1(VALU_DEP_1)
	v_cndmask_b32_e64 v2, v2, 0xffffff82, vcc_lo
	v_add3_u32 v119, v61, v2, v15
	v_and_b32_e32 v2, 0xfffff, v118
                                        ; implicit-def: $vgpr118
	s_delay_alu instid0(VALU_DEP_1) | instskip(NEXT) | instid1(VALU_DEP_1)
	v_dual_add_nc_u32 v56, 6, v119 :: v_dual_add_nc_u32 v2, v2, v14
                                        ; implicit-def: $vgpr14_vgpr15
	v_cmpx_ne_u32_e32 0, v56
	s_xor_b32 s13, exec_lo, s13
; %bb.1595:                             ;   in Loop: Header=BB2_1357 Depth=4
	s_delay_alu instid0(VALU_DEP_2) | instskip(SKIP_1) | instid1(VALU_DEP_1)
	v_cmp_lt_u64_e32 vcc_lo, 0xffffff, v[2:3]
	v_add_nc_u32_e32 v14, 7, v119
	v_cndmask_b32_e32 v118, v56, v14, vcc_lo
	v_cndmask_b32_e64 v14, 0, 1, vcc_lo
	s_delay_alu instid0(VALU_DEP_1)
	v_lshrrev_b64 v[14:15], v14, v[2:3]
; %bb.1596:                             ;   in Loop: Header=BB2_1357 Depth=4
	s_and_not1_saveexec_b32 s13, s13
; %bb.1597:                             ;   in Loop: Header=BB2_1357 Depth=4
	v_mov_b64_e32 v[14:15], v[2:3]
	v_bfe_u32 v118, v2, 23, 1
; %bb.1598:                             ;   in Loop: Header=BB2_1357 Depth=4
	s_or_b32 exec_lo, exec_lo, s13
	s_delay_alu instid0(VALU_DEP_2) | instskip(NEXT) | instid1(VALU_DEP_2)
	v_lshrrev_b64 v[14:15], 20, v[14:15]
	v_cmp_gt_i32_e32 vcc_lo, 16, v118
	v_cmp_ne_u32_e64 s13, 0, v118
                                        ; implicit-def: $vgpr56
	s_delay_alu instid0(VALU_DEP_3) | instskip(NEXT) | instid1(VALU_DEP_1)
	v_dual_cndmask_b32 v15, 0, v15 :: v_dual_cndmask_b32 v14, 7, v14
	v_cmp_ne_u64_e32 vcc_lo, 0, v[14:15]
	s_or_b32 s13, s13, vcc_lo
	s_delay_alu instid0(SALU_CYCLE_1) | instskip(NEXT) | instid1(SALU_CYCLE_1)
	s_and_saveexec_b32 s77, s13
	s_xor_b32 s13, exec_lo, s77
; %bb.1599:                             ;   in Loop: Header=BB2_1357 Depth=4
	v_min_i32_e32 v2, 15, v118
	s_delay_alu instid0(VALU_DEP_1) | instskip(NEXT) | instid1(VALU_DEP_1)
	v_lshl_or_b32 v2, v2, 3, v58
                                        ; implicit-def: $vgpr58
	v_and_or_b32 v56, v14, 7, v2
; %bb.1600:                             ;   in Loop: Header=BB2_1357 Depth=4
	s_and_not1_saveexec_b32 s13, s13
; %bb.1601:                             ;   in Loop: Header=BB2_1357 Depth=4
	v_mov_b32_e32 v56, v58
; %bb.1602:                             ;   in Loop: Header=BB2_1357 Depth=4
	s_or_b32 exec_lo, exec_lo, s13
.LBB2_1603:                             ;   in Loop: Header=BB2_1357 Depth=4
	s_delay_alu instid0(SALU_CYCLE_1)
	s_or_b32 exec_lo, exec_lo, s76
                                        ; implicit-def: $vgpr58
.LBB2_1604:                             ;   in Loop: Header=BB2_1357 Depth=4
	s_and_not1_saveexec_b32 s13, s75
; %bb.1605:                             ;   in Loop: Header=BB2_1357 Depth=4
	v_or_b32_e32 v56, 0x7e, v58
; %bb.1606:                             ;   in Loop: Header=BB2_1357 Depth=4
	s_or_b32 exec_lo, exec_lo, s13
                                        ; implicit-def: $vgpr15
.LBB2_1607:                             ;   in Loop: Header=BB2_1357 Depth=4
	s_and_not1_saveexec_b32 s13, s74
; %bb.1608:                             ;   in Loop: Header=BB2_1357 Depth=4
	v_or_b32_e32 v56, 0x7f, v15
; %bb.1609:                             ;   in Loop: Header=BB2_1357 Depth=4
	s_or_b32 exec_lo, exec_lo, s13
	v_and_b32_e32 v2, 0xff, v47
	v_dual_mov_b32 v14, 0 :: v_dual_mov_b32 v15, 0
	s_mov_b32 s13, exec_lo
	s_delay_alu instid0(VALU_DEP_2)
	v_cmpx_ne_u16_e32 0, v2
	s_cbranch_execz .LBB2_1617
; %bb.1610:                             ;   in Loop: Header=BB2_1357 Depth=4
	v_bfrev_b32_e32 v15, 1
	s_mov_b32 s74, exec_lo
	v_cmpx_ne_u16_e32 0x80, v2
	s_cbranch_execz .LBB2_1616
; %bb.1611:                             ;   in Loop: Header=BB2_1357 Depth=4
	v_and_b32_e32 v118, 0x7f, v47
	v_mov_b32_e32 v15, 0x7f800001
	s_mov_b32 s75, exec_lo
	s_delay_alu instid0(VALU_DEP_2)
	v_cmpx_ne_u32_e32 0x7f, v118
	s_cbranch_execz .LBB2_1615
; %bb.1612:                             ;   in Loop: Header=BB2_1357 Depth=4
	v_and_b32_e32 v2, 7, v2
	v_lshrrev_b32_e32 v15, 3, v118
	s_mov_b32 s76, exec_lo
	v_cmpx_gt_u32_e32 8, v118
; %bb.1613:                             ;   in Loop: Header=BB2_1357 Depth=4
	s_delay_alu instid0(VALU_DEP_3) | instskip(NEXT) | instid1(VALU_DEP_1)
	v_clz_i32_u32_e32 v15, v2
	v_min_u32_e32 v15, 32, v15
	s_delay_alu instid0(VALU_DEP_1) | instskip(NEXT) | instid1(VALU_DEP_1)
	v_subrev_nc_u32_e32 v18, 28, v15
	v_lshlrev_b64_e32 v[18:19], v18, v[2:3]
	s_delay_alu instid0(VALU_DEP_1)
	v_dual_sub_nc_u32 v15, 29, v15 :: v_dual_bitop2_b32 v2, 7, v18 bitop3:0x40
; %bb.1614:                             ;   in Loop: Header=BB2_1357 Depth=4
	s_or_b32 exec_lo, exec_lo, s76
	s_delay_alu instid0(VALU_DEP_1) | instskip(NEXT) | instid1(VALU_DEP_2)
	v_dual_lshlrev_b32 v18, 24, v47 :: v_dual_lshlrev_b32 v2, 20, v2
	v_lshl_add_u32 v15, v15, 23, 0x3c000000
	s_delay_alu instid0(VALU_DEP_2) | instskip(NEXT) | instid1(VALU_DEP_1)
	v_and_b32_e32 v18, 0x80000000, v18
	v_or3_b32 v15, v2, v18, v15
.LBB2_1615:                             ;   in Loop: Header=BB2_1357 Depth=4
	s_or_b32 exec_lo, exec_lo, s75
.LBB2_1616:                             ;   in Loop: Header=BB2_1357 Depth=4
	s_delay_alu instid0(SALU_CYCLE_1)
	s_or_b32 exec_lo, exec_lo, s74
.LBB2_1617:                             ;   in Loop: Header=BB2_1357 Depth=4
	s_delay_alu instid0(SALU_CYCLE_1) | instskip(SKIP_3) | instid1(VALU_DEP_1)
	s_or_b32 exec_lo, exec_lo, s13
	s_wait_loadcnt_dscnt 0x0
	v_and_b32_e32 v2, 0xff, v40
	s_mov_b32 s13, exec_lo
	v_cmpx_ne_u16_e32 0, v2
	s_cbranch_execz .LBB2_1625
; %bb.1618:                             ;   in Loop: Header=BB2_1357 Depth=4
	v_bfrev_b32_e32 v14, 1
	s_mov_b32 s74, exec_lo
	v_cmpx_ne_u16_e32 0x80, v2
	s_cbranch_execz .LBB2_1624
; %bb.1619:                             ;   in Loop: Header=BB2_1357 Depth=4
	v_and_b32_e32 v118, 0x7f, v40
	v_mov_b32_e32 v14, 0x7f800001
	s_mov_b32 s75, exec_lo
	s_delay_alu instid0(VALU_DEP_2)
	v_cmpx_ne_u32_e32 0x7f, v118
	s_cbranch_execz .LBB2_1623
; %bb.1620:                             ;   in Loop: Header=BB2_1357 Depth=4
	v_and_b32_e32 v2, 7, v2
	v_lshrrev_b32_e32 v14, 3, v118
	s_mov_b32 s76, exec_lo
	v_cmpx_gt_u32_e32 8, v118
; %bb.1621:                             ;   in Loop: Header=BB2_1357 Depth=4
	s_delay_alu instid0(VALU_DEP_3) | instskip(NEXT) | instid1(VALU_DEP_1)
	v_clz_i32_u32_e32 v14, v2
	v_min_u32_e32 v14, 32, v14
	s_delay_alu instid0(VALU_DEP_1) | instskip(SKIP_1) | instid1(VALU_DEP_2)
	v_subrev_nc_u32_e32 v18, 28, v14
	v_sub_nc_u32_e32 v14, 29, v14
	v_lshlrev_b64_e32 v[18:19], v18, v[2:3]
	s_delay_alu instid0(VALU_DEP_1)
	v_and_b32_e32 v2, 7, v18
; %bb.1622:                             ;   in Loop: Header=BB2_1357 Depth=4
	s_or_b32 exec_lo, exec_lo, s76
	s_delay_alu instid0(VALU_DEP_1) | instskip(SKIP_1) | instid1(VALU_DEP_2)
	v_dual_lshlrev_b32 v18, 24, v40 :: v_dual_lshlrev_b32 v2, 20, v2
	v_lshl_add_u32 v14, v14, 23, 0x3c000000
	v_and_b32_e32 v18, 0x80000000, v18
	s_delay_alu instid0(VALU_DEP_1)
	v_or3_b32 v14, v2, v18, v14
.LBB2_1623:                             ;   in Loop: Header=BB2_1357 Depth=4
	s_or_b32 exec_lo, exec_lo, s75
.LBB2_1624:                             ;   in Loop: Header=BB2_1357 Depth=4
	s_delay_alu instid0(SALU_CYCLE_1)
	s_or_b32 exec_lo, exec_lo, s74
.LBB2_1625:                             ;   in Loop: Header=BB2_1357 Depth=4
	s_delay_alu instid0(SALU_CYCLE_1) | instskip(NEXT) | instid1(VALU_DEP_1)
	s_or_b32 exec_lo, exec_lo, s13
	v_add_f32_e32 v14, v15, v14
	s_delay_alu instid0(VALU_DEP_1) | instskip(SKIP_1) | instid1(VALU_DEP_2)
	v_and_b32_e32 v2, 0x7f800000, v14
	v_lshrrev_b32_e32 v15, 24, v14
	v_cmp_ne_u64_e32 vcc_lo, 0x7f800000, v[2:3]
                                        ; implicit-def: $vgpr2
	s_and_saveexec_b32 s13, vcc_lo
	s_delay_alu instid0(SALU_CYCLE_1)
	s_xor_b32 s74, exec_lo, s13
	s_cbranch_execz .LBB2_1643
; %bb.1626:                             ;   in Loop: Header=BB2_1357 Depth=4
	v_and_b32_e32 v2, 0x7fffffff, v14
	v_and_b32_e32 v40, 0x80, v15
	s_delay_alu instid0(VALU_DEP_2) | instskip(SKIP_1) | instid1(SALU_CYCLE_1)
	v_cmp_gt_u64_e32 vcc_lo, 0x43e00001, v[2:3]
                                        ; implicit-def: $vgpr2
	s_and_saveexec_b32 s13, vcc_lo
	s_xor_b32 s75, exec_lo, s13
	s_cbranch_execz .LBB2_1640
; %bb.1627:                             ;   in Loop: Header=BB2_1357 Depth=4
	v_mov_b32_e32 v2, 0
	s_mov_b32 s76, exec_lo
	v_cmpx_ne_u32_e32 0, v14
	s_cbranch_execz .LBB2_1639
; %bb.1628:                             ;   in Loop: Header=BB2_1357 Depth=4
	v_bfe_u32 v47, v14, 23, 8
	s_delay_alu instid0(VALU_DEP_1) | instskip(SKIP_1) | instid1(VALU_DEP_2)
	v_sub_nc_u32_e32 v2, 0x79, v47
	v_cmp_gt_u32_e32 vcc_lo, 0x7a, v47
	v_cndmask_b32_e32 v2, 0, v2, vcc_lo
	v_cmp_eq_u32_e32 vcc_lo, 0, v47
	s_delay_alu instid0(VALU_DEP_2) | instskip(SKIP_1) | instid1(VALU_DEP_2)
	v_cndmask_b32_e64 v58, v2, 0x78, vcc_lo
	v_and_b32_e32 v2, 0x7fffff, v14
	v_dual_add_nc_u32 v14, 20, v58 :: v_dual_add_nc_u32 v19, 19, v58
	s_delay_alu instid0(VALU_DEP_2) | instskip(NEXT) | instid1(VALU_DEP_2)
	v_or_b32_e32 v18, 0x800000, v2
	v_lshlrev_b64_e64 v[14:15], v14, -1
	s_delay_alu instid0(VALU_DEP_2) | instskip(NEXT) | instid1(VALU_DEP_4)
	v_cndmask_b32_e32 v2, v18, v2, vcc_lo
	v_lshlrev_b64_e64 v[18:19], v19, 1
	s_delay_alu instid0(VALU_DEP_3) | instskip(NEXT) | instid1(VALU_DEP_3)
	v_bfi_b32 v119, v15, 0, 0
	v_bfi_b32 v118, v14, 0, v2
	v_lshrrev_b64 v[14:15], v58, v[2:3]
	s_delay_alu instid0(VALU_DEP_2) | instskip(NEXT) | instid1(VALU_DEP_2)
	v_cmp_eq_u64_e64 s13, v[118:119], v[18:19]
	v_mov_b64_e32 v[118:119], v[14:15]
	s_and_saveexec_b32 s77, s13
; %bb.1629:                             ;   in Loop: Header=BB2_1357 Depth=4
	v_bfe_u32 v2, v14, 20, 1
	s_delay_alu instid0(VALU_DEP_1) | instskip(NEXT) | instid1(VALU_DEP_1)
	v_add_nc_u64_e32 v[18:19], v[14:15], v[2:3]
	v_add_nc_u64_e32 v[118:119], -1, v[18:19]
; %bb.1630:                             ;   in Loop: Header=BB2_1357 Depth=4
	s_or_b32 exec_lo, exec_lo, s77
	v_add_nc_u32_e32 v2, 0xffffff81, v47
	v_lshrrev_b32_e32 v15, 23, v14
	s_mov_b32 s13, exec_lo
	s_delay_alu instid0(VALU_DEP_2) | instskip(NEXT) | instid1(VALU_DEP_1)
	v_cndmask_b32_e64 v2, v2, 0xffffff82, vcc_lo
	v_add3_u32 v119, v58, v2, v15
	v_and_b32_e32 v2, 0xfffff, v118
                                        ; implicit-def: $vgpr118
	s_delay_alu instid0(VALU_DEP_1) | instskip(NEXT) | instid1(VALU_DEP_1)
	v_dual_add_nc_u32 v47, 6, v119 :: v_dual_add_nc_u32 v2, v2, v14
                                        ; implicit-def: $vgpr14_vgpr15
	v_cmpx_ne_u32_e32 0, v47
	s_xor_b32 s13, exec_lo, s13
; %bb.1631:                             ;   in Loop: Header=BB2_1357 Depth=4
	s_delay_alu instid0(VALU_DEP_2) | instskip(SKIP_1) | instid1(VALU_DEP_1)
	v_cmp_lt_u64_e32 vcc_lo, 0xffffff, v[2:3]
	v_add_nc_u32_e32 v14, 7, v119
	v_cndmask_b32_e32 v118, v47, v14, vcc_lo
	v_cndmask_b32_e64 v14, 0, 1, vcc_lo
	s_delay_alu instid0(VALU_DEP_1)
	v_lshrrev_b64 v[14:15], v14, v[2:3]
; %bb.1632:                             ;   in Loop: Header=BB2_1357 Depth=4
	s_and_not1_saveexec_b32 s13, s13
; %bb.1633:                             ;   in Loop: Header=BB2_1357 Depth=4
	v_mov_b64_e32 v[14:15], v[2:3]
	v_bfe_u32 v118, v2, 23, 1
; %bb.1634:                             ;   in Loop: Header=BB2_1357 Depth=4
	s_or_b32 exec_lo, exec_lo, s13
	s_delay_alu instid0(VALU_DEP_2) | instskip(NEXT) | instid1(VALU_DEP_2)
	v_lshrrev_b64 v[14:15], 20, v[14:15]
	v_cmp_gt_i32_e32 vcc_lo, 16, v118
	v_cmp_ne_u32_e64 s13, 0, v118
                                        ; implicit-def: $vgpr2
	s_delay_alu instid0(VALU_DEP_3) | instskip(NEXT) | instid1(VALU_DEP_1)
	v_dual_cndmask_b32 v15, 0, v15 :: v_dual_cndmask_b32 v14, 7, v14
	v_cmp_ne_u64_e32 vcc_lo, 0, v[14:15]
	s_or_b32 s13, s13, vcc_lo
	s_delay_alu instid0(SALU_CYCLE_1) | instskip(NEXT) | instid1(SALU_CYCLE_1)
	s_and_saveexec_b32 s77, s13
	s_xor_b32 s13, exec_lo, s77
; %bb.1635:                             ;   in Loop: Header=BB2_1357 Depth=4
	v_min_i32_e32 v2, 15, v118
	s_delay_alu instid0(VALU_DEP_1) | instskip(NEXT) | instid1(VALU_DEP_1)
	v_lshl_or_b32 v2, v2, 3, v40
                                        ; implicit-def: $vgpr40
	v_and_or_b32 v2, v14, 7, v2
; %bb.1636:                             ;   in Loop: Header=BB2_1357 Depth=4
	s_and_not1_saveexec_b32 s13, s13
; %bb.1637:                             ;   in Loop: Header=BB2_1357 Depth=4
	v_mov_b32_e32 v2, v40
; %bb.1638:                             ;   in Loop: Header=BB2_1357 Depth=4
	s_or_b32 exec_lo, exec_lo, s13
.LBB2_1639:                             ;   in Loop: Header=BB2_1357 Depth=4
	s_delay_alu instid0(SALU_CYCLE_1)
	s_or_b32 exec_lo, exec_lo, s76
                                        ; implicit-def: $vgpr40
.LBB2_1640:                             ;   in Loop: Header=BB2_1357 Depth=4
	s_and_not1_saveexec_b32 s13, s75
; %bb.1641:                             ;   in Loop: Header=BB2_1357 Depth=4
	v_or_b32_e32 v2, 0x7e, v40
; %bb.1642:                             ;   in Loop: Header=BB2_1357 Depth=4
	s_or_b32 exec_lo, exec_lo, s13
                                        ; implicit-def: $vgpr15
.LBB2_1643:                             ;   in Loop: Header=BB2_1357 Depth=4
	s_and_not1_saveexec_b32 s13, s74
	s_cbranch_execz .LBB2_1356
; %bb.1644:                             ;   in Loop: Header=BB2_1357 Depth=4
	v_or_b32_e32 v2, 0x7f, v15
	s_branch .LBB2_1356
.LBB2_1645:                             ;   in Loop: Header=BB2_274 Depth=3
	s_or_b32 exec_lo, exec_lo, s73
.LBB2_1646:                             ;   in Loop: Header=BB2_274 Depth=3
	s_delay_alu instid0(SALU_CYCLE_1) | instskip(SKIP_1) | instid1(VALU_DEP_1)
	s_or_b32 exec_lo, exec_lo, s15
	v_lshlrev_b32_e32 v2, 8, v46
	v_cmp_ne_u32_e32 vcc_lo, v43, v2
	s_and_b32 exec_lo, exec_lo, vcc_lo
	s_cbranch_execz .LBB2_1686
; %bb.1647:                             ;   in Loop: Header=BB2_274 Depth=3
	v_dual_add_nc_u32 v8, v44, v45 :: v_dual_lshlrev_b32 v9, 5, v115
	s_delay_alu instid0(VALU_DEP_1) | instskip(NEXT) | instid1(VALU_DEP_1)
	v_and_b32_e32 v8, 0xffffffe0, v8
	v_sub_nc_u32_e32 v8, v44, v8
	s_delay_alu instid0(VALU_DEP_1) | instskip(NEXT) | instid1(VALU_DEP_1)
	v_sub_nc_u32_e32 v8, v8, v9
	v_add_nc_u32_e32 v2, v2, v8
	s_delay_alu instid0(VALU_DEP_1) | instskip(NEXT) | instid1(VALU_DEP_1)
	v_sub_nc_u32_e32 v115, v43, v2
	v_cmp_lt_i32_e32 vcc_lo, 0, v115
	s_and_b32 exec_lo, exec_lo, vcc_lo
	s_cbranch_execz .LBB2_1686
; %bb.1648:                             ;   in Loop: Header=BB2_274 Depth=3
	s_trap 2
	ds_load_b128 v[8:11], v0
	ds_load_b64 v[12:13], v0
	v_add_nc_u32_e32 v14, v2, v42
	s_mov_b32 s15, 0
	s_delay_alu instid0(VALU_DEP_1) | instskip(SKIP_1) | instid1(VALU_DEP_1)
	v_ashrrev_i32_e32 v15, 31, v14
	s_wait_dscnt 0x1
	v_add_nc_u64_e32 v[8:9], v[8:9], v[14:15]
	v_add_nc_u64_e32 v[10:11], v[10:11], v[14:15]
	s_wait_dscnt 0x0
	v_add_nc_u64_e32 v[12:13], v[12:13], v[14:15]
	s_branch .LBB2_1650
.LBB2_1649:                             ;   in Loop: Header=BB2_1650 Depth=4
	s_or_b32 exec_lo, exec_lo, s13
	v_sub_nc_u32_e32 v115, v115, v38
	flat_store_b8 v[12:13], v2 th:TH_STORE_NT
	v_add_nc_u64_e32 v[8:9], v[8:9], v[38:39]
	v_add_nc_u64_e32 v[10:11], v[10:11], v[38:39]
	s_wait_xcnt 0x0
	v_add_nc_u64_e32 v[12:13], v[12:13], v[38:39]
	v_cmp_gt_i32_e32 vcc_lo, 1, v115
	s_or_b32 s15, vcc_lo, s15
	s_delay_alu instid0(SALU_CYCLE_1)
	s_and_not1_b32 exec_lo, exec_lo, s15
	s_cbranch_execz .LBB2_1686
.LBB2_1650:                             ;   Parent Loop BB2_47 Depth=1
                                        ;     Parent Loop BB2_271 Depth=2
                                        ;       Parent Loop BB2_274 Depth=3
                                        ; =>      This Inner Loop Header: Depth=4
	flat_load_u8 v119, v[8:9] th:TH_LOAD_NT
	flat_load_u8 v14, v[10:11] th:TH_LOAD_NT
	v_dual_mov_b32 v15, 0 :: v_dual_mov_b32 v118, 0
	s_mov_b32 s13, exec_lo
	s_wait_loadcnt_dscnt 0x101
	s_wait_xcnt 0x0
	v_cmpx_ne_u16_e32 0, v119
	s_cbranch_execz .LBB2_1658
; %bb.1651:                             ;   in Loop: Header=BB2_1650 Depth=4
	v_bfrev_b32_e32 v118, 1
	s_mov_b32 s73, exec_lo
	v_cmpx_ne_u16_e32 0x80, v119
	s_cbranch_execz .LBB2_1657
; %bb.1652:                             ;   in Loop: Header=BB2_1650 Depth=4
	v_and_b32_e32 v2, 0xffff, v119
	v_mov_b32_e32 v118, 0x7f800001
	s_mov_b32 s74, exec_lo
	s_delay_alu instid0(VALU_DEP_2) | instskip(NEXT) | instid1(VALU_DEP_1)
	v_and_b32_e32 v40, 0x7f, v2
	v_cmpx_ne_u32_e32 0x7f, v40
	s_cbranch_execz .LBB2_1656
; %bb.1653:                             ;   in Loop: Header=BB2_1650 Depth=4
	v_dual_lshrrev_b32 v118, 3, v40 :: v_dual_bitop2_b32 v2, 7, v2 bitop3:0x40
	s_mov_b32 s75, exec_lo
	v_cmpx_gt_u32_e32 8, v40
; %bb.1654:                             ;   in Loop: Header=BB2_1650 Depth=4
	s_delay_alu instid0(VALU_DEP_2) | instskip(NEXT) | instid1(VALU_DEP_1)
	v_clz_i32_u32_e32 v18, v2
	v_min_u32_e32 v118, 32, v18
	s_delay_alu instid0(VALU_DEP_1) | instskip(SKIP_1) | instid1(VALU_DEP_2)
	v_subrev_nc_u32_e32 v18, 28, v118
	v_sub_nc_u32_e32 v118, 29, v118
	v_lshlrev_b64_e32 v[18:19], v18, v[2:3]
	s_delay_alu instid0(VALU_DEP_1)
	v_and_b32_e32 v2, 7, v18
; %bb.1655:                             ;   in Loop: Header=BB2_1650 Depth=4
	s_or_b32 exec_lo, exec_lo, s75
	s_delay_alu instid0(VALU_DEP_1) | instskip(SKIP_1) | instid1(VALU_DEP_2)
	v_dual_lshlrev_b32 v18, 24, v119 :: v_dual_lshlrev_b32 v2, 20, v2
	v_lshl_add_u32 v19, v118, 23, 0x3c000000
	v_and_b32_e32 v18, 0x80000000, v18
	s_delay_alu instid0(VALU_DEP_1)
	v_or3_b32 v118, v2, v18, v19
.LBB2_1656:                             ;   in Loop: Header=BB2_1650 Depth=4
	s_or_b32 exec_lo, exec_lo, s74
.LBB2_1657:                             ;   in Loop: Header=BB2_1650 Depth=4
	s_delay_alu instid0(SALU_CYCLE_1)
	s_or_b32 exec_lo, exec_lo, s73
.LBB2_1658:                             ;   in Loop: Header=BB2_1650 Depth=4
	s_delay_alu instid0(SALU_CYCLE_1) | instskip(SKIP_3) | instid1(VALU_DEP_1)
	s_or_b32 exec_lo, exec_lo, s13
	s_wait_loadcnt_dscnt 0x0
	v_and_b32_e32 v2, 0xff, v14
	s_mov_b32 s13, exec_lo
	v_cmpx_ne_u16_e32 0, v2
	s_cbranch_execz .LBB2_1666
; %bb.1659:                             ;   in Loop: Header=BB2_1650 Depth=4
	v_bfrev_b32_e32 v15, 1
	s_mov_b32 s73, exec_lo
	v_cmpx_ne_u16_e32 0x80, v2
	s_cbranch_execz .LBB2_1665
; %bb.1660:                             ;   in Loop: Header=BB2_1650 Depth=4
	v_and_b32_e32 v119, 0x7f, v14
	v_mov_b32_e32 v15, 0x7f800001
	s_mov_b32 s74, exec_lo
	s_delay_alu instid0(VALU_DEP_2)
	v_cmpx_ne_u32_e32 0x7f, v119
	s_cbranch_execz .LBB2_1664
; %bb.1661:                             ;   in Loop: Header=BB2_1650 Depth=4
	v_dual_lshrrev_b32 v15, 3, v119 :: v_dual_bitop2_b32 v2, 7, v2 bitop3:0x40
	s_mov_b32 s75, exec_lo
	v_cmpx_gt_u32_e32 8, v119
; %bb.1662:                             ;   in Loop: Header=BB2_1650 Depth=4
	s_delay_alu instid0(VALU_DEP_2) | instskip(NEXT) | instid1(VALU_DEP_1)
	v_clz_i32_u32_e32 v15, v2
	v_min_u32_e32 v15, 32, v15
	s_delay_alu instid0(VALU_DEP_1) | instskip(NEXT) | instid1(VALU_DEP_1)
	v_subrev_nc_u32_e32 v18, 28, v15
	v_lshlrev_b64_e32 v[18:19], v18, v[2:3]
	s_delay_alu instid0(VALU_DEP_1)
	v_dual_sub_nc_u32 v15, 29, v15 :: v_dual_bitop2_b32 v2, 7, v18 bitop3:0x40
; %bb.1663:                             ;   in Loop: Header=BB2_1650 Depth=4
	s_or_b32 exec_lo, exec_lo, s75
	v_lshlrev_b32_e32 v14, 24, v14
	s_delay_alu instid0(VALU_DEP_2) | instskip(NEXT) | instid1(VALU_DEP_3)
	v_lshlrev_b32_e32 v2, 20, v2
	v_lshl_add_u32 v15, v15, 23, 0x3c000000
	s_delay_alu instid0(VALU_DEP_3) | instskip(NEXT) | instid1(VALU_DEP_1)
	v_and_b32_e32 v14, 0x80000000, v14
	v_or3_b32 v15, v2, v14, v15
.LBB2_1664:                             ;   in Loop: Header=BB2_1650 Depth=4
	s_or_b32 exec_lo, exec_lo, s74
.LBB2_1665:                             ;   in Loop: Header=BB2_1650 Depth=4
	s_delay_alu instid0(SALU_CYCLE_1)
	s_or_b32 exec_lo, exec_lo, s73
.LBB2_1666:                             ;   in Loop: Header=BB2_1650 Depth=4
	s_delay_alu instid0(SALU_CYCLE_1) | instskip(NEXT) | instid1(VALU_DEP_1)
	s_or_b32 exec_lo, exec_lo, s13
	v_add_f32_e32 v14, v118, v15
	s_delay_alu instid0(VALU_DEP_1) | instskip(SKIP_1) | instid1(VALU_DEP_2)
	v_and_b32_e32 v2, 0x7f800000, v14
	v_lshrrev_b32_e32 v15, 24, v14
	v_cmp_ne_u64_e32 vcc_lo, 0x7f800000, v[2:3]
                                        ; implicit-def: $vgpr2
	s_and_saveexec_b32 s13, vcc_lo
	s_delay_alu instid0(SALU_CYCLE_1)
	s_xor_b32 s73, exec_lo, s13
	s_cbranch_execz .LBB2_1684
; %bb.1667:                             ;   in Loop: Header=BB2_1650 Depth=4
	v_and_b32_e32 v2, 0x7fffffff, v14
	v_and_b32_e32 v40, 0x80, v15
	s_delay_alu instid0(VALU_DEP_2) | instskip(SKIP_1) | instid1(SALU_CYCLE_1)
	v_cmp_gt_u64_e32 vcc_lo, 0x43e00001, v[2:3]
                                        ; implicit-def: $vgpr2
	s_and_saveexec_b32 s13, vcc_lo
	s_xor_b32 s74, exec_lo, s13
	s_cbranch_execz .LBB2_1681
; %bb.1668:                             ;   in Loop: Header=BB2_1650 Depth=4
	v_mov_b32_e32 v2, 0
	s_mov_b32 s75, exec_lo
	v_cmpx_ne_u32_e32 0, v14
	s_cbranch_execz .LBB2_1680
; %bb.1669:                             ;   in Loop: Header=BB2_1650 Depth=4
	v_bfe_u32 v41, v14, 23, 8
	s_delay_alu instid0(VALU_DEP_1) | instskip(SKIP_1) | instid1(VALU_DEP_2)
	v_sub_nc_u32_e32 v2, 0x79, v41
	v_cmp_gt_u32_e32 vcc_lo, 0x7a, v41
	v_cndmask_b32_e32 v2, 0, v2, vcc_lo
	v_cmp_eq_u32_e32 vcc_lo, 0, v41
	s_delay_alu instid0(VALU_DEP_2) | instskip(SKIP_1) | instid1(VALU_DEP_2)
	v_cndmask_b32_e64 v42, v2, 0x78, vcc_lo
	v_and_b32_e32 v2, 0x7fffff, v14
	v_dual_add_nc_u32 v14, 20, v42 :: v_dual_add_nc_u32 v19, 19, v42
	s_delay_alu instid0(VALU_DEP_2) | instskip(NEXT) | instid1(VALU_DEP_2)
	v_or_b32_e32 v18, 0x800000, v2
	v_lshlrev_b64_e64 v[14:15], v14, -1
	s_delay_alu instid0(VALU_DEP_2) | instskip(NEXT) | instid1(VALU_DEP_4)
	v_cndmask_b32_e32 v2, v18, v2, vcc_lo
	v_lshlrev_b64_e64 v[18:19], v19, 1
	s_delay_alu instid0(VALU_DEP_3) | instskip(NEXT) | instid1(VALU_DEP_3)
	v_bfi_b32 v119, v15, 0, 0
	v_bfi_b32 v118, v14, 0, v2
	v_lshrrev_b64 v[14:15], v42, v[2:3]
	s_delay_alu instid0(VALU_DEP_2) | instskip(NEXT) | instid1(VALU_DEP_2)
	v_cmp_eq_u64_e64 s13, v[118:119], v[18:19]
	v_mov_b64_e32 v[118:119], v[14:15]
	s_and_saveexec_b32 s76, s13
; %bb.1670:                             ;   in Loop: Header=BB2_1650 Depth=4
	v_bfe_u32 v2, v14, 20, 1
	s_delay_alu instid0(VALU_DEP_1) | instskip(NEXT) | instid1(VALU_DEP_1)
	v_add_nc_u64_e32 v[18:19], v[14:15], v[2:3]
	v_add_nc_u64_e32 v[118:119], -1, v[18:19]
; %bb.1671:                             ;   in Loop: Header=BB2_1650 Depth=4
	s_or_b32 exec_lo, exec_lo, s76
	v_add_nc_u32_e32 v2, 0xffffff81, v41
	v_lshrrev_b32_e32 v15, 23, v14
	s_mov_b32 s13, exec_lo
	s_delay_alu instid0(VALU_DEP_2) | instskip(NEXT) | instid1(VALU_DEP_1)
	v_cndmask_b32_e64 v2, v2, 0xffffff82, vcc_lo
	v_add3_u32 v119, v42, v2, v15
	v_and_b32_e32 v2, 0xfffff, v118
                                        ; implicit-def: $vgpr118
	s_delay_alu instid0(VALU_DEP_1) | instskip(NEXT) | instid1(VALU_DEP_1)
	v_dual_add_nc_u32 v41, 6, v119 :: v_dual_add_nc_u32 v2, v2, v14
                                        ; implicit-def: $vgpr14_vgpr15
	v_cmpx_ne_u32_e32 0, v41
	s_xor_b32 s13, exec_lo, s13
; %bb.1672:                             ;   in Loop: Header=BB2_1650 Depth=4
	s_delay_alu instid0(VALU_DEP_2) | instskip(SKIP_1) | instid1(VALU_DEP_1)
	v_cmp_lt_u64_e32 vcc_lo, 0xffffff, v[2:3]
	v_add_nc_u32_e32 v14, 7, v119
	v_cndmask_b32_e32 v118, v41, v14, vcc_lo
	v_cndmask_b32_e64 v14, 0, 1, vcc_lo
	s_delay_alu instid0(VALU_DEP_1)
	v_lshrrev_b64 v[14:15], v14, v[2:3]
; %bb.1673:                             ;   in Loop: Header=BB2_1650 Depth=4
	s_and_not1_saveexec_b32 s13, s13
; %bb.1674:                             ;   in Loop: Header=BB2_1650 Depth=4
	v_mov_b64_e32 v[14:15], v[2:3]
	v_bfe_u32 v118, v2, 23, 1
; %bb.1675:                             ;   in Loop: Header=BB2_1650 Depth=4
	s_or_b32 exec_lo, exec_lo, s13
	s_delay_alu instid0(VALU_DEP_2) | instskip(NEXT) | instid1(VALU_DEP_2)
	v_lshrrev_b64 v[14:15], 20, v[14:15]
	v_cmp_gt_i32_e32 vcc_lo, 16, v118
	v_cmp_ne_u32_e64 s13, 0, v118
                                        ; implicit-def: $vgpr2
	s_delay_alu instid0(VALU_DEP_3) | instskip(NEXT) | instid1(VALU_DEP_1)
	v_dual_cndmask_b32 v15, 0, v15 :: v_dual_cndmask_b32 v14, 7, v14
	v_cmp_ne_u64_e32 vcc_lo, 0, v[14:15]
	s_or_b32 s13, s13, vcc_lo
	s_delay_alu instid0(SALU_CYCLE_1) | instskip(NEXT) | instid1(SALU_CYCLE_1)
	s_and_saveexec_b32 s76, s13
	s_xor_b32 s13, exec_lo, s76
; %bb.1676:                             ;   in Loop: Header=BB2_1650 Depth=4
	v_min_i32_e32 v2, 15, v118
	s_delay_alu instid0(VALU_DEP_1) | instskip(NEXT) | instid1(VALU_DEP_1)
	v_lshl_or_b32 v2, v2, 3, v40
                                        ; implicit-def: $vgpr40
	v_and_or_b32 v2, v14, 7, v2
; %bb.1677:                             ;   in Loop: Header=BB2_1650 Depth=4
	s_and_not1_saveexec_b32 s13, s13
; %bb.1678:                             ;   in Loop: Header=BB2_1650 Depth=4
	v_mov_b32_e32 v2, v40
; %bb.1679:                             ;   in Loop: Header=BB2_1650 Depth=4
	s_or_b32 exec_lo, exec_lo, s13
.LBB2_1680:                             ;   in Loop: Header=BB2_1650 Depth=4
	s_delay_alu instid0(SALU_CYCLE_1)
	s_or_b32 exec_lo, exec_lo, s75
                                        ; implicit-def: $vgpr40
.LBB2_1681:                             ;   in Loop: Header=BB2_1650 Depth=4
	s_and_not1_saveexec_b32 s13, s74
; %bb.1682:                             ;   in Loop: Header=BB2_1650 Depth=4
	v_or_b32_e32 v2, 0x7e, v40
; %bb.1683:                             ;   in Loop: Header=BB2_1650 Depth=4
	s_or_b32 exec_lo, exec_lo, s13
                                        ; implicit-def: $vgpr15
.LBB2_1684:                             ;   in Loop: Header=BB2_1650 Depth=4
	s_and_not1_saveexec_b32 s13, s73
	s_cbranch_execz .LBB2_1649
; %bb.1685:                             ;   in Loop: Header=BB2_1650 Depth=4
	v_or_b32_e32 v2, 0x7f, v15
	s_branch .LBB2_1649
.LBB2_1686:                             ;   in Loop: Header=BB2_274 Depth=3
	s_or_b32 exec_lo, exec_lo, s14
	v_cmp_lt_i32_e64 s13, 0, v113
	s_and_saveexec_b32 s14, s2
	s_cbranch_execz .LBB2_1705
.LBB2_1687:                             ;   in Loop: Header=BB2_274 Depth=3
	s_and_saveexec_b32 s15, s3
	s_delay_alu instid0(SALU_CYCLE_1)
	s_xor_b32 s15, exec_lo, s15
	s_cbranch_execz .LBB2_1702
; %bb.1688:                             ;   in Loop: Header=BB2_274 Depth=3
	s_and_saveexec_b32 s73, s6
	s_cbranch_execz .LBB2_1701
; %bb.1689:                             ;   in Loop: Header=BB2_274 Depth=3
	s_mov_b32 s75, exec_lo
	s_mov_b32 s74, exec_lo
	v_mbcnt_lo_u32_b32 v2, s75, 0
	global_wb scope:SCOPE_DEV
	s_wait_storecnt 0x0
	s_wait_loadcnt_dscnt 0x0
	global_inv scope:SCOPE_DEV
	v_cmpx_eq_u32_e32 0, v2
	s_cbranch_execz .LBB2_1691
; %bb.1690:                             ;   in Loop: Header=BB2_274 Depth=3
	s_bcnt1_i32_b32 s75, s75
	s_delay_alu instid0(SALU_CYCLE_1)
	v_mov_b32_e32 v2, s75
	s_wait_loadcnt 0x0
	ds_add_u64 v0, v[2:3]
	s_trap 2
.LBB2_1691:                             ;   in Loop: Header=BB2_274 Depth=3
	s_or_b32 exec_lo, exec_lo, s74
	s_trap 2
	ds_load_b64 v[8:9], v0
	s_wait_dscnt 0x0
	v_add_nc_u64_e32 v[32:33], v[32:33], v[36:37]
	s_mov_b32 s74, exec_lo
	s_delay_alu instid0(VALU_DEP_1)
	v_cmpx_lt_u64_e64 v[8:9], v[32:33]
	s_cbranch_execz .LBB2_1700
; %bb.1692:                             ;   in Loop: Header=BB2_274 Depth=3
	s_mov_b32 s75, 0
	s_mov_b32 s78, 0
                                        ; implicit-def: $sgpr76
                                        ; implicit-def: $sgpr77
	s_branch .LBB2_1694
.LBB2_1693:                             ;   in Loop: Header=BB2_1694 Depth=4
	s_or_b32 exec_lo, exec_lo, s88
	s_delay_alu instid0(SALU_CYCLE_1) | instskip(NEXT) | instid1(SALU_CYCLE_1)
	s_and_b32 s79, exec_lo, s89
	s_or_b32 s75, s79, s75
	s_and_not1_b32 s76, s76, exec_lo
	s_and_b32 s79, s77, exec_lo
	s_delay_alu instid0(SALU_CYCLE_1)
	s_or_b32 s76, s76, s79
	s_and_not1_b32 exec_lo, exec_lo, s75
	s_cbranch_execz .LBB2_1698
.LBB2_1694:                             ;   Parent Loop BB2_47 Depth=1
                                        ;     Parent Loop BB2_271 Depth=2
                                        ;       Parent Loop BB2_274 Depth=3
                                        ; =>      This Inner Loop Header: Depth=4
	s_add_co_i32 s78, s78, 1
	s_delay_alu instid0(SALU_CYCLE_1) | instskip(SKIP_1) | instid1(SALU_CYCLE_1)
	s_cmp_lg_u32 s78, 0x2710
	s_cselect_b32 s79, -1, 0
	s_and_b32 vcc_lo, exec_lo, s79
	s_cbranch_vccz .LBB2_1696
; %bb.1695:                             ;   in Loop: Header=BB2_1694 Depth=4
	s_mov_b32 s89, -1
	s_or_b32 s77, s77, exec_lo
	s_and_saveexec_b32 s88, s79
	s_cbranch_execz .LBB2_1693
	s_branch .LBB2_1697
.LBB2_1696:                             ;   in Loop: Header=BB2_1694 Depth=4
	s_trap 2
	ds_load_b64 v[8:9], v0
	s_and_not1_b32 s79, s79, exec_lo
	s_mov_b32 s78, 0
	s_wait_loadcnt_dscnt 0x0
	flat_load_b32 v2, v[8:9] scope:SCOPE_SYS
	s_wait_loadcnt_dscnt 0x0
	global_inv scope:SCOPE_SYS
	v_cmp_eq_u32_e32 vcc_lo, 0, v2
	s_and_b32 s88, vcc_lo, exec_lo
	s_delay_alu instid0(SALU_CYCLE_1)
	s_or_b32 s79, s79, s88
	s_mov_b32 s89, -1
	s_or_b32 s77, s77, exec_lo
	s_and_saveexec_b32 s88, s79
	s_cbranch_execz .LBB2_1693
.LBB2_1697:                             ;   in Loop: Header=BB2_1694 Depth=4
	s_sleep 1
	s_trap 2
	ds_load_b64 v[8:9], v0
	s_wait_dscnt 0x0
	s_and_not1_b32 s77, s77, exec_lo
	v_cmp_ge_u64_e32 vcc_lo, v[8:9], v[32:33]
	s_or_not1_b32 s89, vcc_lo, exec_lo
	s_branch .LBB2_1693
.LBB2_1698:                             ;   in Loop: Header=BB2_274 Depth=3
	s_or_b32 exec_lo, exec_lo, s75
	s_and_saveexec_b32 s75, s76
	s_delay_alu instid0(SALU_CYCLE_1)
	s_xor_b32 s75, exec_lo, s75
	s_cbranch_execz .LBB2_1700
; %bb.1699:                             ;   in Loop: Header=BB2_274 Depth=3
	ds_store_b32 v0, v75
	s_trap 2
.LBB2_1700:                             ;   in Loop: Header=BB2_274 Depth=3
	s_or_b32 exec_lo, exec_lo, s74
	;;#ASMSTART
	s_wakeup
	;;#ASMEND
.LBB2_1701:                             ;   in Loop: Header=BB2_274 Depth=3
	s_or_b32 exec_lo, exec_lo, s73
.LBB2_1702:                             ;   in Loop: Header=BB2_274 Depth=3
	s_and_not1_saveexec_b32 s15, s15
	s_cbranch_execz .LBB2_1704
; %bb.1703:                             ;   in Loop: Header=BB2_274 Depth=3
	global_wb scope:SCOPE_DEV
	s_wait_storecnt 0x0
	s_wait_loadcnt_dscnt 0x0
	global_inv scope:SCOPE_DEV
	s_barrier_signal -1
	s_barrier_wait -1
.LBB2_1704:                             ;   in Loop: Header=BB2_274 Depth=3
	s_or_b32 exec_lo, exec_lo, s15
.LBB2_1705:                             ;   in Loop: Header=BB2_274 Depth=3
	s_delay_alu instid0(SALU_CYCLE_1) | instskip(SKIP_2) | instid1(SALU_CYCLE_1)
	s_or_b32 exec_lo, exec_lo, s14
	v_and_b32_e32 v8, 16, v30
	s_and_saveexec_b32 s14, s7
	s_xor_b32 s14, exec_lo, s14
	s_cbranch_execz .LBB2_1709
; %bb.1706:                             ;   in Loop: Header=BB2_274 Depth=3
	v_and_b32_e32 v2, 16, v30
	v_and_b32_e32 v8, 16, v30
	s_delay_alu instid0(VALU_DEP_2) | instskip(SKIP_1) | instid1(SALU_CYCLE_1)
	v_cmp_ne_u32_e32 vcc_lo, 0, v2
	s_and_b32 s15, vcc_lo, s13
	s_and_saveexec_b32 s13, s15
	s_cbranch_execz .LBB2_1708
; %bb.1707:                             ;   in Loop: Header=BB2_274 Depth=3
	v_mov_b32_e32 v8, 1
	global_wb scope:SCOPE_SYS
	s_wait_storecnt 0x0
	s_wait_loadcnt_dscnt 0x0
	global_inv scope:SCOPE_SYS
.LBB2_1708:                             ;   in Loop: Header=BB2_274 Depth=3
	s_or_b32 exec_lo, exec_lo, s13
.LBB2_1709:                             ;   in Loop: Header=BB2_274 Depth=3
	s_and_not1_saveexec_b32 s13, s14
	s_cbranch_execz .LBB2_1728
; %bb.1710:                             ;   in Loop: Header=BB2_274 Depth=3
	s_and_saveexec_b32 s14, s3
	s_delay_alu instid0(SALU_CYCLE_1)
	s_xor_b32 s14, exec_lo, s14
	s_cbranch_execz .LBB2_1725
; %bb.1711:                             ;   in Loop: Header=BB2_274 Depth=3
	s_and_saveexec_b32 s15, s6
	s_cbranch_execz .LBB2_1724
; %bb.1712:                             ;   in Loop: Header=BB2_274 Depth=3
	s_mov_b32 s74, exec_lo
	s_mov_b32 s73, exec_lo
	v_mbcnt_lo_u32_b32 v2, s74, 0
	;;#ASMSTART
	s_waitcnt lgkmcnt(0) vmcnt(0)
	;;#ASMEND
	s_delay_alu instid0(VALU_DEP_1)
	v_cmpx_eq_u32_e32 0, v2
	s_cbranch_execz .LBB2_1714
; %bb.1713:                             ;   in Loop: Header=BB2_274 Depth=3
	s_bcnt1_i32_b32 s74, s74
	s_delay_alu instid0(SALU_CYCLE_1)
	v_mov_b32_e32 v2, s74
	s_wait_storecnt 0x0
	s_wait_loadcnt_dscnt 0x0
	ds_add_u64 v0, v[2:3]
	s_trap 2
.LBB2_1714:                             ;   in Loop: Header=BB2_274 Depth=3
	s_or_b32 exec_lo, exec_lo, s73
	s_trap 2
	ds_load_b64 v[10:11], v0
	s_wait_dscnt 0x0
	v_add_nc_u64_e32 v[32:33], v[32:33], v[36:37]
	s_mov_b32 s73, exec_lo
	s_delay_alu instid0(VALU_DEP_1)
	v_cmpx_lt_u64_e64 v[10:11], v[32:33]
	s_cbranch_execz .LBB2_1723
; %bb.1715:                             ;   in Loop: Header=BB2_274 Depth=3
	s_mov_b32 s74, 0
	s_mov_b32 s77, 0
                                        ; implicit-def: $sgpr75
                                        ; implicit-def: $sgpr76
	s_branch .LBB2_1717
.LBB2_1716:                             ;   in Loop: Header=BB2_1717 Depth=4
	s_or_b32 exec_lo, exec_lo, s79
	s_delay_alu instid0(SALU_CYCLE_1) | instskip(NEXT) | instid1(SALU_CYCLE_1)
	s_and_b32 s78, exec_lo, s88
	s_or_b32 s74, s78, s74
	s_and_not1_b32 s75, s75, exec_lo
	s_and_b32 s78, s76, exec_lo
	s_delay_alu instid0(SALU_CYCLE_1)
	s_or_b32 s75, s75, s78
	s_and_not1_b32 exec_lo, exec_lo, s74
	s_cbranch_execz .LBB2_1721
.LBB2_1717:                             ;   Parent Loop BB2_47 Depth=1
                                        ;     Parent Loop BB2_271 Depth=2
                                        ;       Parent Loop BB2_274 Depth=3
                                        ; =>      This Inner Loop Header: Depth=4
	s_add_co_i32 s77, s77, 1
	s_delay_alu instid0(SALU_CYCLE_1) | instskip(SKIP_1) | instid1(SALU_CYCLE_1)
	s_cmp_lg_u32 s77, 0x2710
	s_cselect_b32 s78, -1, 0
	s_and_b32 vcc_lo, exec_lo, s78
	s_cbranch_vccz .LBB2_1719
; %bb.1718:                             ;   in Loop: Header=BB2_1717 Depth=4
	s_mov_b32 s88, -1
	s_or_b32 s76, s76, exec_lo
	s_and_saveexec_b32 s79, s78
	s_cbranch_execz .LBB2_1716
	s_branch .LBB2_1720
.LBB2_1719:                             ;   in Loop: Header=BB2_1717 Depth=4
	s_trap 2
	ds_load_b64 v[10:11], v0
	s_and_not1_b32 s78, s78, exec_lo
	s_mov_b32 s77, 0
	s_wait_storecnt 0x0
	s_wait_loadcnt_dscnt 0x0
	flat_load_b32 v2, v[10:11] scope:SCOPE_SYS
	s_wait_loadcnt_dscnt 0x0
	global_inv scope:SCOPE_SYS
	v_cmp_eq_u32_e32 vcc_lo, 0, v2
	s_and_b32 s79, vcc_lo, exec_lo
	s_delay_alu instid0(SALU_CYCLE_1)
	s_or_b32 s78, s78, s79
	s_mov_b32 s88, -1
	s_or_b32 s76, s76, exec_lo
	s_and_saveexec_b32 s79, s78
	s_cbranch_execz .LBB2_1716
.LBB2_1720:                             ;   in Loop: Header=BB2_1717 Depth=4
	s_sleep 1
	s_trap 2
	ds_load_b64 v[10:11], v0
	s_wait_dscnt 0x0
	s_and_not1_b32 s76, s76, exec_lo
	v_cmp_ge_u64_e32 vcc_lo, v[10:11], v[32:33]
	s_or_not1_b32 s88, vcc_lo, exec_lo
	s_branch .LBB2_1716
.LBB2_1721:                             ;   in Loop: Header=BB2_274 Depth=3
	s_or_b32 exec_lo, exec_lo, s74
	s_and_saveexec_b32 s74, s75
	s_delay_alu instid0(SALU_CYCLE_1)
	s_xor_b32 s74, exec_lo, s74
	s_cbranch_execz .LBB2_1723
; %bb.1722:                             ;   in Loop: Header=BB2_274 Depth=3
	ds_store_b32 v0, v75
	s_trap 2
.LBB2_1723:                             ;   in Loop: Header=BB2_274 Depth=3
	s_or_b32 exec_lo, exec_lo, s73
	;;#ASMSTART
	s_wakeup
	;;#ASMEND
.LBB2_1724:                             ;   in Loop: Header=BB2_274 Depth=3
	s_or_b32 exec_lo, exec_lo, s15
.LBB2_1725:                             ;   in Loop: Header=BB2_274 Depth=3
	s_and_not1_saveexec_b32 s14, s14
	s_cbranch_execz .LBB2_1727
; %bb.1726:                             ;   in Loop: Header=BB2_274 Depth=3
	;;#ASMSTART
	s_waitcnt lgkmcnt(0) vmcnt(0)
	;;#ASMEND
	s_barrier_signal -1
	s_barrier_wait -1
.LBB2_1727:                             ;   in Loop: Header=BB2_274 Depth=3
	s_or_b32 exec_lo, exec_lo, s14
.LBB2_1728:                             ;   in Loop: Header=BB2_274 Depth=3
	s_delay_alu instid0(SALU_CYCLE_1) | instskip(SKIP_2) | instid1(SALU_CYCLE_1)
	s_or_b32 exec_lo, exec_lo, s13
	v_cmp_ne_u32_e32 vcc_lo, 0, v8
	s_xor_b32 s13, s4, -1
	s_and_b32 s14, vcc_lo, s13
	s_delay_alu instid0(SALU_CYCLE_1)
	s_and_saveexec_b32 s13, s14
	s_cbranch_execz .LBB2_1730
; %bb.1729:                             ;   in Loop: Header=BB2_274 Depth=3
	global_wb scope:SCOPE_SYS
	s_wait_storecnt 0x0
	s_wait_loadcnt_dscnt 0x0
	flat_store_b32 v[28:29], v75 scope:SCOPE_SYS
.LBB2_1730:                             ;   in Loop: Header=BB2_274 Depth=3
	s_wait_xcnt 0x0
	s_or_b32 exec_lo, exec_lo, s13
	v_and_b32_e32 v2, 48, v30
	s_mov_b32 s13, exec_lo
	s_delay_alu instid0(VALU_DEP_1)
	v_cmpx_ne_u32_e32 0, v2
	s_cbranch_execz .LBB2_273
; %bb.1731:                             ;   in Loop: Header=BB2_274 Depth=3
	v_add_nc_u64_e32 v[98:99], 2, v[98:99]
	global_wb scope:SCOPE_SYS
	s_wait_storecnt 0x0
	s_wait_loadcnt_dscnt 0x0
	flat_store_b64 v[22:23], v[98:99] scope:SCOPE_SYS
	s_branch .LBB2_273
.LBB2_1732:                             ;   in Loop: Header=BB2_271 Depth=2
	s_or_b32 exec_lo, exec_lo, s44
.LBB2_1733:                             ;   in Loop: Header=BB2_271 Depth=2
	s_delay_alu instid0(SALU_CYCLE_1) | instskip(NEXT) | instid1(SALU_CYCLE_1)
	s_or_b32 exec_lo, exec_lo, s41
	s_mov_b32 s14, exec_lo
	v_cmpx_gt_i32_e32 2, v2
	s_cbranch_execz .LBB2_270
; %bb.1734:                             ;   in Loop: Header=BB2_271 Depth=2
	v_cmp_eq_u32_e64 s41, 0, v2
	s_mov_b32 s15, 0
	s_branch .LBB2_1736
.LBB2_1735:                             ;   in Loop: Header=BB2_1736 Depth=3
	s_wait_xcnt 0x0
	s_or_b32 exec_lo, exec_lo, s13
	v_add_nc_u32_e32 v114, v112, v114
	s_mov_b32 s41, 0
	s_and_not1_b32 exec_lo, exec_lo, s15
	s_cbranch_execz .LBB2_269
.LBB2_1736:                             ;   Parent Loop BB2_47 Depth=1
                                        ;     Parent Loop BB2_271 Depth=2
                                        ; =>    This Loop Header: Depth=3
                                        ;         Child Loop BB2_1742 Depth 4
                                        ;         Child Loop BB2_1770 Depth 4
	;; [unrolled: 1-line block ×3, first 2 shown]
	s_delay_alu instid0(VALU_DEP_1) | instskip(SKIP_2) | instid1(VALU_DEP_2)
	v_sub_nc_u32_e32 v2, v62, v114
	v_and_b32_e32 v8, 12, v30
	s_mov_b32 s44, exec_lo
	v_min_i32_e32 v112, v112, v2
	s_delay_alu instid0(VALU_DEP_2)
	v_cmpx_ne_u32_e32 0, v8
	s_cbranch_execz .LBB2_1762
; %bb.1737:                             ;   in Loop: Header=BB2_1736 Depth=3
	v_and_b32_e32 v2, 8, v30
	v_add_nc_u64_e32 v[8:9], 2, v[98:99]
	s_mov_b32 s45, exec_lo
	s_wait_loadcnt_dscnt 0x1
	s_delay_alu instid0(VALU_DEP_2) | instskip(NEXT) | instid1(VALU_DEP_1)
	v_add_nc_u64_e32 v[10:11], v[34:35], v[2:3]
	v_cmpx_lt_u64_e64 v[10:11], v[8:9]
	s_cbranch_execz .LBB2_1749
; %bb.1738:                             ;   in Loop: Header=BB2_1736 Depth=3
	v_and_b32_e32 v10, 64, v30
	s_mov_b32 s72, 0
	s_mov_b32 s76, 0
                                        ; implicit-def: $sgpr73
                                        ; implicit-def: $sgpr74
                                        ; implicit-def: $sgpr75
	s_delay_alu instid0(VALU_DEP_1)
	v_cmp_eq_u32_e32 vcc_lo, 0, v10
	s_branch .LBB2_1742
.LBB2_1739:                             ;   in Loop: Header=BB2_1742 Depth=4
	s_wait_loadcnt_dscnt 0x0
	v_add_nc_u64_e32 v[12:13], v[34:35], v[2:3]
	s_or_b32 s79, s79, exec_lo
	s_delay_alu instid0(VALU_DEP_1)
	v_cmp_ge_u64_e64 s13, v[12:13], v[8:9]
	s_or_not1_b32 s78, s13, exec_lo
.LBB2_1740:                             ;   in Loop: Header=BB2_1742 Depth=4
	s_or_b32 exec_lo, exec_lo, s89
	s_delay_alu instid0(SALU_CYCLE_1)
	s_and_not1_b32 s13, s75, exec_lo
	s_and_b32 s75, s79, exec_lo
	s_and_not1_b32 s74, s74, exec_lo
	s_and_b32 s78, s78, exec_lo
	s_or_b32 s75, s13, s75
	s_or_b32 s74, s74, s78
.LBB2_1741:                             ;   in Loop: Header=BB2_1742 Depth=4
	s_or_b32 exec_lo, exec_lo, s77
	s_delay_alu instid0(SALU_CYCLE_1) | instskip(NEXT) | instid1(SALU_CYCLE_1)
	s_and_b32 s13, exec_lo, s74
	s_or_b32 s72, s13, s72
	s_and_not1_b32 s13, s73, exec_lo
	s_and_b32 s73, s75, exec_lo
	s_delay_alu instid0(SALU_CYCLE_1)
	s_or_b32 s73, s13, s73
	s_and_not1_b32 exec_lo, exec_lo, s72
	s_cbranch_execz .LBB2_1746
.LBB2_1742:                             ;   Parent Loop BB2_47 Depth=1
                                        ;     Parent Loop BB2_271 Depth=2
                                        ;       Parent Loop BB2_1736 Depth=3
                                        ; =>      This Inner Loop Header: Depth=4
	s_sleep 1
	s_wait_loadcnt_dscnt 0x0
	flat_load_b64 v[34:35], v[22:23] scope:SCOPE_SYS
	s_or_b32 s75, s75, exec_lo
	s_or_b32 s74, s74, exec_lo
                                        ; implicit-def: $vgpr10
	s_wait_xcnt 0x0
	s_and_saveexec_b32 s77, vcc_lo
	s_cbranch_execz .LBB2_1741
; %bb.1743:                             ;   in Loop: Header=BB2_1742 Depth=4
	s_cmp_lt_i32 s76, 0x270f
	s_mov_b32 s78, -1
	s_cselect_b32 s88, -1, 0
	s_cmp_gt_i32 s76, 0x270e
	s_cbranch_scc0 .LBB2_1745
; %bb.1744:                             ;   in Loop: Header=BB2_1742 Depth=4
	s_trap 2
	ds_load_b64 v[10:11], v0
	s_and_not1_b32 s76, s88, exec_lo
	s_mov_b32 s79, 0
	s_wait_storecnt 0x0
	s_wait_loadcnt_dscnt 0x0
	flat_load_b32 v10, v[10:11] scope:SCOPE_SYS
	s_wait_loadcnt_dscnt 0x0
	global_inv scope:SCOPE_SYS
	v_cmp_eq_u32_e64 s13, 0, v10
	s_and_b32 s13, s13, exec_lo
	s_delay_alu instid0(SALU_CYCLE_1)
	s_or_b32 s88, s76, s13
	s_mov_b32 s76, 0
	s_and_saveexec_b32 s89, s88
	s_cbranch_execz .LBB2_1740
	s_branch .LBB2_1739
.LBB2_1745:                             ;   in Loop: Header=BB2_1742 Depth=4
	s_add_co_i32 s76, s76, 1
	s_mov_b32 s79, -1
                                        ; implicit-def: $vgpr10
	s_and_saveexec_b32 s89, s88
	s_cbranch_execz .LBB2_1740
	s_branch .LBB2_1739
.LBB2_1746:                             ;   in Loop: Header=BB2_1736 Depth=3
	s_or_b32 exec_lo, exec_lo, s72
	s_xor_b32 s13, s73, -1
	s_delay_alu instid0(SALU_CYCLE_1) | instskip(NEXT) | instid1(SALU_CYCLE_1)
	s_and_saveexec_b32 s72, s13
	s_xor_b32 s13, exec_lo, s72
	s_cbranch_execz .LBB2_1748
; %bb.1747:                             ;   in Loop: Header=BB2_1736 Depth=3
	v_or_b32_e32 v30, 64, v30
	s_wait_storecnt 0x0
	s_wait_loadcnt_dscnt 0x0
	ds_store_b32 v0, v10
	s_trap 2
.LBB2_1748:                             ;   in Loop: Header=BB2_1736 Depth=3
	s_or_b32 exec_lo, exec_lo, s13
.LBB2_1749:                             ;   in Loop: Header=BB2_1736 Depth=3
	s_delay_alu instid0(SALU_CYCLE_1) | instskip(SKIP_2) | instid1(VALU_DEP_1)
	s_or_b32 exec_lo, exec_lo, s45
	v_and_b32_e32 v10, 0x108, v30
	;;#ASMSTART
	s_wakeup
	;;#ASMEND
	v_cmp_ne_u32_e32 vcc_lo, 0x108, v10
                                        ; implicit-def: $vgpr10_vgpr11
	s_and_saveexec_b32 s13, vcc_lo
	s_delay_alu instid0(SALU_CYCLE_1)
	s_xor_b32 s13, exec_lo, s13
; %bb.1750:                             ;   in Loop: Header=BB2_1736 Depth=3
	v_dual_mov_b32 v11, v3 :: v_dual_bitop2_b32 v10, 7, v98 bitop3:0x40
                                        ; implicit-def: $vgpr98_vgpr99
; %bb.1751:                             ;   in Loop: Header=BB2_1736 Depth=3
	s_and_not1_saveexec_b32 s13, s13
	s_cbranch_execz .LBB2_1753
; %bb.1752:                             ;   in Loop: Header=BB2_1736 Depth=3
	v_dual_ashrrev_i32 v113, 31, v112 :: v_dual_bitop2_b32 v10, 7, v98 bitop3:0x40
	v_mov_b32_e32 v11, v3
	s_delay_alu instid0(VALU_DEP_2)
	v_mad_nc_u64_u32 v[12:13], v10, 24, v[6:7]
	flat_store_b64 v[12:13], v[112:113] offset:8
.LBB2_1753:                             ;   in Loop: Header=BB2_1736 Depth=3
	s_wait_xcnt 0x0
	s_or_b32 exec_lo, exec_lo, s13
	v_and_b32_e32 v12, 0x100, v30
	s_mov_b32 s13, -1
	s_delay_alu instid0(VALU_DEP_1)
	v_cmp_ne_u32_e32 vcc_lo, 0, v12
                                        ; implicit-def: $vgpr12_vgpr13
	s_and_saveexec_b32 s45, vcc_lo
	s_cbranch_execz .LBB2_1757
; %bb.1754:                             ;   in Loop: Header=BB2_1736 Depth=3
	v_mad_nc_u64_u32 v[14:15], v10, 24, v[6:7]
	s_delay_alu instid0(VALU_DEP_1)
	v_mad_u32 v15, v11, 24, v15
	flat_load_b32 v12, v[14:15]
	s_wait_loadcnt_dscnt 0x0
	v_cmp_eq_u32_e64 s13, 1, v12
	v_cmp_ne_u32_e32 vcc_lo, 1, v12
                                        ; implicit-def: $vgpr12_vgpr13
	s_wait_xcnt 0x0
	s_and_saveexec_b32 s72, s13
	s_cbranch_execz .LBB2_1756
; %bb.1755:                             ;   in Loop: Header=BB2_1736 Depth=3
	flat_load_b32 v12, v[14:15] offset:4 scope:SCOPE_SYS
	s_wait_loadcnt_dscnt 0x0
	v_ashrrev_i32_e32 v13, 31, v12
.LBB2_1756:                             ;   in Loop: Header=BB2_1736 Depth=3
	s_wait_xcnt 0x0
	s_or_b32 exec_lo, exec_lo, s72
	s_delay_alu instid0(SALU_CYCLE_1)
	s_or_not1_b32 s13, vcc_lo, exec_lo
.LBB2_1757:                             ;   in Loop: Header=BB2_1736 Depth=3
	s_or_b32 exec_lo, exec_lo, s45
	s_and_saveexec_b32 s45, s13
; %bb.1758:                             ;   in Loop: Header=BB2_1736 Depth=3
	v_mul_u64_e32 v[12:13], v[10:11], v[24:25]
; %bb.1759:                             ;   in Loop: Header=BB2_1736 Depth=3
	s_or_b32 exec_lo, exec_lo, s45
	v_cmp_eq_u32_e32 vcc_lo, 0, v2
	s_delay_alu instid0(VALU_DEP_2) | instskip(SKIP_3) | instid1(VALU_DEP_1)
	v_add_nc_u64_e32 v[10:11], v[26:27], v[12:13]
	v_and_b32_e32 v14, 0x2000, v30
	s_mov_b32 s13, exec_lo
	v_cndmask_b32_e32 v2, 0xc8, v76, vcc_lo
	v_add_nc_u32_e32 v2, v0, v2
	ds_store_b64 v2, v[10:11] offset:584
	v_cmpx_ne_u32_e32 0, v14
	s_cbranch_execz .LBB2_1761
; %bb.1760:                             ;   in Loop: Header=BB2_1736 Depth=3
	ds_load_b64 v[10:11], v0 offset:872
	s_wait_dscnt 0x0
	v_add_nc_u64_e32 v[10:11], 1, v[10:11]
	ds_store_b64 v0, v[10:11] offset:872
.LBB2_1761:                             ;   in Loop: Header=BB2_1736 Depth=3
	s_or_b32 exec_lo, exec_lo, s13
	v_mov_b64_e32 v[98:99], v[8:9]
.LBB2_1762:                             ;   in Loop: Header=BB2_1736 Depth=3
	s_or_b32 exec_lo, exec_lo, s44
	s_xor_b32 s13, s41, -1
	s_delay_alu instid0(SALU_CYCLE_1) | instskip(NEXT) | instid1(SALU_CYCLE_1)
	s_and_b32 s13, exec_lo, s13
	s_or_b32 s15, s13, s15
	s_and_saveexec_b32 s13, s2
	s_cbranch_execz .LBB2_1781
; %bb.1763:                             ;   in Loop: Header=BB2_1736 Depth=3
	s_and_saveexec_b32 s41, s3
	s_delay_alu instid0(SALU_CYCLE_1)
	s_xor_b32 s41, exec_lo, s41
	s_cbranch_execz .LBB2_1778
; %bb.1764:                             ;   in Loop: Header=BB2_1736 Depth=3
	s_and_saveexec_b32 s44, s6
	s_cbranch_execz .LBB2_1777
; %bb.1765:                             ;   in Loop: Header=BB2_1736 Depth=3
	s_mov_b32 s72, exec_lo
	s_mov_b32 s45, exec_lo
	v_mbcnt_lo_u32_b32 v2, s72, 0
	global_wb scope:SCOPE_DEV
	s_wait_storecnt 0x0
	s_wait_loadcnt_dscnt 0x0
	global_inv scope:SCOPE_DEV
	v_cmpx_eq_u32_e32 0, v2
	s_cbranch_execz .LBB2_1767
; %bb.1766:                             ;   in Loop: Header=BB2_1736 Depth=3
	s_bcnt1_i32_b32 s72, s72
	s_delay_alu instid0(SALU_CYCLE_1)
	v_mov_b32_e32 v2, s72
	s_wait_loadcnt 0x0
	ds_add_u64 v0, v[2:3]
	s_trap 2
.LBB2_1767:                             ;   in Loop: Header=BB2_1736 Depth=3
	s_or_b32 exec_lo, exec_lo, s45
	s_trap 2
	ds_load_b64 v[8:9], v0
	s_wait_dscnt 0x0
	v_add_nc_u64_e32 v[32:33], v[32:33], v[36:37]
	s_mov_b32 s45, exec_lo
	s_delay_alu instid0(VALU_DEP_1)
	v_cmpx_lt_u64_e64 v[8:9], v[32:33]
	s_cbranch_execz .LBB2_1776
; %bb.1768:                             ;   in Loop: Header=BB2_1736 Depth=3
	s_mov_b32 s72, 0
	s_mov_b32 s75, 0
                                        ; implicit-def: $sgpr73
                                        ; implicit-def: $sgpr74
	s_branch .LBB2_1770
.LBB2_1769:                             ;   in Loop: Header=BB2_1770 Depth=4
	s_or_b32 exec_lo, exec_lo, s77
	s_delay_alu instid0(SALU_CYCLE_1) | instskip(NEXT) | instid1(SALU_CYCLE_1)
	s_and_b32 s76, exec_lo, s78
	s_or_b32 s72, s76, s72
	s_and_not1_b32 s73, s73, exec_lo
	s_and_b32 s76, s74, exec_lo
	s_delay_alu instid0(SALU_CYCLE_1)
	s_or_b32 s73, s73, s76
	s_and_not1_b32 exec_lo, exec_lo, s72
	s_cbranch_execz .LBB2_1774
.LBB2_1770:                             ;   Parent Loop BB2_47 Depth=1
                                        ;     Parent Loop BB2_271 Depth=2
                                        ;       Parent Loop BB2_1736 Depth=3
                                        ; =>      This Inner Loop Header: Depth=4
	s_add_co_i32 s75, s75, 1
	s_delay_alu instid0(SALU_CYCLE_1) | instskip(SKIP_1) | instid1(SALU_CYCLE_1)
	s_cmp_lg_u32 s75, 0x2710
	s_cselect_b32 s76, -1, 0
	s_and_b32 vcc_lo, exec_lo, s76
	s_cbranch_vccz .LBB2_1772
; %bb.1771:                             ;   in Loop: Header=BB2_1770 Depth=4
	s_mov_b32 s78, -1
	s_or_b32 s74, s74, exec_lo
	s_and_saveexec_b32 s77, s76
	s_cbranch_execz .LBB2_1769
	s_branch .LBB2_1773
.LBB2_1772:                             ;   in Loop: Header=BB2_1770 Depth=4
	s_trap 2
	ds_load_b64 v[8:9], v0
	s_and_not1_b32 s76, s76, exec_lo
	s_mov_b32 s75, 0
	s_wait_loadcnt_dscnt 0x0
	flat_load_b32 v2, v[8:9] scope:SCOPE_SYS
	s_wait_loadcnt_dscnt 0x0
	global_inv scope:SCOPE_SYS
	v_cmp_eq_u32_e32 vcc_lo, 0, v2
	s_and_b32 s77, vcc_lo, exec_lo
	s_delay_alu instid0(SALU_CYCLE_1)
	s_or_b32 s76, s76, s77
	s_mov_b32 s78, -1
	s_or_b32 s74, s74, exec_lo
	s_and_saveexec_b32 s77, s76
	s_cbranch_execz .LBB2_1769
.LBB2_1773:                             ;   in Loop: Header=BB2_1770 Depth=4
	s_sleep 1
	s_trap 2
	ds_load_b64 v[8:9], v0
	s_wait_dscnt 0x0
	s_and_not1_b32 s74, s74, exec_lo
	v_cmp_ge_u64_e32 vcc_lo, v[8:9], v[32:33]
	s_or_not1_b32 s78, vcc_lo, exec_lo
	s_branch .LBB2_1769
.LBB2_1774:                             ;   in Loop: Header=BB2_1736 Depth=3
	s_or_b32 exec_lo, exec_lo, s72
	s_and_saveexec_b32 s72, s73
	s_delay_alu instid0(SALU_CYCLE_1)
	s_xor_b32 s72, exec_lo, s72
	s_cbranch_execz .LBB2_1776
; %bb.1775:                             ;   in Loop: Header=BB2_1736 Depth=3
	ds_store_b32 v0, v75
	s_trap 2
.LBB2_1776:                             ;   in Loop: Header=BB2_1736 Depth=3
	s_or_b32 exec_lo, exec_lo, s45
	;;#ASMSTART
	s_wakeup
	;;#ASMEND
.LBB2_1777:                             ;   in Loop: Header=BB2_1736 Depth=3
	s_or_b32 exec_lo, exec_lo, s44
.LBB2_1778:                             ;   in Loop: Header=BB2_1736 Depth=3
	s_and_not1_saveexec_b32 s41, s41
	s_cbranch_execz .LBB2_1780
; %bb.1779:                             ;   in Loop: Header=BB2_1736 Depth=3
	global_wb scope:SCOPE_DEV
	s_wait_storecnt 0x0
	s_wait_loadcnt_dscnt 0x0
	global_inv scope:SCOPE_DEV
	s_barrier_signal -1
	s_barrier_wait -1
.LBB2_1780:                             ;   in Loop: Header=BB2_1736 Depth=3
	s_or_b32 exec_lo, exec_lo, s41
.LBB2_1781:                             ;   in Loop: Header=BB2_1736 Depth=3
	s_delay_alu instid0(SALU_CYCLE_1) | instskip(SKIP_1) | instid1(SALU_CYCLE_1)
	s_or_b32 exec_lo, exec_lo, s13
                                        ; implicit-def: $vgpr2
	s_and_saveexec_b32 s13, s59
	s_xor_b32 s13, exec_lo, s13
	s_cbranch_execz .LBB2_1793
; %bb.1782:                             ;   in Loop: Header=BB2_1736 Depth=3
	s_and_saveexec_b32 s41, s3
	s_delay_alu instid0(SALU_CYCLE_1)
	s_xor_b32 s41, exec_lo, s41
	s_cbranch_execz .LBB2_1798
; %bb.1783:                             ;   in Loop: Header=BB2_1736 Depth=3
	s_and_saveexec_b32 s44, s6
	s_cbranch_execz .LBB2_1797
; %bb.1784:                             ;   in Loop: Header=BB2_1736 Depth=3
	s_mov_b32 s72, exec_lo
	s_mov_b32 s45, exec_lo
	v_mbcnt_lo_u32_b32 v2, s72, 0
	;;#ASMSTART
	s_waitcnt lgkmcnt(0) vmcnt(0)
	;;#ASMEND
	s_delay_alu instid0(VALU_DEP_1)
	v_cmpx_eq_u32_e32 0, v2
	s_cbranch_execz .LBB2_1786
; %bb.1785:                             ;   in Loop: Header=BB2_1736 Depth=3
	s_bcnt1_i32_b32 s72, s72
	s_delay_alu instid0(SALU_CYCLE_1)
	v_mov_b32_e32 v2, s72
	s_wait_storecnt 0x0
	s_wait_loadcnt_dscnt 0x0
	ds_add_u64 v0, v[2:3]
	s_trap 2
.LBB2_1786:                             ;   in Loop: Header=BB2_1736 Depth=3
	s_or_b32 exec_lo, exec_lo, s45
	s_trap 2
	ds_load_b64 v[8:9], v0
	s_wait_dscnt 0x0
	v_add_nc_u64_e32 v[32:33], v[32:33], v[36:37]
	s_mov_b32 s45, exec_lo
	s_delay_alu instid0(VALU_DEP_1)
	v_cmpx_lt_u64_e64 v[8:9], v[32:33]
	s_cbranch_execz .LBB2_1796
; %bb.1787:                             ;   in Loop: Header=BB2_1736 Depth=3
	s_mov_b32 s72, 0
	s_mov_b32 s75, 0
                                        ; implicit-def: $sgpr73
                                        ; implicit-def: $sgpr74
	s_branch .LBB2_1789
.LBB2_1788:                             ;   in Loop: Header=BB2_1789 Depth=4
	s_or_b32 exec_lo, exec_lo, s77
	s_delay_alu instid0(SALU_CYCLE_1) | instskip(NEXT) | instid1(SALU_CYCLE_1)
	s_and_b32 s76, exec_lo, s78
	s_or_b32 s72, s76, s72
	s_and_not1_b32 s73, s73, exec_lo
	s_and_b32 s76, s74, exec_lo
	s_delay_alu instid0(SALU_CYCLE_1)
	s_or_b32 s73, s73, s76
	s_and_not1_b32 exec_lo, exec_lo, s72
	s_cbranch_execz .LBB2_1794
.LBB2_1789:                             ;   Parent Loop BB2_47 Depth=1
                                        ;     Parent Loop BB2_271 Depth=2
                                        ;       Parent Loop BB2_1736 Depth=3
                                        ; =>      This Inner Loop Header: Depth=4
	s_add_co_i32 s75, s75, 1
	s_delay_alu instid0(SALU_CYCLE_1) | instskip(SKIP_1) | instid1(SALU_CYCLE_1)
	s_cmp_lg_u32 s75, 0x2710
	s_cselect_b32 s76, -1, 0
	s_and_b32 vcc_lo, exec_lo, s76
	s_cbranch_vccz .LBB2_1791
; %bb.1790:                             ;   in Loop: Header=BB2_1789 Depth=4
	s_mov_b32 s78, -1
	s_or_b32 s74, s74, exec_lo
	s_and_saveexec_b32 s77, s76
	s_cbranch_execz .LBB2_1788
	s_branch .LBB2_1792
.LBB2_1791:                             ;   in Loop: Header=BB2_1789 Depth=4
	s_trap 2
	ds_load_b64 v[8:9], v0
	s_and_not1_b32 s76, s76, exec_lo
	s_mov_b32 s75, 0
	s_wait_storecnt 0x0
	s_wait_loadcnt_dscnt 0x0
	flat_load_b32 v2, v[8:9] scope:SCOPE_SYS
	s_wait_loadcnt_dscnt 0x0
	global_inv scope:SCOPE_SYS
	v_cmp_eq_u32_e32 vcc_lo, 0, v2
	s_and_b32 s77, vcc_lo, exec_lo
	s_delay_alu instid0(SALU_CYCLE_1)
	s_or_b32 s76, s76, s77
	s_mov_b32 s78, -1
	s_or_b32 s74, s74, exec_lo
	s_and_saveexec_b32 s77, s76
	s_cbranch_execz .LBB2_1788
.LBB2_1792:                             ;   in Loop: Header=BB2_1789 Depth=4
	s_sleep 1
	s_trap 2
	ds_load_b64 v[8:9], v0
	s_wait_dscnt 0x0
	s_and_not1_b32 s74, s74, exec_lo
	v_cmp_ge_u64_e32 vcc_lo, v[8:9], v[32:33]
	s_or_not1_b32 s78, vcc_lo, exec_lo
	s_branch .LBB2_1788
.LBB2_1793:                             ;   in Loop: Header=BB2_1736 Depth=3
	s_and_not1_saveexec_b32 s41, s13
	s_cbranch_execnz .LBB2_1801
	s_branch .LBB2_1804
.LBB2_1794:                             ;   in Loop: Header=BB2_1736 Depth=3
	s_or_b32 exec_lo, exec_lo, s72
	s_and_saveexec_b32 s72, s73
	s_delay_alu instid0(SALU_CYCLE_1)
	s_xor_b32 s72, exec_lo, s72
	s_cbranch_execz .LBB2_1796
; %bb.1795:                             ;   in Loop: Header=BB2_1736 Depth=3
	ds_store_b32 v0, v75
	s_trap 2
.LBB2_1796:                             ;   in Loop: Header=BB2_1736 Depth=3
	s_or_b32 exec_lo, exec_lo, s45
	;;#ASMSTART
	s_wakeup
	;;#ASMEND
.LBB2_1797:                             ;   in Loop: Header=BB2_1736 Depth=3
	s_or_b32 exec_lo, exec_lo, s44
.LBB2_1798:                             ;   in Loop: Header=BB2_1736 Depth=3
	s_and_not1_saveexec_b32 s41, s41
	s_cbranch_execz .LBB2_1800
; %bb.1799:                             ;   in Loop: Header=BB2_1736 Depth=3
	;;#ASMSTART
	s_waitcnt lgkmcnt(0) vmcnt(0)
	;;#ASMEND
	s_barrier_signal -1
	s_barrier_wait -1
.LBB2_1800:                             ;   in Loop: Header=BB2_1736 Depth=3
	s_or_b32 exec_lo, exec_lo, s41
	v_and_b32_e32 v2, 16, v30
	s_and_not1_saveexec_b32 s41, s13
	s_cbranch_execz .LBB2_1804
.LBB2_1801:                             ;   in Loop: Header=BB2_1736 Depth=3
	s_trap 2
	ds_load_b32 v2, v0
	v_cmp_lt_i32_e32 vcc_lo, 0, v112
	s_wait_dscnt 0x0
	v_readfirstlane_b32 s13, v2
	v_and_b32_e32 v2, 16, v30
	s_cmp_eq_u32 s13, 0
	s_delay_alu instid0(VALU_DEP_1) | instskip(SKIP_3) | instid1(SALU_CYCLE_1)
	v_cmp_ne_u32_e64 s13, 0, v2
	s_cselect_b32 s44, -1, 0
	v_and_b32_e32 v2, 16, v30
	s_and_b32 s44, vcc_lo, s44
	s_and_b32 s44, s13, s44
	s_delay_alu instid0(SALU_CYCLE_1)
	s_and_saveexec_b32 s13, s44
	s_cbranch_execz .LBB2_1803
; %bb.1802:                             ;   in Loop: Header=BB2_1736 Depth=3
	v_mov_b32_e32 v2, 1
	global_wb scope:SCOPE_SYS
	s_wait_loadcnt 0x0
	s_wait_storecnt 0x0
	global_inv scope:SCOPE_SYS
.LBB2_1803:                             ;   in Loop: Header=BB2_1736 Depth=3
	s_or_b32 exec_lo, exec_lo, s13
.LBB2_1804:                             ;   in Loop: Header=BB2_1736 Depth=3
	s_delay_alu instid0(SALU_CYCLE_1) | instskip(NEXT) | instid1(VALU_DEP_1)
	s_or_b32 exec_lo, exec_lo, s41
	v_cmp_ne_u32_e32 vcc_lo, 0, v2
	s_xor_b32 s13, s4, -1
	s_delay_alu instid0(SALU_CYCLE_1) | instskip(NEXT) | instid1(SALU_CYCLE_1)
	s_and_b32 s41, vcc_lo, s13
	s_and_saveexec_b32 s13, s41
	s_cbranch_execz .LBB2_1806
; %bb.1805:                             ;   in Loop: Header=BB2_1736 Depth=3
	global_wb scope:SCOPE_SYS
	s_wait_storecnt 0x0
	s_wait_loadcnt_dscnt 0x0
	flat_store_b32 v[28:29], v75 scope:SCOPE_SYS
.LBB2_1806:                             ;   in Loop: Header=BB2_1736 Depth=3
	s_wait_xcnt 0x0
	s_or_b32 exec_lo, exec_lo, s13
	v_and_b32_e32 v2, 48, v30
	s_mov_b32 s13, exec_lo
	s_delay_alu instid0(VALU_DEP_1)
	v_cmpx_ne_u32_e32 0, v2
	s_cbranch_execz .LBB2_1735
; %bb.1807:                             ;   in Loop: Header=BB2_1736 Depth=3
	v_add_nc_u64_e32 v[98:99], 2, v[98:99]
	global_wb scope:SCOPE_SYS
	s_wait_storecnt 0x0
	s_wait_loadcnt_dscnt 0x0
	flat_store_b64 v[22:23], v[98:99] scope:SCOPE_SYS
	s_branch .LBB2_1735
.LBB2_1808:                             ;   in Loop: Header=BB2_47 Depth=1
	v_mul_u64_e32 v[8:9], s[16:17], v[96:97]
	v_mov_b32_e32 v114, 0
	s_delay_alu instid0(VALU_DEP_2) | instskip(NEXT) | instid1(VALU_DEP_1)
	v_sub_nc_u64_e32 v[10:11], v[100:101], v[8:9]
	v_min_i64 v[10:11], v[96:97], v[10:11]
	s_delay_alu instid0(VALU_DEP_1) | instskip(SKIP_1) | instid1(VALU_DEP_2)
	v_max_i32_e32 v90, 0, v10
	v_cmp_lt_i32_e32 vcc_lo, 0, v10
	v_add_nc_u32_e32 v2, 31, v90
	s_and_b32 s13, s61, vcc_lo
	s_delay_alu instid0(VALU_DEP_1) | instskip(NEXT) | instid1(VALU_DEP_1)
	v_lshrrev_b32_e32 v2, 1, v2
	v_and_b32_e32 v11, 0x3ffffff0, v2
	s_delay_alu instid0(VALU_DEP_1)
	v_dual_mov_b32 v2, 0 :: v_dual_max_i32 v112, s57, v11
	s_and_saveexec_b32 s18, s13
	s_cbranch_execz .LBB2_4623
; %bb.1809:                             ;   in Loop: Header=BB2_47 Depth=1
	v_add_nc_u64_e32 v[116:117], v[8:9], v[102:103]
	v_mov_b32_e32 v114, 0
	s_mov_b32 s73, 1
	s_mov_b32 s72, -1
	s_mov_b32 s41, 0
	s_branch .LBB2_1811
.LBB2_1810:                             ;   in Loop: Header=BB2_1811 Depth=2
	s_wait_xcnt 0x0
	s_or_b32 exec_lo, exec_lo, s13
	v_dual_add_nc_u32 v114, v112, v114 :: v_dual_mov_b32 v2, s73
	s_xor_b32 s13, s72, -1
	s_mov_b32 s72, 0
	s_mov_b32 s73, 2
	s_delay_alu instid0(VALU_DEP_1) | instskip(SKIP_1) | instid1(SALU_CYCLE_1)
	v_cmp_ge_i32_e32 vcc_lo, v114, v90
	s_or_b32 s13, s13, vcc_lo
	s_and_b32 s13, exec_lo, s13
	s_delay_alu instid0(SALU_CYCLE_1) | instskip(NEXT) | instid1(SALU_CYCLE_1)
	s_or_b32 s41, s13, s41
	s_and_not1_b32 exec_lo, exec_lo, s41
	s_cbranch_execz .LBB2_4622
.LBB2_1811:                             ;   Parent Loop BB2_47 Depth=1
                                        ; =>  This Loop Header: Depth=2
                                        ;       Child Loop BB2_1819 Depth 3
                                        ;       Child Loop BB2_1847 Depth 3
	;; [unrolled: 1-line block ×4, first 2 shown]
                                        ;         Child Loop BB2_2386 Depth 4
                                        ;       Child Loop BB2_2392 Depth 3
                                        ;         Child Loop BB2_2889 Depth 4
                                        ;       Child Loop BB2_2899 Depth 3
                                        ;       Child Loop BB2_3191 Depth 3
                                        ;         Child Loop BB2_3228 Depth 4
                                        ;       Child Loop BB2_3241 Depth 3
                                        ;       Child Loop BB2_3742 Depth 3
	;; [unrolled: 1-line block ×6, first 2 shown]
	s_and_saveexec_b32 s13, s0
	s_cbranch_execz .LBB2_1813
; %bb.1812:                             ;   in Loop: Header=BB2_1811 Depth=2
	s_trap 2
	ds_load_b64 v[12:13], v0
	ds_load_2addr_b64 v[8:11], v0 offset1:1
	s_wait_dscnt 0x1
	v_add_nc_u64_e32 v[14:15], v[12:13], v[116:117]
	v_cmp_ne_u64_e32 vcc_lo, 0, v[12:13]
	v_ashrrev_i32_e32 v115, 31, v114
	s_wait_dscnt 0x0
	v_add_nc_u64_e32 v[8:9], v[8:9], v[116:117]
	v_add_nc_u64_e32 v[10:11], v[10:11], v[116:117]
	s_delay_alu instid0(VALU_DEP_3) | instskip(NEXT) | instid1(VALU_DEP_1)
	v_add_nc_u64_e32 v[14:15], v[14:15], v[114:115]
	v_cndmask_b32_e32 v13, 0, v15, vcc_lo
	s_delay_alu instid0(VALU_DEP_4) | instskip(NEXT) | instid1(VALU_DEP_4)
	v_add_nc_u64_e32 v[8:9], v[8:9], v[114:115]
	v_add_nc_u64_e32 v[10:11], v[10:11], v[114:115]
	s_delay_alu instid0(VALU_DEP_4)
	v_cndmask_b32_e32 v12, 0, v14, vcc_lo
	ds_store_b64 v0, v[8:9]
	ds_store_b64 v0, v[10:11]
	;; [unrolled: 1-line block ×3, first 2 shown]
.LBB2_1813:                             ;   in Loop: Header=BB2_1811 Depth=2
	s_or_b32 exec_lo, exec_lo, s13
	v_sub_nc_u32_e32 v2, v90, v114
	v_and_b32_e32 v8, 12, v30
	s_mov_b32 s14, exec_lo
	s_delay_alu instid0(VALU_DEP_2) | instskip(NEXT) | instid1(VALU_DEP_2)
	v_min_i32_e32 v112, v112, v2
	v_cmpx_ne_u32_e32 0, v8
	s_cbranch_execz .LBB2_1839
; %bb.1814:                             ;   in Loop: Header=BB2_1811 Depth=2
	v_and_b32_e32 v2, 8, v30
	v_add_nc_u64_e32 v[8:9], 2, v[98:99]
	s_mov_b32 s15, exec_lo
	s_wait_loadcnt_dscnt 0x1
	s_delay_alu instid0(VALU_DEP_2) | instskip(NEXT) | instid1(VALU_DEP_1)
	v_add_nc_u64_e32 v[10:11], v[34:35], v[2:3]
	v_cmpx_lt_u64_e64 v[10:11], v[8:9]
	s_cbranch_execz .LBB2_1826
; %bb.1815:                             ;   in Loop: Header=BB2_1811 Depth=2
	v_and_b32_e32 v10, 64, v30
	s_mov_b32 s44, 0
	s_mov_b32 s76, 0
                                        ; implicit-def: $sgpr45
                                        ; implicit-def: $sgpr74
                                        ; implicit-def: $sgpr75
	s_delay_alu instid0(VALU_DEP_1)
	v_cmp_eq_u32_e32 vcc_lo, 0, v10
	s_branch .LBB2_1819
.LBB2_1816:                             ;   in Loop: Header=BB2_1819 Depth=3
	s_wait_loadcnt_dscnt 0x0
	v_add_nc_u64_e32 v[12:13], v[34:35], v[2:3]
	s_or_b32 s79, s79, exec_lo
	s_delay_alu instid0(VALU_DEP_1)
	v_cmp_ge_u64_e64 s13, v[12:13], v[8:9]
	s_or_not1_b32 s78, s13, exec_lo
.LBB2_1817:                             ;   in Loop: Header=BB2_1819 Depth=3
	s_or_b32 exec_lo, exec_lo, s89
	s_delay_alu instid0(SALU_CYCLE_1)
	s_and_not1_b32 s13, s75, exec_lo
	s_and_b32 s75, s79, exec_lo
	s_and_not1_b32 s74, s74, exec_lo
	s_and_b32 s78, s78, exec_lo
	s_or_b32 s75, s13, s75
	s_or_b32 s74, s74, s78
.LBB2_1818:                             ;   in Loop: Header=BB2_1819 Depth=3
	s_or_b32 exec_lo, exec_lo, s77
	s_delay_alu instid0(SALU_CYCLE_1) | instskip(NEXT) | instid1(SALU_CYCLE_1)
	s_and_b32 s13, exec_lo, s74
	s_or_b32 s44, s13, s44
	s_and_not1_b32 s13, s45, exec_lo
	s_and_b32 s45, s75, exec_lo
	s_delay_alu instid0(SALU_CYCLE_1)
	s_or_b32 s45, s13, s45
	s_and_not1_b32 exec_lo, exec_lo, s44
	s_cbranch_execz .LBB2_1823
.LBB2_1819:                             ;   Parent Loop BB2_47 Depth=1
                                        ;     Parent Loop BB2_1811 Depth=2
                                        ; =>    This Inner Loop Header: Depth=3
	s_sleep 1
	s_wait_loadcnt_dscnt 0x0
	flat_load_b64 v[34:35], v[22:23] scope:SCOPE_SYS
	s_or_b32 s75, s75, exec_lo
	s_or_b32 s74, s74, exec_lo
                                        ; implicit-def: $vgpr10
	s_wait_xcnt 0x0
	s_and_saveexec_b32 s77, vcc_lo
	s_cbranch_execz .LBB2_1818
; %bb.1820:                             ;   in Loop: Header=BB2_1819 Depth=3
	s_cmp_lt_i32 s76, 0x270f
	s_mov_b32 s78, -1
	s_cselect_b32 s88, -1, 0
	s_cmp_gt_i32 s76, 0x270e
	s_cbranch_scc0 .LBB2_1822
; %bb.1821:                             ;   in Loop: Header=BB2_1819 Depth=3
	s_trap 2
	ds_load_b64 v[10:11], v0
	s_and_not1_b32 s76, s88, exec_lo
	s_mov_b32 s79, 0
	s_wait_storecnt 0x0
	s_wait_loadcnt_dscnt 0x0
	flat_load_b32 v10, v[10:11] scope:SCOPE_SYS
	s_wait_loadcnt_dscnt 0x0
	global_inv scope:SCOPE_SYS
	v_cmp_eq_u32_e64 s13, 0, v10
	s_and_b32 s13, s13, exec_lo
	s_delay_alu instid0(SALU_CYCLE_1)
	s_or_b32 s88, s76, s13
	s_mov_b32 s76, 0
	s_and_saveexec_b32 s89, s88
	s_cbranch_execz .LBB2_1817
	s_branch .LBB2_1816
.LBB2_1822:                             ;   in Loop: Header=BB2_1819 Depth=3
	s_add_co_i32 s76, s76, 1
	s_mov_b32 s79, -1
                                        ; implicit-def: $vgpr10
	s_and_saveexec_b32 s89, s88
	s_cbranch_execz .LBB2_1817
	s_branch .LBB2_1816
.LBB2_1823:                             ;   in Loop: Header=BB2_1811 Depth=2
	s_or_b32 exec_lo, exec_lo, s44
	s_xor_b32 s13, s45, -1
	s_delay_alu instid0(SALU_CYCLE_1) | instskip(NEXT) | instid1(SALU_CYCLE_1)
	s_and_saveexec_b32 s44, s13
	s_xor_b32 s13, exec_lo, s44
	s_cbranch_execz .LBB2_1825
; %bb.1824:                             ;   in Loop: Header=BB2_1811 Depth=2
	v_or_b32_e32 v30, 64, v30
	s_wait_storecnt 0x0
	s_wait_loadcnt_dscnt 0x0
	ds_store_b32 v0, v10
	s_trap 2
.LBB2_1825:                             ;   in Loop: Header=BB2_1811 Depth=2
	s_or_b32 exec_lo, exec_lo, s13
.LBB2_1826:                             ;   in Loop: Header=BB2_1811 Depth=2
	s_delay_alu instid0(SALU_CYCLE_1) | instskip(SKIP_2) | instid1(VALU_DEP_1)
	s_or_b32 exec_lo, exec_lo, s15
	v_and_b32_e32 v10, 0x108, v30
	;;#ASMSTART
	s_wakeup
	;;#ASMEND
	v_cmp_ne_u32_e32 vcc_lo, 0x108, v10
                                        ; implicit-def: $vgpr10_vgpr11
	s_and_saveexec_b32 s13, vcc_lo
	s_delay_alu instid0(SALU_CYCLE_1)
	s_xor_b32 s13, exec_lo, s13
; %bb.1827:                             ;   in Loop: Header=BB2_1811 Depth=2
	v_dual_mov_b32 v11, v3 :: v_dual_bitop2_b32 v10, 7, v98 bitop3:0x40
                                        ; implicit-def: $vgpr98_vgpr99
; %bb.1828:                             ;   in Loop: Header=BB2_1811 Depth=2
	s_and_not1_saveexec_b32 s13, s13
	s_cbranch_execz .LBB2_1830
; %bb.1829:                             ;   in Loop: Header=BB2_1811 Depth=2
	v_dual_ashrrev_i32 v113, 31, v112 :: v_dual_bitop2_b32 v10, 7, v98 bitop3:0x40
	v_mov_b32_e32 v11, v3
	s_delay_alu instid0(VALU_DEP_2)
	v_mad_nc_u64_u32 v[12:13], v10, 24, v[6:7]
	flat_store_b64 v[12:13], v[112:113] offset:8
.LBB2_1830:                             ;   in Loop: Header=BB2_1811 Depth=2
	s_wait_xcnt 0x0
	s_or_b32 exec_lo, exec_lo, s13
	v_and_b32_e32 v12, 0x100, v30
	s_mov_b32 s13, -1
	s_delay_alu instid0(VALU_DEP_1)
	v_cmp_ne_u32_e32 vcc_lo, 0, v12
                                        ; implicit-def: $vgpr12_vgpr13
	s_and_saveexec_b32 s15, vcc_lo
	s_cbranch_execz .LBB2_1834
; %bb.1831:                             ;   in Loop: Header=BB2_1811 Depth=2
	v_mad_nc_u64_u32 v[14:15], v10, 24, v[6:7]
	s_delay_alu instid0(VALU_DEP_1)
	v_mad_u32 v15, v11, 24, v15
	flat_load_b32 v12, v[14:15]
	s_wait_loadcnt_dscnt 0x0
	v_cmp_eq_u32_e64 s13, 1, v12
	v_cmp_ne_u32_e32 vcc_lo, 1, v12
                                        ; implicit-def: $vgpr12_vgpr13
	s_wait_xcnt 0x0
	s_and_saveexec_b32 s44, s13
	s_cbranch_execz .LBB2_1833
; %bb.1832:                             ;   in Loop: Header=BB2_1811 Depth=2
	flat_load_b32 v12, v[14:15] offset:4 scope:SCOPE_SYS
	s_wait_loadcnt_dscnt 0x0
	v_ashrrev_i32_e32 v13, 31, v12
.LBB2_1833:                             ;   in Loop: Header=BB2_1811 Depth=2
	s_wait_xcnt 0x0
	s_or_b32 exec_lo, exec_lo, s44
	s_delay_alu instid0(SALU_CYCLE_1)
	s_or_not1_b32 s13, vcc_lo, exec_lo
.LBB2_1834:                             ;   in Loop: Header=BB2_1811 Depth=2
	s_or_b32 exec_lo, exec_lo, s15
	s_and_saveexec_b32 s15, s13
; %bb.1835:                             ;   in Loop: Header=BB2_1811 Depth=2
	v_mul_u64_e32 v[12:13], v[10:11], v[24:25]
; %bb.1836:                             ;   in Loop: Header=BB2_1811 Depth=2
	s_or_b32 exec_lo, exec_lo, s15
	v_cmp_eq_u32_e32 vcc_lo, 0, v2
	s_delay_alu instid0(VALU_DEP_2) | instskip(SKIP_3) | instid1(VALU_DEP_1)
	v_add_nc_u64_e32 v[10:11], v[26:27], v[12:13]
	v_and_b32_e32 v14, 0x2000, v30
	s_mov_b32 s13, exec_lo
	v_cndmask_b32_e32 v2, 0xd0, v76, vcc_lo
	v_add_nc_u32_e32 v2, v0, v2
	ds_store_b64 v2, v[10:11] offset:584
	v_cmpx_ne_u32_e32 0, v14
	s_cbranch_execz .LBB2_1838
; %bb.1837:                             ;   in Loop: Header=BB2_1811 Depth=2
	ds_load_b64 v[10:11], v0 offset:872
	s_wait_dscnt 0x0
	v_add_nc_u64_e32 v[10:11], 1, v[10:11]
	ds_store_b64 v0, v[10:11] offset:872
.LBB2_1838:                             ;   in Loop: Header=BB2_1811 Depth=2
	s_or_b32 exec_lo, exec_lo, s13
	v_mov_b64_e32 v[98:99], v[8:9]
.LBB2_1839:                             ;   in Loop: Header=BB2_1811 Depth=2
	s_or_b32 exec_lo, exec_lo, s14
	s_and_saveexec_b32 s13, s2
	s_cbranch_execz .LBB2_1858
; %bb.1840:                             ;   in Loop: Header=BB2_1811 Depth=2
	s_and_saveexec_b32 s14, s3
	s_delay_alu instid0(SALU_CYCLE_1)
	s_xor_b32 s14, exec_lo, s14
	s_cbranch_execz .LBB2_1855
; %bb.1841:                             ;   in Loop: Header=BB2_1811 Depth=2
	s_and_saveexec_b32 s15, s6
	s_cbranch_execz .LBB2_1854
; %bb.1842:                             ;   in Loop: Header=BB2_1811 Depth=2
	s_mov_b32 s45, exec_lo
	s_mov_b32 s44, exec_lo
	v_mbcnt_lo_u32_b32 v2, s45, 0
	global_wb scope:SCOPE_DEV
	s_wait_storecnt 0x0
	s_wait_loadcnt_dscnt 0x0
	global_inv scope:SCOPE_DEV
	v_cmpx_eq_u32_e32 0, v2
	s_cbranch_execz .LBB2_1844
; %bb.1843:                             ;   in Loop: Header=BB2_1811 Depth=2
	s_bcnt1_i32_b32 s45, s45
	s_delay_alu instid0(SALU_CYCLE_1)
	v_mov_b32_e32 v2, s45
	s_wait_loadcnt 0x0
	ds_add_u64 v0, v[2:3]
	s_trap 2
.LBB2_1844:                             ;   in Loop: Header=BB2_1811 Depth=2
	s_or_b32 exec_lo, exec_lo, s44
	s_trap 2
	ds_load_b64 v[8:9], v0
	s_wait_dscnt 0x0
	v_add_nc_u64_e32 v[32:33], v[32:33], v[36:37]
	s_mov_b32 s44, exec_lo
	s_delay_alu instid0(VALU_DEP_1)
	v_cmpx_lt_u64_e64 v[8:9], v[32:33]
	s_cbranch_execz .LBB2_1853
; %bb.1845:                             ;   in Loop: Header=BB2_1811 Depth=2
	s_mov_b32 s45, 0
	s_mov_b32 s76, 0
                                        ; implicit-def: $sgpr74
                                        ; implicit-def: $sgpr75
	s_branch .LBB2_1847
.LBB2_1846:                             ;   in Loop: Header=BB2_1847 Depth=3
	s_or_b32 exec_lo, exec_lo, s78
	s_delay_alu instid0(SALU_CYCLE_1) | instskip(NEXT) | instid1(SALU_CYCLE_1)
	s_and_b32 s77, exec_lo, s79
	s_or_b32 s45, s77, s45
	s_and_not1_b32 s74, s74, exec_lo
	s_and_b32 s77, s75, exec_lo
	s_delay_alu instid0(SALU_CYCLE_1)
	s_or_b32 s74, s74, s77
	s_and_not1_b32 exec_lo, exec_lo, s45
	s_cbranch_execz .LBB2_1851
.LBB2_1847:                             ;   Parent Loop BB2_47 Depth=1
                                        ;     Parent Loop BB2_1811 Depth=2
                                        ; =>    This Inner Loop Header: Depth=3
	s_add_co_i32 s76, s76, 1
	s_delay_alu instid0(SALU_CYCLE_1) | instskip(SKIP_1) | instid1(SALU_CYCLE_1)
	s_cmp_lg_u32 s76, 0x2710
	s_cselect_b32 s77, -1, 0
	s_and_b32 vcc_lo, exec_lo, s77
	s_cbranch_vccz .LBB2_1849
; %bb.1848:                             ;   in Loop: Header=BB2_1847 Depth=3
	s_mov_b32 s79, -1
	s_or_b32 s75, s75, exec_lo
	s_and_saveexec_b32 s78, s77
	s_cbranch_execz .LBB2_1846
	s_branch .LBB2_1850
.LBB2_1849:                             ;   in Loop: Header=BB2_1847 Depth=3
	s_trap 2
	ds_load_b64 v[8:9], v0
	s_and_not1_b32 s77, s77, exec_lo
	s_mov_b32 s76, 0
	s_wait_loadcnt_dscnt 0x0
	flat_load_b32 v2, v[8:9] scope:SCOPE_SYS
	s_wait_loadcnt_dscnt 0x0
	global_inv scope:SCOPE_SYS
	v_cmp_eq_u32_e32 vcc_lo, 0, v2
	s_and_b32 s78, vcc_lo, exec_lo
	s_delay_alu instid0(SALU_CYCLE_1)
	s_or_b32 s77, s77, s78
	s_mov_b32 s79, -1
	s_or_b32 s75, s75, exec_lo
	s_and_saveexec_b32 s78, s77
	s_cbranch_execz .LBB2_1846
.LBB2_1850:                             ;   in Loop: Header=BB2_1847 Depth=3
	s_sleep 1
	s_trap 2
	ds_load_b64 v[8:9], v0
	s_wait_dscnt 0x0
	s_and_not1_b32 s75, s75, exec_lo
	v_cmp_ge_u64_e32 vcc_lo, v[8:9], v[32:33]
	s_or_not1_b32 s79, vcc_lo, exec_lo
	s_branch .LBB2_1846
.LBB2_1851:                             ;   in Loop: Header=BB2_1811 Depth=2
	s_or_b32 exec_lo, exec_lo, s45
	s_and_saveexec_b32 s45, s74
	s_delay_alu instid0(SALU_CYCLE_1)
	s_xor_b32 s45, exec_lo, s45
	s_cbranch_execz .LBB2_1853
; %bb.1852:                             ;   in Loop: Header=BB2_1811 Depth=2
	ds_store_b32 v0, v75
	s_trap 2
.LBB2_1853:                             ;   in Loop: Header=BB2_1811 Depth=2
	s_or_b32 exec_lo, exec_lo, s44
	;;#ASMSTART
	s_wakeup
	;;#ASMEND
.LBB2_1854:                             ;   in Loop: Header=BB2_1811 Depth=2
	s_or_b32 exec_lo, exec_lo, s15
.LBB2_1855:                             ;   in Loop: Header=BB2_1811 Depth=2
	s_and_not1_saveexec_b32 s14, s14
	s_cbranch_execz .LBB2_1857
; %bb.1856:                             ;   in Loop: Header=BB2_1811 Depth=2
	global_wb scope:SCOPE_DEV
	s_wait_storecnt 0x0
	s_wait_loadcnt_dscnt 0x0
	global_inv scope:SCOPE_DEV
	s_barrier_signal -1
	s_barrier_wait -1
.LBB2_1857:                             ;   in Loop: Header=BB2_1811 Depth=2
	s_or_b32 exec_lo, exec_lo, s14
.LBB2_1858:                             ;   in Loop: Header=BB2_1811 Depth=2
	s_delay_alu instid0(SALU_CYCLE_1) | instskip(SKIP_4) | instid1(VALU_DEP_1)
	s_or_b32 exec_lo, exec_lo, s13
	s_trap 2
	ds_load_b32 v8, v0
	v_and_b32_e32 v2, 0x4000, v30
	s_xor_b32 s13, s1, -1
	v_cmp_ne_u32_e32 vcc_lo, 0, v2
	s_and_b32 s14, s13, vcc_lo
	s_delay_alu instid0(SALU_CYCLE_1)
	s_and_saveexec_b32 s13, s14
	s_cbranch_execz .LBB2_1877
; %bb.1859:                             ;   in Loop: Header=BB2_1811 Depth=2
	s_and_saveexec_b32 s14, s3
	s_delay_alu instid0(SALU_CYCLE_1)
	s_xor_b32 s14, exec_lo, s14
	s_cbranch_execz .LBB2_1874
; %bb.1860:                             ;   in Loop: Header=BB2_1811 Depth=2
	s_and_saveexec_b32 s15, s6
	s_cbranch_execz .LBB2_1873
; %bb.1861:                             ;   in Loop: Header=BB2_1811 Depth=2
	s_mov_b32 s45, exec_lo
	s_mov_b32 s44, exec_lo
	v_mbcnt_lo_u32_b32 v2, s45, 0
	global_wb scope:SCOPE_DEV
	s_wait_storecnt 0x0
	s_wait_loadcnt_dscnt 0x0
	global_inv scope:SCOPE_DEV
	v_cmpx_eq_u32_e32 0, v2
	s_cbranch_execz .LBB2_1863
; %bb.1862:                             ;   in Loop: Header=BB2_1811 Depth=2
	s_bcnt1_i32_b32 s45, s45
	s_delay_alu instid0(SALU_CYCLE_1)
	v_mov_b32_e32 v2, s45
	s_wait_loadcnt 0x0
	ds_add_u64 v0, v[2:3]
	s_trap 2
.LBB2_1863:                             ;   in Loop: Header=BB2_1811 Depth=2
	s_or_b32 exec_lo, exec_lo, s44
	s_trap 2
	ds_load_b64 v[10:11], v0
	s_wait_dscnt 0x0
	v_add_nc_u64_e32 v[32:33], v[32:33], v[36:37]
	s_mov_b32 s44, exec_lo
	s_delay_alu instid0(VALU_DEP_1)
	v_cmpx_lt_u64_e64 v[10:11], v[32:33]
	s_cbranch_execz .LBB2_1872
; %bb.1864:                             ;   in Loop: Header=BB2_1811 Depth=2
	s_mov_b32 s45, 0
	s_mov_b32 s76, 0
                                        ; implicit-def: $sgpr74
                                        ; implicit-def: $sgpr75
	s_branch .LBB2_1866
.LBB2_1865:                             ;   in Loop: Header=BB2_1866 Depth=3
	s_or_b32 exec_lo, exec_lo, s78
	s_delay_alu instid0(SALU_CYCLE_1) | instskip(NEXT) | instid1(SALU_CYCLE_1)
	s_and_b32 s77, exec_lo, s79
	s_or_b32 s45, s77, s45
	s_and_not1_b32 s74, s74, exec_lo
	s_and_b32 s77, s75, exec_lo
	s_delay_alu instid0(SALU_CYCLE_1)
	s_or_b32 s74, s74, s77
	s_and_not1_b32 exec_lo, exec_lo, s45
	s_cbranch_execz .LBB2_1870
.LBB2_1866:                             ;   Parent Loop BB2_47 Depth=1
                                        ;     Parent Loop BB2_1811 Depth=2
                                        ; =>    This Inner Loop Header: Depth=3
	s_add_co_i32 s76, s76, 1
	s_delay_alu instid0(SALU_CYCLE_1) | instskip(SKIP_1) | instid1(SALU_CYCLE_1)
	s_cmp_lg_u32 s76, 0x2710
	s_cselect_b32 s77, -1, 0
	s_and_b32 vcc_lo, exec_lo, s77
	s_cbranch_vccz .LBB2_1868
; %bb.1867:                             ;   in Loop: Header=BB2_1866 Depth=3
	s_mov_b32 s79, -1
	s_or_b32 s75, s75, exec_lo
	s_and_saveexec_b32 s78, s77
	s_cbranch_execz .LBB2_1865
	s_branch .LBB2_1869
.LBB2_1868:                             ;   in Loop: Header=BB2_1866 Depth=3
	s_trap 2
	ds_load_b64 v[10:11], v0
	s_and_not1_b32 s77, s77, exec_lo
	s_mov_b32 s76, 0
	s_wait_loadcnt_dscnt 0x0
	flat_load_b32 v2, v[10:11] scope:SCOPE_SYS
	s_wait_loadcnt_dscnt 0x0
	global_inv scope:SCOPE_SYS
	v_cmp_eq_u32_e32 vcc_lo, 0, v2
	s_and_b32 s78, vcc_lo, exec_lo
	s_delay_alu instid0(SALU_CYCLE_1)
	s_or_b32 s77, s77, s78
	s_mov_b32 s79, -1
	s_or_b32 s75, s75, exec_lo
	s_and_saveexec_b32 s78, s77
	s_cbranch_execz .LBB2_1865
.LBB2_1869:                             ;   in Loop: Header=BB2_1866 Depth=3
	s_sleep 1
	s_trap 2
	ds_load_b64 v[10:11], v0
	s_wait_dscnt 0x0
	s_and_not1_b32 s75, s75, exec_lo
	v_cmp_ge_u64_e32 vcc_lo, v[10:11], v[32:33]
	s_or_not1_b32 s79, vcc_lo, exec_lo
	s_branch .LBB2_1865
.LBB2_1870:                             ;   in Loop: Header=BB2_1811 Depth=2
	s_or_b32 exec_lo, exec_lo, s45
	s_and_saveexec_b32 s45, s74
	s_delay_alu instid0(SALU_CYCLE_1)
	s_xor_b32 s45, exec_lo, s45
	s_cbranch_execz .LBB2_1872
; %bb.1871:                             ;   in Loop: Header=BB2_1811 Depth=2
	ds_store_b32 v0, v75
	s_trap 2
.LBB2_1872:                             ;   in Loop: Header=BB2_1811 Depth=2
	s_or_b32 exec_lo, exec_lo, s44
	;;#ASMSTART
	s_wakeup
	;;#ASMEND
.LBB2_1873:                             ;   in Loop: Header=BB2_1811 Depth=2
	s_or_b32 exec_lo, exec_lo, s15
.LBB2_1874:                             ;   in Loop: Header=BB2_1811 Depth=2
	s_and_not1_saveexec_b32 s14, s14
	s_cbranch_execz .LBB2_1876
; %bb.1875:                             ;   in Loop: Header=BB2_1811 Depth=2
	global_wb scope:SCOPE_DEV
	s_wait_storecnt 0x0
	s_wait_loadcnt_dscnt 0x0
	global_inv scope:SCOPE_DEV
	s_barrier_signal -1
	s_barrier_wait -1
.LBB2_1876:                             ;   in Loop: Header=BB2_1811 Depth=2
	s_or_b32 exec_lo, exec_lo, s14
.LBB2_1877:                             ;   in Loop: Header=BB2_1811 Depth=2
	s_delay_alu instid0(SALU_CYCLE_1)
	s_or_b32 exec_lo, exec_lo, s13
	s_trap 2
	ds_load_b64 v[118:119], v0
	s_wait_dscnt 0x0
	v_cmp_eq_u64_e32 vcc_lo, 0, v[118:119]
	s_cbranch_vccnz .LBB2_1886
; %bb.1878:                             ;   in Loop: Header=BB2_1811 Depth=2
	s_trap 2
	ds_load_b64 v[40:41], v0
	s_wait_dscnt 0x0
	v_cmp_eq_u64_e32 vcc_lo, 0, v[40:41]
	s_cbranch_vccnz .LBB2_1886
; %bb.1879:                             ;   in Loop: Header=BB2_1811 Depth=2
	s_trap 2
	ds_load_b64 v[42:43], v0
	v_cmp_eq_u32_e64 s13, 0, v8
	s_delay_alu instid0(VALU_DEP_1)
	v_cndmask_b32_e64 v113, 0, v112, s13
	s_mov_b32 s13, -1
	s_wait_dscnt 0x0
	v_cmp_ne_u64_e32 vcc_lo, 0, v[42:43]
	s_cbranch_vccz .LBB2_3231
; %bb.1880:                             ;   in Loop: Header=BB2_1811 Depth=2
	s_and_saveexec_b32 s14, s12
	s_cbranch_execz .LBB2_1882
; %bb.1881:                             ;   in Loop: Header=BB2_1811 Depth=2
	ds_load_b32 v2, v0 offset:720
	s_wait_dscnt 0x0
	v_and_b32_e32 v2, 15, v2
	s_delay_alu instid0(VALU_DEP_1)
	v_cmp_eq_u32_e32 vcc_lo, 0, v2
	s_or_not1_b32 s13, vcc_lo, exec_lo
.LBB2_1882:                             ;   in Loop: Header=BB2_1811 Depth=2
	s_or_b32 exec_lo, exec_lo, s14
	s_and_saveexec_b32 s14, s12
	s_cbranch_execz .LBB2_1884
; %bb.1883:                             ;   in Loop: Header=BB2_1811 Depth=2
	ds_load_b32 v2, v0 offset:784
	s_wait_dscnt 0x0
	v_and_b32_e32 v2, 15, v2
	s_delay_alu instid0(VALU_DEP_1) | instskip(SKIP_3) | instid1(SALU_CYCLE_1)
	v_cmp_eq_u32_e32 vcc_lo, 0, v2
	s_and_b32 s15, s13, vcc_lo
	s_and_not1_b32 s13, s13, exec_lo
	s_and_b32 s15, s15, exec_lo
	s_or_b32 s13, s13, s15
.LBB2_1884:                             ;   in Loop: Header=BB2_1811 Depth=2
	s_or_b32 exec_lo, exec_lo, s14
	s_xor_b32 s13, s13, -1
	v_dual_mov_b32 v46, 0 :: v_dual_mov_b32 v47, v113
	v_cndmask_b32_e64 v2, 0, 1, s13
	v_mov_b32_e32 v56, v0
	s_mov_b32 s14, -1
	s_delay_alu instid0(VALU_DEP_2)
	v_cmp_ne_u32_e32 vcc_lo, 0, v2
	v_mov_b32_e32 v2, v79
	s_cbranch_vccz .LBB2_1887
; %bb.1885:                             ;   in Loop: Header=BB2_1811 Depth=2
	s_and_saveexec_b32 s15, s14
	s_cbranch_execnz .LBB2_2896
	s_branch .LBB2_3230
.LBB2_1886:                             ;   in Loop: Header=BB2_1811 Depth=2
	s_mov_b32 s13, 0
	s_and_saveexec_b32 s14, s2
	s_cbranch_execnz .LBB2_4577
	s_branch .LBB2_4595
.LBB2_1887:                             ;   in Loop: Header=BB2_1811 Depth=2
	v_dual_ashrrev_i32 v2, 31, v113 :: v_dual_sub_nc_u32 v115, v113, v50
	s_mov_b32 s74, exec_lo
	s_delay_alu instid0(VALU_DEP_1) | instskip(NEXT) | instid1(VALU_DEP_1)
	v_lshrrev_b32_e32 v2, 23, v2
	v_add_nc_u32_e32 v2, v113, v2
	s_delay_alu instid0(VALU_DEP_1) | instskip(NEXT) | instid1(VALU_DEP_1)
	v_and_b32_e32 v91, 0xfffffe00, v2
	v_dual_ashrrev_i32 v2, 9, v2 :: v_dual_sub_nc_u32 v92, v113, v91
	s_delay_alu instid0(VALU_DEP_1) | instskip(NEXT) | instid1(VALU_DEP_1)
	v_cmp_lt_i32_e64 s13, 15, v92
	v_add_co_ci_u32_e64 v93, null, v2, v89, s13
	v_cmpx_lt_i32_e32 15, v115
	s_cbranch_execz .LBB2_2389
; %bb.1888:                             ;   in Loop: Header=BB2_1811 Depth=2
	s_trap 2
	ds_load_b64 v[8:9], v0
	v_add_nc_u64_e32 v[44:45], v[40:41], v[50:51]
	v_add_nc_u64_e32 v[46:47], v[42:43], v[50:51]
	;; [unrolled: 1-line block ×3, first 2 shown]
	s_mov_b32 s75, 0
	s_wait_dscnt 0x0
	v_add_nc_u64_e32 v[58:59], v[8:9], v[50:51]
.LBB2_1889:                             ;   Parent Loop BB2_47 Depth=1
                                        ;     Parent Loop BB2_1811 Depth=2
                                        ; =>    This Loop Header: Depth=3
                                        ;         Child Loop BB2_2386 Depth 4
	global_load_b128 v[12:15], v[56:57], off th:TH_LOAD_NT
	global_load_b128 v[8:11], v[58:59], off th:TH_LOAD_NT
	v_mov_b32_e32 v2, 0
	s_mov_b32 s14, exec_lo
	s_wait_loadcnt 0x1
	v_and_b32_e32 v60, 0xff, v12
	s_wait_xcnt 0x0
	s_delay_alu instid0(VALU_DEP_1)
	v_cmpx_ne_u16_e32 0, v60
	s_cbranch_execz .LBB2_1895
; %bb.1890:                             ;   in Loop: Header=BB2_1889 Depth=3
	v_bfrev_b32_e32 v2, 1
	s_mov_b32 s15, exec_lo
	v_cmpx_ne_u16_e32 0x80, v60
	s_cbranch_execz .LBB2_1894
; %bb.1891:                             ;   in Loop: Header=BB2_1889 Depth=3
	v_and_b32_e32 v60, 0x7f, v12
	v_mov_b32_e32 v2, 0x7f800001
	s_mov_b32 s44, exec_lo
	s_delay_alu instid0(VALU_DEP_2)
	v_cmpx_ne_u32_e32 0x7f, v60
	s_cbranch_execz .LBB2_1893
; %bb.1892:                             ;   in Loop: Header=BB2_1889 Depth=3
	v_cmp_gt_u32_e32 vcc_lo, 8, v60
	v_and_b32_e32 v2, 7, v12
	s_delay_alu instid0(VALU_DEP_1) | instskip(NEXT) | instid1(VALU_DEP_1)
	v_clz_i32_u32_e32 v2, v2
	v_min_u32_e32 v2, 32, v2
	v_lshrrev_b32_e32 v18, 3, v60
	s_delay_alu instid0(VALU_DEP_2) | instskip(SKIP_1) | instid1(VALU_DEP_1)
	v_subrev_nc_u32_e32 v19, 28, v2
	v_sub_nc_u32_e32 v2, 29, v2
	v_dual_cndmask_b32 v2, v18, v2, vcc_lo :: v_dual_cndmask_b32 v18, 0, v19, vcc_lo
	s_delay_alu instid0(VALU_DEP_1) | instskip(SKIP_1) | instid1(VALU_DEP_3)
	v_lshlrev_b64_e32 v[60:61], v18, v[12:13]
	v_lshlrev_b32_e32 v18, 24, v12
	v_lshl_add_u32 v2, v2, 23, 0x3c000000
	s_delay_alu instid0(VALU_DEP_2) | instskip(NEXT) | instid1(VALU_DEP_4)
	v_and_b32_e32 v18, 0x80000000, v18
	v_lshlrev_b32_e32 v19, 20, v60
	s_delay_alu instid0(VALU_DEP_1) | instskip(NEXT) | instid1(VALU_DEP_1)
	v_and_b32_e32 v19, 0x700000, v19
	v_or3_b32 v2, v19, v18, v2
.LBB2_1893:                             ;   in Loop: Header=BB2_1889 Depth=3
	s_or_b32 exec_lo, exec_lo, s44
.LBB2_1894:                             ;   in Loop: Header=BB2_1889 Depth=3
	s_delay_alu instid0(SALU_CYCLE_1)
	s_or_b32 exec_lo, exec_lo, s15
.LBB2_1895:                             ;   in Loop: Header=BB2_1889 Depth=3
	s_delay_alu instid0(SALU_CYCLE_1) | instskip(SKIP_4) | instid1(VALU_DEP_1)
	s_or_b32 exec_lo, exec_lo, s14
	s_wait_loadcnt 0x0
	v_and_b32_e32 v61, 0xff, v8
	s_mov_b32 s14, 0
	s_mov_b32 s15, exec_lo
	v_cmpx_lt_i16_e32 0x7f, v61
	s_xor_b32 s15, exec_lo, s15
	s_cbranch_execz .LBB2_1930
; %bb.1896:                             ;   in Loop: Header=BB2_1889 Depth=3
	s_mov_b32 s14, -1
	s_mov_b32 s44, exec_lo
	v_cmpx_eq_u16_e32 0x80, v61
; %bb.1897:                             ;   in Loop: Header=BB2_1889 Depth=3
	s_xor_b32 s14, exec_lo, -1
; %bb.1898:                             ;   in Loop: Header=BB2_1889 Depth=3
	s_or_b32 exec_lo, exec_lo, s44
	s_delay_alu instid0(SALU_CYCLE_1)
	s_and_b32 s14, s14, exec_lo
                                        ; implicit-def: $vgpr61
	s_or_saveexec_b32 s15, s15
	v_bfrev_b32_e32 v60, 1
	s_xor_b32 exec_lo, exec_lo, s15
	s_cbranch_execnz .LBB2_1931
.LBB2_1899:                             ;   in Loop: Header=BB2_1889 Depth=3
	s_or_b32 exec_lo, exec_lo, s15
	s_and_saveexec_b32 s15, s14
	s_cbranch_execz .LBB2_1901
.LBB2_1900:                             ;   in Loop: Header=BB2_1889 Depth=3
	v_and_b32_e32 v19, 0x7f, v8
	v_bfe_u32 v60, v8, 3, 4
	s_delay_alu instid0(VALU_DEP_2) | instskip(SKIP_1) | instid1(VALU_DEP_1)
	v_cmp_gt_u32_e32 vcc_lo, 8, v19
	v_and_b32_e32 v18, 7, v8
	v_clz_i32_u32_e32 v18, v18
	s_delay_alu instid0(VALU_DEP_1) | instskip(NEXT) | instid1(VALU_DEP_1)
	v_min_u32_e32 v18, 32, v18
	v_subrev_nc_u32_e32 v61, 28, v18
	v_sub_nc_u32_e32 v18, 29, v18
	s_delay_alu instid0(VALU_DEP_1) | instskip(SKIP_1) | instid1(VALU_DEP_2)
	v_dual_cndmask_b32 v18, v60, v18, vcc_lo :: v_dual_cndmask_b32 v60, 0, v61, vcc_lo
	v_cmp_ne_u32_e32 vcc_lo, 0x7f, v19
	v_lshlrev_b64_e32 v[60:61], v60, v[8:9]
	v_lshlrev_b32_e32 v61, 24, v8
	s_delay_alu instid0(VALU_DEP_1) | instskip(NEXT) | instid1(VALU_DEP_3)
	v_and_b32_e32 v61, 0x80000000, v61
	v_lshlrev_b32_e32 v60, 20, v60
	v_lshl_add_u32 v18, v18, 23, 0x3c000000
	s_delay_alu instid0(VALU_DEP_2) | instskip(NEXT) | instid1(VALU_DEP_1)
	v_and_b32_e32 v60, 0x700000, v60
	v_or3_b32 v18, v60, v61, v18
	s_delay_alu instid0(VALU_DEP_1)
	v_cndmask_b32_e32 v60, 0x7f800001, v18, vcc_lo
.LBB2_1901:                             ;   in Loop: Header=BB2_1889 Depth=3
	s_or_b32 exec_lo, exec_lo, s15
	s_delay_alu instid0(VALU_DEP_1) | instskip(SKIP_1) | instid1(VALU_DEP_1)
	v_add_f32_e32 v60, v2, v60
                                        ; implicit-def: $vgpr94
	s_mov_b32 s14, exec_lo
	v_and_b32_e32 v2, 0x7f800000, v60
	v_lshrrev_b32_e32 v61, 24, v60
	s_delay_alu instid0(VALU_DEP_2)
	v_cmpx_ne_u64_e32 0x7f800000, v[2:3]
	s_xor_b32 s15, exec_lo, s14
	s_cbranch_execz .LBB2_1915
; %bb.1902:                             ;   in Loop: Header=BB2_1889 Depth=3
	v_and_b32_e32 v2, 0x7fffffff, v60
	v_and_b32_e32 v72, 0x80, v61
                                        ; implicit-def: $vgpr94
	s_mov_b32 s14, exec_lo
	s_delay_alu instid0(VALU_DEP_2)
	v_cmpx_gt_u64_e32 0x43e00001, v[2:3]
	s_xor_b32 s44, exec_lo, s14
	s_cbranch_execz .LBB2_1912
; %bb.1903:                             ;   in Loop: Header=BB2_1889 Depth=3
	v_mov_b32_e32 v94, 0
	s_mov_b32 s45, exec_lo
	v_cmpx_ne_u32_e32 0, v60
	s_cbranch_execz .LBB2_1911
; %bb.1904:                             ;   in Loop: Header=BB2_1889 Depth=3
	v_bfe_u32 v73, v60, 23, 8
	s_delay_alu instid0(VALU_DEP_1) | instskip(SKIP_1) | instid1(VALU_DEP_2)
	v_sub_nc_u32_e32 v2, 0x79, v73
	v_cmp_gt_u32_e32 vcc_lo, 0x7a, v73
	v_cndmask_b32_e32 v2, 0, v2, vcc_lo
	v_cmp_eq_u32_e32 vcc_lo, 0, v73
	s_delay_alu instid0(VALU_DEP_2) | instskip(SKIP_1) | instid1(VALU_DEP_2)
	v_cndmask_b32_e64 v94, v2, 0x78, vcc_lo
	v_and_b32_e32 v2, 0x7fffff, v60
	v_add_nc_u32_e32 v18, 20, v94
	s_delay_alu instid0(VALU_DEP_2) | instskip(NEXT) | instid1(VALU_DEP_2)
	v_or_b32_e32 v19, 0x800000, v2
	v_lshlrev_b64_e64 v[60:61], v18, -1
	v_add_nc_u32_e32 v18, 19, v94
	s_delay_alu instid0(VALU_DEP_3) | instskip(NEXT) | instid1(VALU_DEP_2)
	v_cndmask_b32_e32 v2, v19, v2, vcc_lo
	v_lshlrev_b64_e64 v[62:63], v18, 1
	s_delay_alu instid0(VALU_DEP_4) | instskip(NEXT) | instid1(VALU_DEP_3)
	v_bfi_b32 v105, v61, 0, 0
	v_bfi_b32 v104, v60, 0, v2
	v_lshrrev_b64 v[60:61], v94, v[2:3]
	s_delay_alu instid0(VALU_DEP_2) | instskip(NEXT) | instid1(VALU_DEP_2)
	v_cmp_eq_u64_e64 s14, v[104:105], v[62:63]
	v_mov_b64_e32 v[62:63], v[60:61]
	s_and_saveexec_b32 s76, s14
; %bb.1905:                             ;   in Loop: Header=BB2_1889 Depth=3
	v_bfe_u32 v2, v60, 20, 1
	s_delay_alu instid0(VALU_DEP_1) | instskip(NEXT) | instid1(VALU_DEP_1)
	v_add_nc_u64_e32 v[62:63], v[60:61], v[2:3]
	v_add_nc_u64_e32 v[62:63], -1, v[62:63]
; %bb.1906:                             ;   in Loop: Header=BB2_1889 Depth=3
	s_or_b32 exec_lo, exec_lo, s76
	v_add_nc_u32_e32 v2, 0xffffff81, v73
	v_lshrrev_b32_e32 v18, 23, v60
	s_mov_b32 s14, exec_lo
	s_delay_alu instid0(VALU_DEP_2) | instskip(NEXT) | instid1(VALU_DEP_1)
	v_cndmask_b32_e64 v2, v2, 0xffffff82, vcc_lo
	v_add3_u32 v63, v94, v2, v18
	v_and_b32_e32 v2, 0xfffff, v62
                                        ; implicit-def: $vgpr62
	s_delay_alu instid0(VALU_DEP_1) | instskip(NEXT) | instid1(VALU_DEP_1)
	v_dual_add_nc_u32 v73, 6, v63 :: v_dual_add_nc_u32 v2, v2, v60
                                        ; implicit-def: $vgpr60_vgpr61
	v_cmpx_ne_u32_e32 0, v73
	s_xor_b32 s14, exec_lo, s14
; %bb.1907:                             ;   in Loop: Header=BB2_1889 Depth=3
	s_delay_alu instid0(VALU_DEP_2) | instskip(SKIP_1) | instid1(VALU_DEP_1)
	v_cmp_lt_u64_e32 vcc_lo, 0xffffff, v[2:3]
	v_add_nc_u32_e32 v18, 7, v63
	v_cndmask_b32_e32 v62, v73, v18, vcc_lo
	v_cndmask_b32_e64 v18, 0, 1, vcc_lo
	s_delay_alu instid0(VALU_DEP_1)
	v_lshrrev_b64 v[60:61], v18, v[2:3]
; %bb.1908:                             ;   in Loop: Header=BB2_1889 Depth=3
	s_and_not1_saveexec_b32 s14, s14
; %bb.1909:                             ;   in Loop: Header=BB2_1889 Depth=3
	v_mov_b64_e32 v[60:61], v[2:3]
	v_bfe_u32 v62, v2, 23, 1
; %bb.1910:                             ;   in Loop: Header=BB2_1889 Depth=3
	s_or_b32 exec_lo, exec_lo, s14
	s_delay_alu instid0(VALU_DEP_2) | instskip(NEXT) | instid1(VALU_DEP_2)
	v_lshrrev_b64 v[60:61], 20, v[60:61]
	v_cmp_gt_i32_e32 vcc_lo, 16, v62
	v_min_i32_e32 v2, 15, v62
	v_cmp_eq_u32_e64 s14, 0, v62
	s_delay_alu instid0(VALU_DEP_2) | instskip(SKIP_1) | instid1(VALU_DEP_2)
	v_dual_cndmask_b32 v61, 0, v61 :: v_dual_lshlrev_b32 v2, 3, v2
	v_cndmask_b32_e32 v60, 7, v60, vcc_lo
	v_and_b32_e32 v2, 0xf8, v2
	s_delay_alu instid0(VALU_DEP_2) | instskip(NEXT) | instid1(VALU_DEP_2)
	v_cmp_eq_u64_e32 vcc_lo, 0, v[60:61]
	v_and_or_b32 v2, v60, 7, v2
	s_and_b32 s14, s14, vcc_lo
	s_delay_alu instid0(VALU_DEP_1) | instid1(SALU_CYCLE_1)
	v_cndmask_b32_e64 v2, v2, 0, s14
	s_delay_alu instid0(VALU_DEP_1)
	v_or_b32_e32 v94, v2, v72
.LBB2_1911:                             ;   in Loop: Header=BB2_1889 Depth=3
	s_or_b32 exec_lo, exec_lo, s45
                                        ; implicit-def: $vgpr72
.LBB2_1912:                             ;   in Loop: Header=BB2_1889 Depth=3
	s_and_not1_saveexec_b32 s14, s44
; %bb.1913:                             ;   in Loop: Header=BB2_1889 Depth=3
	v_or_b32_e32 v94, 0x7e, v72
; %bb.1914:                             ;   in Loop: Header=BB2_1889 Depth=3
	s_or_b32 exec_lo, exec_lo, s14
                                        ; implicit-def: $vgpr61
.LBB2_1915:                             ;   in Loop: Header=BB2_1889 Depth=3
	s_and_not1_saveexec_b32 s14, s15
; %bb.1916:                             ;   in Loop: Header=BB2_1889 Depth=3
	v_or_b32_e32 v94, 0x7f, v61
; %bb.1917:                             ;   in Loop: Header=BB2_1889 Depth=3
	s_or_b32 exec_lo, exec_lo, s14
	v_lshrrev_b16 v2, 8, v12
	v_mov_b32_e32 v60, 0
	s_mov_b32 s14, exec_lo
	s_delay_alu instid0(VALU_DEP_2)
	v_cmpx_ne_u16_e32 0, v2
	s_cbranch_execz .LBB2_1925
; %bb.1918:                             ;   in Loop: Header=BB2_1889 Depth=3
	v_bfrev_b32_e32 v60, 1
	s_mov_b32 s15, exec_lo
	v_cmpx_ne_u16_e32 0x80, v2
	s_cbranch_execz .LBB2_1924
; %bb.1919:                             ;   in Loop: Header=BB2_1889 Depth=3
	v_and_b32_e32 v2, 0xffff, v2
	v_mov_b32_e32 v60, 0x7f800001
	s_mov_b32 s44, exec_lo
	s_delay_alu instid0(VALU_DEP_2) | instskip(NEXT) | instid1(VALU_DEP_1)
	v_and_b32_e32 v61, 0x7f, v2
	v_cmpx_ne_u32_e32 0x7f, v61
	s_cbranch_execz .LBB2_1923
; %bb.1920:                             ;   in Loop: Header=BB2_1889 Depth=3
	v_dual_lshrrev_b32 v60, 3, v61 :: v_dual_bitop2_b32 v2, 7, v2 bitop3:0x40
	s_mov_b32 s45, exec_lo
	v_cmpx_gt_u32_e32 8, v61
; %bb.1921:                             ;   in Loop: Header=BB2_1889 Depth=3
	s_delay_alu instid0(VALU_DEP_2) | instskip(NEXT) | instid1(VALU_DEP_1)
	v_clz_i32_u32_e32 v18, v2
	v_min_u32_e32 v18, 32, v18
	s_delay_alu instid0(VALU_DEP_1) | instskip(SKIP_1) | instid1(VALU_DEP_2)
	v_subrev_nc_u32_e32 v19, 28, v18
	v_sub_nc_u32_e32 v60, 29, v18
	v_lshlrev_b64_e32 v[62:63], v19, v[2:3]
	s_delay_alu instid0(VALU_DEP_1)
	v_and_b32_e32 v2, 7, v62
; %bb.1922:                             ;   in Loop: Header=BB2_1889 Depth=3
	s_or_b32 exec_lo, exec_lo, s45
	s_delay_alu instid0(VALU_DEP_1) | instskip(SKIP_1) | instid1(VALU_DEP_2)
	v_dual_lshlrev_b32 v18, 16, v12 :: v_dual_lshlrev_b32 v2, 20, v2
	v_lshl_add_u32 v19, v60, 23, 0x3c000000
	v_and_b32_e32 v18, 0x80000000, v18
	s_delay_alu instid0(VALU_DEP_1)
	v_or3_b32 v60, v2, v18, v19
.LBB2_1923:                             ;   in Loop: Header=BB2_1889 Depth=3
	s_or_b32 exec_lo, exec_lo, s44
.LBB2_1924:                             ;   in Loop: Header=BB2_1889 Depth=3
	s_delay_alu instid0(SALU_CYCLE_1)
	s_or_b32 exec_lo, exec_lo, s15
.LBB2_1925:                             ;   in Loop: Header=BB2_1889 Depth=3
	s_delay_alu instid0(SALU_CYCLE_1) | instskip(SKIP_3) | instid1(VALU_DEP_1)
	s_or_b32 exec_lo, exec_lo, s14
	v_lshrrev_b16 v61, 8, v8
	s_mov_b32 s15, 0
	s_mov_b32 s14, exec_lo
	v_cmpx_lt_i16_e32 0x7f, v61
	s_xor_b32 s14, exec_lo, s14
	s_cbranch_execz .LBB2_1932
; %bb.1926:                             ;   in Loop: Header=BB2_1889 Depth=3
	s_mov_b32 s15, -1
	s_mov_b32 s44, exec_lo
	v_cmpx_eq_u16_e32 0x80, v61
; %bb.1927:                             ;   in Loop: Header=BB2_1889 Depth=3
	s_xor_b32 s15, exec_lo, -1
; %bb.1928:                             ;   in Loop: Header=BB2_1889 Depth=3
	s_or_b32 exec_lo, exec_lo, s44
	s_delay_alu instid0(SALU_CYCLE_1)
	s_and_b32 s15, s15, exec_lo
	s_or_saveexec_b32 s14, s14
	v_bfrev_b32_e32 v62, 1
	s_xor_b32 exec_lo, exec_lo, s14
	s_cbranch_execnz .LBB2_1933
.LBB2_1929:                             ;   in Loop: Header=BB2_1889 Depth=3
	s_or_b32 exec_lo, exec_lo, s14
	s_and_saveexec_b32 s14, s15
	s_cbranch_execnz .LBB2_1934
	s_branch .LBB2_1937
.LBB2_1930:                             ;   in Loop: Header=BB2_1889 Depth=3
	s_or_saveexec_b32 s15, s15
	v_bfrev_b32_e32 v60, 1
	s_xor_b32 exec_lo, exec_lo, s15
	s_cbranch_execz .LBB2_1899
.LBB2_1931:                             ;   in Loop: Header=BB2_1889 Depth=3
	v_cmp_ne_u16_e32 vcc_lo, 0, v61
	v_mov_b32_e32 v60, 0
	s_and_not1_b32 s14, s14, exec_lo
	s_and_b32 s44, vcc_lo, exec_lo
	s_delay_alu instid0(SALU_CYCLE_1)
	s_or_b32 s14, s14, s44
	s_or_b32 exec_lo, exec_lo, s15
	s_and_saveexec_b32 s15, s14
	s_cbranch_execnz .LBB2_1900
	s_branch .LBB2_1901
.LBB2_1932:                             ;   in Loop: Header=BB2_1889 Depth=3
	s_or_saveexec_b32 s14, s14
	v_bfrev_b32_e32 v62, 1
	s_xor_b32 exec_lo, exec_lo, s14
	s_cbranch_execz .LBB2_1929
.LBB2_1933:                             ;   in Loop: Header=BB2_1889 Depth=3
	v_cmp_ne_u16_e32 vcc_lo, 0, v61
	v_mov_b32_e32 v62, 0
	s_and_not1_b32 s15, s15, exec_lo
	s_and_b32 s44, vcc_lo, exec_lo
	s_delay_alu instid0(SALU_CYCLE_1)
	s_or_b32 s15, s15, s44
	s_or_b32 exec_lo, exec_lo, s14
	s_and_saveexec_b32 s14, s15
	s_cbranch_execz .LBB2_1937
.LBB2_1934:                             ;   in Loop: Header=BB2_1889 Depth=3
	v_and_b32_e32 v2, 0xffff, v61
	v_mov_b32_e32 v62, 0x7f800001
	s_mov_b32 s15, exec_lo
	s_delay_alu instid0(VALU_DEP_2) | instskip(NEXT) | instid1(VALU_DEP_1)
	v_and_b32_e32 v63, 0x7f, v2
	v_cmpx_ne_u32_e32 0x7f, v63
	s_cbranch_execz .LBB2_1936
; %bb.1935:                             ;   in Loop: Header=BB2_1889 Depth=3
	v_and_b32_e32 v18, 7, v2
	v_cmp_gt_u32_e32 vcc_lo, 8, v63
	s_delay_alu instid0(VALU_DEP_2) | instskip(NEXT) | instid1(VALU_DEP_1)
	v_clz_i32_u32_e32 v19, v18
	v_min_u32_e32 v19, 32, v19
	s_delay_alu instid0(VALU_DEP_1) | instskip(NEXT) | instid1(VALU_DEP_1)
	v_subrev_nc_u32_e32 v62, 28, v19
	v_lshlrev_b64_e32 v[72:73], v62, v[2:3]
	v_lshrrev_b32_e32 v2, 3, v63
	s_delay_alu instid0(VALU_DEP_2) | instskip(NEXT) | instid1(VALU_DEP_1)
	v_dual_sub_nc_u32 v19, 29, v19 :: v_dual_bitop2_b32 v62, 7, v72 bitop3:0x40
	v_dual_cndmask_b32 v2, v2, v19 :: v_dual_lshlrev_b32 v61, 24, v61
	s_delay_alu instid0(VALU_DEP_2) | instskip(NEXT) | instid1(VALU_DEP_2)
	v_cndmask_b32_e32 v18, v18, v62, vcc_lo
	v_and_b32_e32 v19, 0x80000000, v61
	s_delay_alu instid0(VALU_DEP_3) | instskip(NEXT) | instid1(VALU_DEP_3)
	v_lshl_add_u32 v2, v2, 23, 0x3c000000
	v_lshlrev_b32_e32 v18, 20, v18
	s_delay_alu instid0(VALU_DEP_1)
	v_or3_b32 v62, v18, v19, v2
.LBB2_1936:                             ;   in Loop: Header=BB2_1889 Depth=3
	s_or_b32 exec_lo, exec_lo, s15
.LBB2_1937:                             ;   in Loop: Header=BB2_1889 Depth=3
	s_delay_alu instid0(SALU_CYCLE_1) | instskip(NEXT) | instid1(VALU_DEP_1)
	s_or_b32 exec_lo, exec_lo, s14
	v_add_f32_e32 v60, v60, v62
                                        ; implicit-def: $vgpr95
	s_mov_b32 s14, exec_lo
	s_delay_alu instid0(VALU_DEP_1) | instskip(SKIP_1) | instid1(VALU_DEP_2)
	v_and_b32_e32 v2, 0x7f800000, v60
	v_lshrrev_b32_e32 v61, 24, v60
	v_cmpx_ne_u64_e32 0x7f800000, v[2:3]
	s_xor_b32 s15, exec_lo, s14
	s_cbranch_execz .LBB2_1951
; %bb.1938:                             ;   in Loop: Header=BB2_1889 Depth=3
	v_and_b32_e32 v2, 0x7fffffff, v60
	v_and_b32_e32 v72, 0x80, v61
                                        ; implicit-def: $vgpr95
	s_mov_b32 s14, exec_lo
	s_delay_alu instid0(VALU_DEP_2)
	v_cmpx_gt_u64_e32 0x43e00001, v[2:3]
	s_xor_b32 s44, exec_lo, s14
	s_cbranch_execz .LBB2_1948
; %bb.1939:                             ;   in Loop: Header=BB2_1889 Depth=3
	v_mov_b32_e32 v95, 0
	s_mov_b32 s45, exec_lo
	v_cmpx_ne_u32_e32 0, v60
	s_cbranch_execz .LBB2_1947
; %bb.1940:                             ;   in Loop: Header=BB2_1889 Depth=3
	v_bfe_u32 v73, v60, 23, 8
	s_delay_alu instid0(VALU_DEP_1) | instskip(SKIP_1) | instid1(VALU_DEP_2)
	v_sub_nc_u32_e32 v2, 0x79, v73
	v_cmp_gt_u32_e32 vcc_lo, 0x7a, v73
	v_cndmask_b32_e32 v2, 0, v2, vcc_lo
	v_cmp_eq_u32_e32 vcc_lo, 0, v73
	s_delay_alu instid0(VALU_DEP_2) | instskip(SKIP_1) | instid1(VALU_DEP_2)
	v_cndmask_b32_e64 v95, v2, 0x78, vcc_lo
	v_and_b32_e32 v2, 0x7fffff, v60
	v_add_nc_u32_e32 v18, 20, v95
	s_delay_alu instid0(VALU_DEP_2) | instskip(NEXT) | instid1(VALU_DEP_2)
	v_or_b32_e32 v19, 0x800000, v2
	v_lshlrev_b64_e64 v[60:61], v18, -1
	s_delay_alu instid0(VALU_DEP_2) | instskip(NEXT) | instid1(VALU_DEP_1)
	v_dual_add_nc_u32 v18, 19, v95 :: v_dual_cndmask_b32 v2, v19, v2, vcc_lo
	v_lshlrev_b64_e64 v[62:63], v18, 1
	s_delay_alu instid0(VALU_DEP_3) | instskip(NEXT) | instid1(VALU_DEP_3)
	v_bfi_b32 v105, v61, 0, 0
	v_bfi_b32 v104, v60, 0, v2
	v_lshrrev_b64 v[60:61], v95, v[2:3]
	s_delay_alu instid0(VALU_DEP_2) | instskip(NEXT) | instid1(VALU_DEP_2)
	v_cmp_eq_u64_e64 s14, v[104:105], v[62:63]
	v_mov_b64_e32 v[62:63], v[60:61]
	s_and_saveexec_b32 s76, s14
; %bb.1941:                             ;   in Loop: Header=BB2_1889 Depth=3
	v_bfe_u32 v2, v60, 20, 1
	s_delay_alu instid0(VALU_DEP_1) | instskip(NEXT) | instid1(VALU_DEP_1)
	v_add_nc_u64_e32 v[62:63], v[60:61], v[2:3]
	v_add_nc_u64_e32 v[62:63], -1, v[62:63]
; %bb.1942:                             ;   in Loop: Header=BB2_1889 Depth=3
	s_or_b32 exec_lo, exec_lo, s76
	v_add_nc_u32_e32 v2, 0xffffff81, v73
	v_lshrrev_b32_e32 v18, 23, v60
	s_mov_b32 s14, exec_lo
	s_delay_alu instid0(VALU_DEP_2) | instskip(NEXT) | instid1(VALU_DEP_1)
	v_cndmask_b32_e64 v2, v2, 0xffffff82, vcc_lo
	v_add3_u32 v63, v95, v2, v18
	v_and_b32_e32 v2, 0xfffff, v62
                                        ; implicit-def: $vgpr62
	s_delay_alu instid0(VALU_DEP_1) | instskip(NEXT) | instid1(VALU_DEP_1)
	v_dual_add_nc_u32 v73, 6, v63 :: v_dual_add_nc_u32 v2, v2, v60
                                        ; implicit-def: $vgpr60_vgpr61
	v_cmpx_ne_u32_e32 0, v73
	s_xor_b32 s14, exec_lo, s14
; %bb.1943:                             ;   in Loop: Header=BB2_1889 Depth=3
	s_delay_alu instid0(VALU_DEP_2) | instskip(SKIP_1) | instid1(VALU_DEP_1)
	v_cmp_lt_u64_e32 vcc_lo, 0xffffff, v[2:3]
	v_add_nc_u32_e32 v18, 7, v63
	v_cndmask_b32_e32 v62, v73, v18, vcc_lo
	v_cndmask_b32_e64 v18, 0, 1, vcc_lo
	s_delay_alu instid0(VALU_DEP_1)
	v_lshrrev_b64 v[60:61], v18, v[2:3]
; %bb.1944:                             ;   in Loop: Header=BB2_1889 Depth=3
	s_and_not1_saveexec_b32 s14, s14
; %bb.1945:                             ;   in Loop: Header=BB2_1889 Depth=3
	v_mov_b64_e32 v[60:61], v[2:3]
	v_bfe_u32 v62, v2, 23, 1
; %bb.1946:                             ;   in Loop: Header=BB2_1889 Depth=3
	s_or_b32 exec_lo, exec_lo, s14
	s_delay_alu instid0(VALU_DEP_2) | instskip(NEXT) | instid1(VALU_DEP_2)
	v_lshrrev_b64 v[60:61], 20, v[60:61]
	v_cmp_gt_i32_e32 vcc_lo, 16, v62
	v_min_i32_e32 v2, 15, v62
	v_cmp_eq_u32_e64 s14, 0, v62
	s_delay_alu instid0(VALU_DEP_2) | instskip(SKIP_1) | instid1(VALU_DEP_2)
	v_dual_cndmask_b32 v61, 0, v61 :: v_dual_lshlrev_b32 v2, 3, v2
	v_cndmask_b32_e32 v60, 7, v60, vcc_lo
	v_and_b32_e32 v2, 0xf8, v2
	s_delay_alu instid0(VALU_DEP_2) | instskip(NEXT) | instid1(VALU_DEP_2)
	v_cmp_eq_u64_e32 vcc_lo, 0, v[60:61]
	v_and_or_b32 v2, v60, 7, v2
	s_and_b32 s14, s14, vcc_lo
	s_delay_alu instid0(VALU_DEP_1) | instid1(SALU_CYCLE_1)
	v_cndmask_b32_e64 v2, v2, 0, s14
	s_delay_alu instid0(VALU_DEP_1)
	v_or_b32_e32 v95, v2, v72
.LBB2_1947:                             ;   in Loop: Header=BB2_1889 Depth=3
	s_or_b32 exec_lo, exec_lo, s45
                                        ; implicit-def: $vgpr72
.LBB2_1948:                             ;   in Loop: Header=BB2_1889 Depth=3
	s_and_not1_saveexec_b32 s14, s44
; %bb.1949:                             ;   in Loop: Header=BB2_1889 Depth=3
	v_or_b32_e32 v95, 0x7e, v72
; %bb.1950:                             ;   in Loop: Header=BB2_1889 Depth=3
	s_or_b32 exec_lo, exec_lo, s14
                                        ; implicit-def: $vgpr61
.LBB2_1951:                             ;   in Loop: Header=BB2_1889 Depth=3
	s_and_not1_saveexec_b32 s14, s15
; %bb.1952:                             ;   in Loop: Header=BB2_1889 Depth=3
	v_or_b32_e32 v95, 0x7f, v61
; %bb.1953:                             ;   in Loop: Header=BB2_1889 Depth=3
	s_or_b32 exec_lo, exec_lo, s14
	v_dual_mov_b32 v60, 0 :: v_dual_lshrrev_b32 v61, 16, v12
	s_mov_b32 s14, exec_lo
	s_delay_alu instid0(VALU_DEP_1) | instskip(NEXT) | instid1(VALU_DEP_1)
	v_and_b32_e32 v2, 0xff, v61
	v_cmpx_ne_u16_e32 0, v2
	s_cbranch_execz .LBB2_1961
; %bb.1954:                             ;   in Loop: Header=BB2_1889 Depth=3
	v_bfrev_b32_e32 v60, 1
	s_mov_b32 s15, exec_lo
	v_cmpx_ne_u16_e32 0x80, v2
	s_cbranch_execz .LBB2_1960
; %bb.1955:                             ;   in Loop: Header=BB2_1889 Depth=3
	v_bfe_u32 v62, v12, 16, 7
	v_mov_b32_e32 v60, 0x7f800001
	s_mov_b32 s44, exec_lo
	s_delay_alu instid0(VALU_DEP_2)
	v_cmpx_ne_u32_e32 0x7f, v62
	s_cbranch_execz .LBB2_1959
; %bb.1956:                             ;   in Loop: Header=BB2_1889 Depth=3
	v_dual_lshrrev_b32 v60, 3, v62 :: v_dual_bitop2_b32 v2, 7, v61 bitop3:0x40
	s_mov_b32 s45, exec_lo
	v_cmpx_gt_u32_e32 8, v62
; %bb.1957:                             ;   in Loop: Header=BB2_1889 Depth=3
	s_delay_alu instid0(VALU_DEP_2) | instskip(NEXT) | instid1(VALU_DEP_1)
	v_clz_i32_u32_e32 v18, v2
	v_min_u32_e32 v18, 32, v18
	s_delay_alu instid0(VALU_DEP_1) | instskip(SKIP_1) | instid1(VALU_DEP_2)
	v_subrev_nc_u32_e32 v19, 28, v18
	v_sub_nc_u32_e32 v60, 29, v18
	v_lshlrev_b64_e32 v[62:63], v19, v[2:3]
	s_delay_alu instid0(VALU_DEP_1)
	v_and_b32_e32 v2, 7, v62
; %bb.1958:                             ;   in Loop: Header=BB2_1889 Depth=3
	s_or_b32 exec_lo, exec_lo, s45
	s_delay_alu instid0(VALU_DEP_1) | instskip(SKIP_1) | instid1(VALU_DEP_2)
	v_dual_lshlrev_b32 v18, 24, v61 :: v_dual_lshlrev_b32 v2, 20, v2
	v_lshl_add_u32 v19, v60, 23, 0x3c000000
	v_and_b32_e32 v18, 0x80000000, v18
	s_delay_alu instid0(VALU_DEP_1)
	v_or3_b32 v60, v2, v18, v19
.LBB2_1959:                             ;   in Loop: Header=BB2_1889 Depth=3
	s_or_b32 exec_lo, exec_lo, s44
.LBB2_1960:                             ;   in Loop: Header=BB2_1889 Depth=3
	s_delay_alu instid0(SALU_CYCLE_1)
	s_or_b32 exec_lo, exec_lo, s15
.LBB2_1961:                             ;   in Loop: Header=BB2_1889 Depth=3
	s_delay_alu instid0(SALU_CYCLE_1) | instskip(SKIP_3) | instid1(VALU_DEP_1)
	s_or_b32 exec_lo, exec_lo, s14
	v_lshrrev_b32_e32 v2, 16, v8
	s_mov_b32 s15, 0
	s_mov_b32 s14, exec_lo
	v_and_b32_e32 v62, 0xff, v2
	s_delay_alu instid0(VALU_DEP_1)
	v_cmpx_lt_i16_e32 0x7f, v62
	s_xor_b32 s14, exec_lo, s14
	s_cbranch_execz .LBB2_1966
; %bb.1962:                             ;   in Loop: Header=BB2_1889 Depth=3
	s_mov_b32 s15, -1
	s_mov_b32 s44, exec_lo
	v_cmpx_eq_u16_e32 0x80, v62
; %bb.1963:                             ;   in Loop: Header=BB2_1889 Depth=3
	s_xor_b32 s15, exec_lo, -1
; %bb.1964:                             ;   in Loop: Header=BB2_1889 Depth=3
	s_or_b32 exec_lo, exec_lo, s44
	s_delay_alu instid0(SALU_CYCLE_1)
	s_and_b32 s15, s15, exec_lo
                                        ; implicit-def: $vgpr62
	s_or_saveexec_b32 s14, s14
	v_bfrev_b32_e32 v61, 1
	s_xor_b32 exec_lo, exec_lo, s14
	s_cbranch_execnz .LBB2_1967
.LBB2_1965:                             ;   in Loop: Header=BB2_1889 Depth=3
	s_or_b32 exec_lo, exec_lo, s14
	s_and_saveexec_b32 s14, s15
	s_cbranch_execnz .LBB2_1968
	s_branch .LBB2_1971
.LBB2_1966:                             ;   in Loop: Header=BB2_1889 Depth=3
	s_or_saveexec_b32 s14, s14
	v_bfrev_b32_e32 v61, 1
	s_xor_b32 exec_lo, exec_lo, s14
	s_cbranch_execz .LBB2_1965
.LBB2_1967:                             ;   in Loop: Header=BB2_1889 Depth=3
	v_cmp_ne_u16_e32 vcc_lo, 0, v62
	v_mov_b32_e32 v61, 0
	s_and_not1_b32 s15, s15, exec_lo
	s_and_b32 s44, vcc_lo, exec_lo
	s_delay_alu instid0(SALU_CYCLE_1)
	s_or_b32 s15, s15, s44
	s_or_b32 exec_lo, exec_lo, s14
	s_and_saveexec_b32 s14, s15
	s_cbranch_execz .LBB2_1971
.LBB2_1968:                             ;   in Loop: Header=BB2_1889 Depth=3
	v_and_b32_e32 v62, 0x7f, v2
	v_mov_b32_e32 v61, 0x7f800001
	s_mov_b32 s15, exec_lo
	s_delay_alu instid0(VALU_DEP_2)
	v_cmpx_ne_u32_e32 0x7f, v62
	s_cbranch_execz .LBB2_1970
; %bb.1969:                             ;   in Loop: Header=BB2_1889 Depth=3
	v_and_b32_e32 v18, 7, v2
	v_cmp_gt_u32_e32 vcc_lo, 8, v62
	s_delay_alu instid0(VALU_DEP_2) | instskip(NEXT) | instid1(VALU_DEP_1)
	v_clz_i32_u32_e32 v19, v18
	v_min_u32_e32 v19, 32, v19
	s_delay_alu instid0(VALU_DEP_1) | instskip(SKIP_1) | instid1(VALU_DEP_2)
	v_subrev_nc_u32_e32 v61, 28, v19
	v_sub_nc_u32_e32 v19, 29, v19
	v_lshlrev_b64_e32 v[72:73], v61, v[2:3]
	s_delay_alu instid0(VALU_DEP_1) | instskip(NEXT) | instid1(VALU_DEP_1)
	v_dual_lshrrev_b32 v61, 3, v62 :: v_dual_bitop2_b32 v62, 7, v72 bitop3:0x40
	v_dual_cndmask_b32 v19, v61, v19 :: v_dual_lshlrev_b32 v2, 24, v2
	s_delay_alu instid0(VALU_DEP_2) | instskip(NEXT) | instid1(VALU_DEP_2)
	v_cndmask_b32_e32 v18, v18, v62, vcc_lo
	v_and_b32_e32 v2, 0x80000000, v2
	s_delay_alu instid0(VALU_DEP_3) | instskip(NEXT) | instid1(VALU_DEP_3)
	v_lshl_add_u32 v19, v19, 23, 0x3c000000
	v_lshlrev_b32_e32 v18, 20, v18
	s_delay_alu instid0(VALU_DEP_1)
	v_or3_b32 v61, v18, v2, v19
.LBB2_1970:                             ;   in Loop: Header=BB2_1889 Depth=3
	s_or_b32 exec_lo, exec_lo, s15
.LBB2_1971:                             ;   in Loop: Header=BB2_1889 Depth=3
	s_delay_alu instid0(SALU_CYCLE_1) | instskip(NEXT) | instid1(VALU_DEP_1)
	s_or_b32 exec_lo, exec_lo, s14
	v_add_f32_e32 v60, v60, v61
                                        ; implicit-def: $vgpr104
	s_mov_b32 s14, exec_lo
	s_delay_alu instid0(VALU_DEP_1) | instskip(SKIP_1) | instid1(VALU_DEP_2)
	v_and_b32_e32 v2, 0x7f800000, v60
	v_lshrrev_b32_e32 v61, 24, v60
	v_cmpx_ne_u64_e32 0x7f800000, v[2:3]
	s_xor_b32 s15, exec_lo, s14
	s_cbranch_execz .LBB2_1985
; %bb.1972:                             ;   in Loop: Header=BB2_1889 Depth=3
	v_and_b32_e32 v2, 0x7fffffff, v60
	v_and_b32_e32 v72, 0x80, v61
                                        ; implicit-def: $vgpr104
	s_mov_b32 s14, exec_lo
	s_delay_alu instid0(VALU_DEP_2)
	v_cmpx_gt_u64_e32 0x43e00001, v[2:3]
	s_xor_b32 s44, exec_lo, s14
	s_cbranch_execz .LBB2_1982
; %bb.1973:                             ;   in Loop: Header=BB2_1889 Depth=3
	v_mov_b32_e32 v104, 0
	s_mov_b32 s45, exec_lo
	v_cmpx_ne_u32_e32 0, v60
	s_cbranch_execz .LBB2_1981
; %bb.1974:                             ;   in Loop: Header=BB2_1889 Depth=3
	v_bfe_u32 v73, v60, 23, 8
	s_delay_alu instid0(VALU_DEP_1) | instskip(SKIP_1) | instid1(VALU_DEP_2)
	v_sub_nc_u32_e32 v2, 0x79, v73
	v_cmp_gt_u32_e32 vcc_lo, 0x7a, v73
	v_cndmask_b32_e32 v2, 0, v2, vcc_lo
	v_cmp_eq_u32_e32 vcc_lo, 0, v73
	s_delay_alu instid0(VALU_DEP_2) | instskip(SKIP_1) | instid1(VALU_DEP_2)
	v_cndmask_b32_e64 v104, v2, 0x78, vcc_lo
	v_and_b32_e32 v2, 0x7fffff, v60
	v_add_nc_u32_e32 v18, 20, v104
	s_delay_alu instid0(VALU_DEP_2) | instskip(NEXT) | instid1(VALU_DEP_2)
	v_or_b32_e32 v19, 0x800000, v2
	v_lshlrev_b64_e64 v[60:61], v18, -1
	s_delay_alu instid0(VALU_DEP_2) | instskip(NEXT) | instid1(VALU_DEP_1)
	v_dual_add_nc_u32 v18, 19, v104 :: v_dual_cndmask_b32 v2, v19, v2, vcc_lo
	v_lshlrev_b64_e64 v[62:63], v18, 1
	s_delay_alu instid0(VALU_DEP_3) | instskip(NEXT) | instid1(VALU_DEP_3)
	v_bfi_b32 v107, v61, 0, 0
	v_bfi_b32 v106, v60, 0, v2
	v_lshrrev_b64 v[60:61], v104, v[2:3]
	s_delay_alu instid0(VALU_DEP_2) | instskip(NEXT) | instid1(VALU_DEP_2)
	v_cmp_eq_u64_e64 s14, v[106:107], v[62:63]
	v_mov_b64_e32 v[62:63], v[60:61]
	s_and_saveexec_b32 s76, s14
; %bb.1975:                             ;   in Loop: Header=BB2_1889 Depth=3
	v_bfe_u32 v2, v60, 20, 1
	s_delay_alu instid0(VALU_DEP_1) | instskip(NEXT) | instid1(VALU_DEP_1)
	v_add_nc_u64_e32 v[62:63], v[60:61], v[2:3]
	v_add_nc_u64_e32 v[62:63], -1, v[62:63]
; %bb.1976:                             ;   in Loop: Header=BB2_1889 Depth=3
	s_or_b32 exec_lo, exec_lo, s76
	v_add_nc_u32_e32 v2, 0xffffff81, v73
	v_lshrrev_b32_e32 v18, 23, v60
	s_mov_b32 s14, exec_lo
	s_delay_alu instid0(VALU_DEP_2) | instskip(NEXT) | instid1(VALU_DEP_1)
	v_cndmask_b32_e64 v2, v2, 0xffffff82, vcc_lo
	v_add3_u32 v63, v104, v2, v18
	v_and_b32_e32 v2, 0xfffff, v62
                                        ; implicit-def: $vgpr62
	s_delay_alu instid0(VALU_DEP_1) | instskip(NEXT) | instid1(VALU_DEP_1)
	v_dual_add_nc_u32 v73, 6, v63 :: v_dual_add_nc_u32 v2, v2, v60
                                        ; implicit-def: $vgpr60_vgpr61
	v_cmpx_ne_u32_e32 0, v73
	s_xor_b32 s14, exec_lo, s14
; %bb.1977:                             ;   in Loop: Header=BB2_1889 Depth=3
	s_delay_alu instid0(VALU_DEP_2) | instskip(SKIP_1) | instid1(VALU_DEP_1)
	v_cmp_lt_u64_e32 vcc_lo, 0xffffff, v[2:3]
	v_add_nc_u32_e32 v18, 7, v63
	v_cndmask_b32_e32 v62, v73, v18, vcc_lo
	v_cndmask_b32_e64 v18, 0, 1, vcc_lo
	s_delay_alu instid0(VALU_DEP_1)
	v_lshrrev_b64 v[60:61], v18, v[2:3]
; %bb.1978:                             ;   in Loop: Header=BB2_1889 Depth=3
	s_and_not1_saveexec_b32 s14, s14
; %bb.1979:                             ;   in Loop: Header=BB2_1889 Depth=3
	v_mov_b64_e32 v[60:61], v[2:3]
	v_bfe_u32 v62, v2, 23, 1
; %bb.1980:                             ;   in Loop: Header=BB2_1889 Depth=3
	s_or_b32 exec_lo, exec_lo, s14
	s_delay_alu instid0(VALU_DEP_2) | instskip(NEXT) | instid1(VALU_DEP_2)
	v_lshrrev_b64 v[60:61], 20, v[60:61]
	v_cmp_gt_i32_e32 vcc_lo, 16, v62
	v_min_i32_e32 v2, 15, v62
	v_cmp_eq_u32_e64 s14, 0, v62
	s_delay_alu instid0(VALU_DEP_2) | instskip(SKIP_1) | instid1(VALU_DEP_2)
	v_dual_cndmask_b32 v61, 0, v61 :: v_dual_lshlrev_b32 v2, 3, v2
	v_cndmask_b32_e32 v60, 7, v60, vcc_lo
	v_and_b32_e32 v2, 0xf8, v2
	s_delay_alu instid0(VALU_DEP_2) | instskip(NEXT) | instid1(VALU_DEP_2)
	v_cmp_eq_u64_e32 vcc_lo, 0, v[60:61]
	v_and_or_b32 v2, v60, 7, v2
	s_and_b32 s14, s14, vcc_lo
	s_delay_alu instid0(VALU_DEP_1) | instid1(SALU_CYCLE_1)
	v_cndmask_b32_e64 v2, v2, 0, s14
	s_delay_alu instid0(VALU_DEP_1)
	v_or_b32_e32 v104, v2, v72
.LBB2_1981:                             ;   in Loop: Header=BB2_1889 Depth=3
	s_or_b32 exec_lo, exec_lo, s45
                                        ; implicit-def: $vgpr72
.LBB2_1982:                             ;   in Loop: Header=BB2_1889 Depth=3
	s_and_not1_saveexec_b32 s14, s44
; %bb.1983:                             ;   in Loop: Header=BB2_1889 Depth=3
	v_or_b32_e32 v104, 0x7e, v72
; %bb.1984:                             ;   in Loop: Header=BB2_1889 Depth=3
	s_or_b32 exec_lo, exec_lo, s14
                                        ; implicit-def: $vgpr61
.LBB2_1985:                             ;   in Loop: Header=BB2_1889 Depth=3
	s_and_not1_saveexec_b32 s14, s15
; %bb.1986:                             ;   in Loop: Header=BB2_1889 Depth=3
	v_or_b32_e32 v104, 0x7f, v61
; %bb.1987:                             ;   in Loop: Header=BB2_1889 Depth=3
	s_or_b32 exec_lo, exec_lo, s14
	v_mov_b32_e32 v60, 0
	s_mov_b32 s14, exec_lo
	v_cmpx_lt_u32_e32 0xffffff, v12
	s_cbranch_execz .LBB2_1995
; %bb.1988:                             ;   in Loop: Header=BB2_1889 Depth=3
	v_lshrrev_b32_e32 v61, 24, v12
	v_bfrev_b32_e32 v60, 1
	s_mov_b32 s15, exec_lo
	s_delay_alu instid0(VALU_DEP_2)
	v_cmpx_ne_u32_e32 0x80, v61
	s_cbranch_execz .LBB2_1994
; %bb.1989:                             ;   in Loop: Header=BB2_1889 Depth=3
	v_bfe_u32 v62, v12, 24, 7
	v_mov_b32_e32 v60, 0x7f800001
	s_mov_b32 s44, exec_lo
	s_delay_alu instid0(VALU_DEP_2)
	v_cmpx_ne_u32_e32 0x7f, v62
	s_cbranch_execz .LBB2_1993
; %bb.1990:                             ;   in Loop: Header=BB2_1889 Depth=3
	v_dual_lshrrev_b32 v60, 3, v62 :: v_dual_bitop2_b32 v2, 7, v61 bitop3:0x40
	s_mov_b32 s45, exec_lo
	v_cmpx_gt_u32_e32 8, v62
; %bb.1991:                             ;   in Loop: Header=BB2_1889 Depth=3
	s_delay_alu instid0(VALU_DEP_2) | instskip(NEXT) | instid1(VALU_DEP_1)
	v_clz_i32_u32_e32 v18, v2
	v_min_u32_e32 v18, 32, v18
	s_delay_alu instid0(VALU_DEP_1) | instskip(SKIP_1) | instid1(VALU_DEP_2)
	v_subrev_nc_u32_e32 v19, 28, v18
	v_sub_nc_u32_e32 v60, 29, v18
	v_lshlrev_b64_e32 v[62:63], v19, v[2:3]
	s_delay_alu instid0(VALU_DEP_1)
	v_and_b32_e32 v2, 7, v62
; %bb.1992:                             ;   in Loop: Header=BB2_1889 Depth=3
	s_or_b32 exec_lo, exec_lo, s45
	s_delay_alu instid0(VALU_DEP_1) | instskip(SKIP_1) | instid1(VALU_DEP_2)
	v_dual_lshlrev_b32 v18, 24, v61 :: v_dual_lshlrev_b32 v2, 20, v2
	v_lshl_add_u32 v19, v60, 23, 0x3c000000
	v_and_b32_e32 v18, 0x80000000, v18
	s_delay_alu instid0(VALU_DEP_1)
	v_or3_b32 v60, v2, v18, v19
.LBB2_1993:                             ;   in Loop: Header=BB2_1889 Depth=3
	s_or_b32 exec_lo, exec_lo, s44
.LBB2_1994:                             ;   in Loop: Header=BB2_1889 Depth=3
	s_delay_alu instid0(SALU_CYCLE_1)
	s_or_b32 exec_lo, exec_lo, s15
.LBB2_1995:                             ;   in Loop: Header=BB2_1889 Depth=3
	s_delay_alu instid0(SALU_CYCLE_1) | instskip(SKIP_3) | instid1(VALU_DEP_3)
	s_or_b32 exec_lo, exec_lo, s14
	v_lshrrev_b32_e32 v2, 24, v8
	v_bfe_u32 v61, v8, 24, 7
	v_cmp_gt_u32_e64 s15, 0x1000000, v8
	v_cmp_eq_u32_e32 vcc_lo, 0x80, v2
	s_delay_alu instid0(VALU_DEP_3) | instskip(SKIP_2) | instid1(VALU_DEP_1)
	v_cmp_eq_u32_e64 s14, 0x7f, v61
	v_cndmask_b32_e32 v18, 0x7f800001, v77, vcc_lo
	s_or_b32 s14, vcc_lo, s14
	v_cndmask_b32_e64 v62, v18, 0, s15
	s_nor_b32 s15, s15, s14
	s_delay_alu instid0(SALU_CYCLE_1)
	s_and_saveexec_b32 s14, s15
	s_cbranch_execz .LBB2_1997
; %bb.1996:                             ;   in Loop: Header=BB2_1889 Depth=3
	v_and_b32_e32 v18, 7, v2
	v_cmp_gt_u32_e32 vcc_lo, 8, v61
	s_delay_alu instid0(VALU_DEP_2) | instskip(NEXT) | instid1(VALU_DEP_1)
	v_clz_i32_u32_e32 v19, v18
	v_min_u32_e32 v19, 32, v19
	s_delay_alu instid0(VALU_DEP_1) | instskip(NEXT) | instid1(VALU_DEP_1)
	v_subrev_nc_u32_e32 v62, 28, v19
	v_lshlrev_b64_e32 v[62:63], v62, v[2:3]
	v_dual_lshrrev_b32 v63, 3, v61 :: v_dual_sub_nc_u32 v19, 29, v19
	s_delay_alu instid0(VALU_DEP_2) | instskip(NEXT) | instid1(VALU_DEP_2)
	v_and_b32_e32 v61, 7, v62
	v_dual_cndmask_b32 v19, v63, v19 :: v_dual_lshlrev_b32 v2, 24, v2
	s_delay_alu instid0(VALU_DEP_2) | instskip(NEXT) | instid1(VALU_DEP_2)
	v_cndmask_b32_e32 v18, v18, v61, vcc_lo
	v_and_b32_e32 v2, 0x80000000, v2
	s_delay_alu instid0(VALU_DEP_3) | instskip(NEXT) | instid1(VALU_DEP_3)
	v_lshl_add_u32 v19, v19, 23, 0x3c000000
	v_lshlrev_b32_e32 v18, 20, v18
	s_delay_alu instid0(VALU_DEP_1)
	v_or3_b32 v62, v18, v2, v19
.LBB2_1997:                             ;   in Loop: Header=BB2_1889 Depth=3
	s_or_b32 exec_lo, exec_lo, s14
	s_delay_alu instid0(VALU_DEP_1) | instskip(SKIP_1) | instid1(VALU_DEP_1)
	v_add_f32_e32 v60, v60, v62
                                        ; implicit-def: $vgpr105
	s_mov_b32 s14, exec_lo
	v_and_b32_e32 v2, 0x7f800000, v60
	v_lshrrev_b32_e32 v61, 24, v60
	s_delay_alu instid0(VALU_DEP_2)
	v_cmpx_ne_u64_e32 0x7f800000, v[2:3]
	s_xor_b32 s15, exec_lo, s14
	s_cbranch_execz .LBB2_2011
; %bb.1998:                             ;   in Loop: Header=BB2_1889 Depth=3
	v_and_b32_e32 v2, 0x7fffffff, v60
	v_and_b32_e32 v72, 0x80, v61
                                        ; implicit-def: $vgpr105
	s_mov_b32 s14, exec_lo
	s_delay_alu instid0(VALU_DEP_2)
	v_cmpx_gt_u64_e32 0x43e00001, v[2:3]
	s_xor_b32 s44, exec_lo, s14
	s_cbranch_execz .LBB2_2008
; %bb.1999:                             ;   in Loop: Header=BB2_1889 Depth=3
	v_mov_b32_e32 v105, 0
	s_mov_b32 s45, exec_lo
	v_cmpx_ne_u32_e32 0, v60
	s_cbranch_execz .LBB2_2007
; %bb.2000:                             ;   in Loop: Header=BB2_1889 Depth=3
	v_bfe_u32 v73, v60, 23, 8
	s_delay_alu instid0(VALU_DEP_1) | instskip(SKIP_1) | instid1(VALU_DEP_2)
	v_sub_nc_u32_e32 v2, 0x79, v73
	v_cmp_gt_u32_e32 vcc_lo, 0x7a, v73
	v_cndmask_b32_e32 v2, 0, v2, vcc_lo
	v_cmp_eq_u32_e32 vcc_lo, 0, v73
	s_delay_alu instid0(VALU_DEP_2) | instskip(SKIP_1) | instid1(VALU_DEP_2)
	v_cndmask_b32_e64 v105, v2, 0x78, vcc_lo
	v_and_b32_e32 v2, 0x7fffff, v60
	v_add_nc_u32_e32 v18, 20, v105
	s_delay_alu instid0(VALU_DEP_2) | instskip(NEXT) | instid1(VALU_DEP_2)
	v_or_b32_e32 v19, 0x800000, v2
	v_lshlrev_b64_e64 v[60:61], v18, -1
	s_delay_alu instid0(VALU_DEP_2) | instskip(NEXT) | instid1(VALU_DEP_1)
	v_dual_add_nc_u32 v18, 19, v105 :: v_dual_cndmask_b32 v2, v19, v2, vcc_lo
	v_lshlrev_b64_e64 v[62:63], v18, 1
	s_delay_alu instid0(VALU_DEP_3) | instskip(NEXT) | instid1(VALU_DEP_3)
	v_bfi_b32 v107, v61, 0, 0
	v_bfi_b32 v106, v60, 0, v2
	v_lshrrev_b64 v[60:61], v105, v[2:3]
	s_delay_alu instid0(VALU_DEP_2) | instskip(NEXT) | instid1(VALU_DEP_2)
	v_cmp_eq_u64_e64 s14, v[106:107], v[62:63]
	v_mov_b64_e32 v[62:63], v[60:61]
	s_and_saveexec_b32 s76, s14
; %bb.2001:                             ;   in Loop: Header=BB2_1889 Depth=3
	v_bfe_u32 v2, v60, 20, 1
	s_delay_alu instid0(VALU_DEP_1) | instskip(NEXT) | instid1(VALU_DEP_1)
	v_add_nc_u64_e32 v[62:63], v[60:61], v[2:3]
	v_add_nc_u64_e32 v[62:63], -1, v[62:63]
; %bb.2002:                             ;   in Loop: Header=BB2_1889 Depth=3
	s_or_b32 exec_lo, exec_lo, s76
	v_add_nc_u32_e32 v2, 0xffffff81, v73
	v_lshrrev_b32_e32 v18, 23, v60
	s_mov_b32 s14, exec_lo
	s_delay_alu instid0(VALU_DEP_2) | instskip(NEXT) | instid1(VALU_DEP_1)
	v_cndmask_b32_e64 v2, v2, 0xffffff82, vcc_lo
	v_add3_u32 v63, v105, v2, v18
	v_and_b32_e32 v2, 0xfffff, v62
                                        ; implicit-def: $vgpr62
	s_delay_alu instid0(VALU_DEP_1) | instskip(NEXT) | instid1(VALU_DEP_1)
	v_dual_add_nc_u32 v73, 6, v63 :: v_dual_add_nc_u32 v2, v2, v60
                                        ; implicit-def: $vgpr60_vgpr61
	v_cmpx_ne_u32_e32 0, v73
	s_xor_b32 s14, exec_lo, s14
; %bb.2003:                             ;   in Loop: Header=BB2_1889 Depth=3
	s_delay_alu instid0(VALU_DEP_2) | instskip(SKIP_1) | instid1(VALU_DEP_1)
	v_cmp_lt_u64_e32 vcc_lo, 0xffffff, v[2:3]
	v_add_nc_u32_e32 v18, 7, v63
	v_cndmask_b32_e32 v62, v73, v18, vcc_lo
	v_cndmask_b32_e64 v18, 0, 1, vcc_lo
	s_delay_alu instid0(VALU_DEP_1)
	v_lshrrev_b64 v[60:61], v18, v[2:3]
; %bb.2004:                             ;   in Loop: Header=BB2_1889 Depth=3
	s_and_not1_saveexec_b32 s14, s14
; %bb.2005:                             ;   in Loop: Header=BB2_1889 Depth=3
	v_mov_b64_e32 v[60:61], v[2:3]
	v_bfe_u32 v62, v2, 23, 1
; %bb.2006:                             ;   in Loop: Header=BB2_1889 Depth=3
	s_or_b32 exec_lo, exec_lo, s14
	s_delay_alu instid0(VALU_DEP_2) | instskip(NEXT) | instid1(VALU_DEP_2)
	v_lshrrev_b64 v[60:61], 20, v[60:61]
	v_cmp_gt_i32_e32 vcc_lo, 16, v62
	v_min_i32_e32 v2, 15, v62
	v_cmp_eq_u32_e64 s14, 0, v62
	s_delay_alu instid0(VALU_DEP_2) | instskip(SKIP_1) | instid1(VALU_DEP_2)
	v_dual_cndmask_b32 v61, 0, v61 :: v_dual_lshlrev_b32 v2, 3, v2
	v_cndmask_b32_e32 v60, 7, v60, vcc_lo
	v_and_b32_e32 v2, 0xf8, v2
	s_delay_alu instid0(VALU_DEP_2) | instskip(NEXT) | instid1(VALU_DEP_2)
	v_cmp_eq_u64_e32 vcc_lo, 0, v[60:61]
	v_and_or_b32 v2, v60, 7, v2
	s_and_b32 s14, s14, vcc_lo
	s_delay_alu instid0(VALU_DEP_1) | instid1(SALU_CYCLE_1)
	v_cndmask_b32_e64 v2, v2, 0, s14
	s_delay_alu instid0(VALU_DEP_1)
	v_or_b32_e32 v105, v2, v72
.LBB2_2007:                             ;   in Loop: Header=BB2_1889 Depth=3
	s_or_b32 exec_lo, exec_lo, s45
                                        ; implicit-def: $vgpr72
.LBB2_2008:                             ;   in Loop: Header=BB2_1889 Depth=3
	s_and_not1_saveexec_b32 s14, s44
; %bb.2009:                             ;   in Loop: Header=BB2_1889 Depth=3
	v_or_b32_e32 v105, 0x7e, v72
; %bb.2010:                             ;   in Loop: Header=BB2_1889 Depth=3
	s_or_b32 exec_lo, exec_lo, s14
                                        ; implicit-def: $vgpr61
.LBB2_2011:                             ;   in Loop: Header=BB2_1889 Depth=3
	s_and_not1_saveexec_b32 s14, s15
; %bb.2012:                             ;   in Loop: Header=BB2_1889 Depth=3
	v_or_b32_e32 v105, 0x7f, v61
; %bb.2013:                             ;   in Loop: Header=BB2_1889 Depth=3
	s_or_b32 exec_lo, exec_lo, s14
	v_and_b32_e32 v60, 0xff, v13
	v_dual_mov_b32 v2, v13 :: v_dual_mov_b32 v62, 0
	s_mov_b32 s14, exec_lo
	s_delay_alu instid0(VALU_DEP_2)
	v_cmpx_ne_u16_e32 0, v60
	s_cbranch_execz .LBB2_2019
; %bb.2014:                             ;   in Loop: Header=BB2_1889 Depth=3
	v_bfrev_b32_e32 v62, 1
	s_mov_b32 s15, exec_lo
	v_cmpx_ne_u16_e32 0x80, v60
	s_cbranch_execz .LBB2_2018
; %bb.2015:                             ;   in Loop: Header=BB2_1889 Depth=3
	v_and_b32_e32 v60, 0x7f, v13
	v_mov_b32_e32 v62, 0x7f800001
	s_mov_b32 s44, exec_lo
	s_delay_alu instid0(VALU_DEP_2)
	v_cmpx_ne_u32_e32 0x7f, v60
	s_cbranch_execz .LBB2_2017
; %bb.2016:                             ;   in Loop: Header=BB2_1889 Depth=3
	v_dual_lshrrev_b32 v19, 3, v60 :: v_dual_bitop2_b32 v18, 7, v13 bitop3:0x40
	v_cmp_gt_u32_e32 vcc_lo, 8, v60
	s_delay_alu instid0(VALU_DEP_2) | instskip(NEXT) | instid1(VALU_DEP_1)
	v_clz_i32_u32_e32 v18, v18
	v_min_u32_e32 v18, 32, v18
	s_delay_alu instid0(VALU_DEP_1) | instskip(SKIP_1) | instid1(VALU_DEP_1)
	v_subrev_nc_u32_e32 v61, 28, v18
	v_sub_nc_u32_e32 v18, 29, v18
	v_dual_cndmask_b32 v18, v19, v18 :: v_dual_cndmask_b32 v19, 0, v61
	s_delay_alu instid0(VALU_DEP_1) | instskip(SKIP_1) | instid1(VALU_DEP_1)
	v_lshlrev_b64_e32 v[60:61], v19, v[2:3]
	v_lshlrev_b32_e32 v19, 24, v2
	v_and_b32_e32 v19, 0x80000000, v19
	s_delay_alu instid0(VALU_DEP_3) | instskip(SKIP_1) | instid1(VALU_DEP_2)
	v_lshlrev_b32_e32 v60, 20, v60
	v_lshl_add_u32 v18, v18, 23, 0x3c000000
	v_and_b32_e32 v60, 0x700000, v60
	s_delay_alu instid0(VALU_DEP_1)
	v_or3_b32 v62, v60, v19, v18
.LBB2_2017:                             ;   in Loop: Header=BB2_1889 Depth=3
	s_or_b32 exec_lo, exec_lo, s44
.LBB2_2018:                             ;   in Loop: Header=BB2_1889 Depth=3
	s_delay_alu instid0(SALU_CYCLE_1)
	s_or_b32 exec_lo, exec_lo, s15
.LBB2_2019:                             ;   in Loop: Header=BB2_1889 Depth=3
	s_delay_alu instid0(SALU_CYCLE_1) | instskip(SKIP_4) | instid1(VALU_DEP_2)
	s_or_b32 exec_lo, exec_lo, s14
	v_and_b32_e32 v61, 0xff, v9
	v_mov_b32_e32 v60, v9
	s_mov_b32 s14, 0
	s_mov_b32 s15, exec_lo
	v_cmpx_lt_i16_e32 0x7f, v61
	s_xor_b32 s15, exec_lo, s15
	s_cbranch_execz .LBB2_2054
; %bb.2020:                             ;   in Loop: Header=BB2_1889 Depth=3
	s_mov_b32 s14, -1
	s_mov_b32 s44, exec_lo
	v_cmpx_eq_u16_e32 0x80, v61
; %bb.2021:                             ;   in Loop: Header=BB2_1889 Depth=3
	s_xor_b32 s14, exec_lo, -1
; %bb.2022:                             ;   in Loop: Header=BB2_1889 Depth=3
	s_or_b32 exec_lo, exec_lo, s44
	s_delay_alu instid0(SALU_CYCLE_1)
	s_and_b32 s14, s14, exec_lo
                                        ; implicit-def: $vgpr61
	s_or_saveexec_b32 s15, s15
	v_bfrev_b32_e32 v63, 1
	s_xor_b32 exec_lo, exec_lo, s15
	s_cbranch_execnz .LBB2_2055
.LBB2_2023:                             ;   in Loop: Header=BB2_1889 Depth=3
	s_or_b32 exec_lo, exec_lo, s15
	v_mov_b32_e32 v61, v3
	s_and_saveexec_b32 s15, s14
	s_cbranch_execz .LBB2_2025
.LBB2_2024:                             ;   in Loop: Header=BB2_1889 Depth=3
	v_and_b32_e32 v19, 0x7f, v9
	v_bfe_u32 v63, v9, 3, 4
	s_delay_alu instid0(VALU_DEP_2) | instskip(SKIP_1) | instid1(VALU_DEP_1)
	v_cmp_gt_u32_e32 vcc_lo, 8, v19
	v_and_b32_e32 v18, 7, v9
	v_clz_i32_u32_e32 v18, v18
	s_delay_alu instid0(VALU_DEP_1) | instskip(NEXT) | instid1(VALU_DEP_1)
	v_min_u32_e32 v18, 32, v18
	v_subrev_nc_u32_e32 v72, 28, v18
	v_sub_nc_u32_e32 v18, 29, v18
	s_delay_alu instid0(VALU_DEP_1) | instskip(SKIP_1) | instid1(VALU_DEP_2)
	v_dual_cndmask_b32 v18, v63, v18 :: v_dual_cndmask_b32 v63, 0, v72
	v_cmp_ne_u32_e32 vcc_lo, 0x7f, v19
	v_lshlrev_b64_e32 v[72:73], v63, v[60:61]
	v_lshlrev_b32_e32 v61, 24, v60
	s_delay_alu instid0(VALU_DEP_1) | instskip(NEXT) | instid1(VALU_DEP_3)
	v_and_b32_e32 v61, 0x80000000, v61
	v_lshlrev_b32_e32 v63, 20, v72
	v_lshl_add_u32 v18, v18, 23, 0x3c000000
	s_delay_alu instid0(VALU_DEP_2) | instskip(NEXT) | instid1(VALU_DEP_1)
	v_and_b32_e32 v63, 0x700000, v63
	v_or3_b32 v18, v63, v61, v18
	s_delay_alu instid0(VALU_DEP_1)
	v_cndmask_b32_e32 v63, 0x7f800001, v18, vcc_lo
.LBB2_2025:                             ;   in Loop: Header=BB2_1889 Depth=3
	s_or_b32 exec_lo, exec_lo, s15
	s_delay_alu instid0(VALU_DEP_1) | instskip(NEXT) | instid1(VALU_DEP_1)
	v_dual_add_f32 v62, v62, v63 :: v_dual_mov_b32 v73, v3
	v_and_b32_e32 v72, 0x7f800000, v62
	v_lshrrev_b32_e32 v61, 24, v62
	s_delay_alu instid0(VALU_DEP_2) | instskip(SKIP_1) | instid1(SALU_CYCLE_1)
	v_cmp_ne_u64_e32 vcc_lo, 0x7f800000, v[72:73]
                                        ; implicit-def: $vgpr72
	s_and_saveexec_b32 s14, vcc_lo
	s_xor_b32 s15, exec_lo, s14
	s_cbranch_execz .LBB2_2039
; %bb.2026:                             ;   in Loop: Header=BB2_1889 Depth=3
	v_and_b32_e32 v72, 0x7fffffff, v62
	v_mov_b32_e32 v73, v3
	v_and_b32_e32 v61, 0x80, v61
	s_delay_alu instid0(VALU_DEP_2) | instskip(SKIP_1) | instid1(SALU_CYCLE_1)
	v_cmp_gt_u64_e32 vcc_lo, 0x43e00001, v[72:73]
                                        ; implicit-def: $vgpr72
	s_and_saveexec_b32 s14, vcc_lo
	s_xor_b32 s44, exec_lo, s14
	s_cbranch_execz .LBB2_2036
; %bb.2027:                             ;   in Loop: Header=BB2_1889 Depth=3
	v_mov_b32_e32 v72, 0
	s_mov_b32 s45, exec_lo
	v_cmpx_ne_u32_e32 0, v62
	s_cbranch_execz .LBB2_2035
; %bb.2028:                             ;   in Loop: Header=BB2_1889 Depth=3
	v_bfe_u32 v106, v62, 23, 8
	s_mov_b32 s76, exec_lo
	s_delay_alu instid0(VALU_DEP_1) | instskip(SKIP_1) | instid1(VALU_DEP_2)
	v_dual_mov_b32 v73, v3 :: v_dual_sub_nc_u32 v18, 0x79, v106
	v_cmp_gt_u32_e32 vcc_lo, 0x7a, v106
	v_cndmask_b32_e32 v18, 0, v18, vcc_lo
	v_cmp_eq_u32_e32 vcc_lo, 0, v106
	s_delay_alu instid0(VALU_DEP_2) | instskip(SKIP_1) | instid1(VALU_DEP_2)
	v_cndmask_b32_e64 v107, v18, 0x78, vcc_lo
	v_and_b32_e32 v18, 0x7fffff, v62
	v_add_nc_u32_e32 v19, 20, v107
	s_delay_alu instid0(VALU_DEP_2) | instskip(NEXT) | instid1(VALU_DEP_2)
	v_or_b32_e32 v72, 0x800000, v18
	v_lshlrev_b64_e64 v[62:63], v19, -1
	s_delay_alu instid0(VALU_DEP_2) | instskip(NEXT) | instid1(VALU_DEP_1)
	v_dual_cndmask_b32 v72, v72, v18 :: v_dual_add_nc_u32 v19, 19, v107
	v_lshlrev_b64_e64 v[108:109], v19, 1
	s_delay_alu instid0(VALU_DEP_3) | instskip(NEXT) | instid1(VALU_DEP_3)
	v_bfi_b32 v111, v63, 0, 0
	v_bfi_b32 v110, v62, 0, v72
	v_lshrrev_b64 v[62:63], v107, v[72:73]
	s_delay_alu instid0(VALU_DEP_1) | instskip(NEXT) | instid1(VALU_DEP_3)
	v_mov_b64_e32 v[72:73], v[62:63]
	v_cmpx_eq_u64_e64 v[110:111], v[108:109]
; %bb.2029:                             ;   in Loop: Header=BB2_1889 Depth=3
	v_bfe_u32 v72, v62, 20, 1
	v_mov_b32_e32 v73, v3
	s_delay_alu instid0(VALU_DEP_1) | instskip(NEXT) | instid1(VALU_DEP_1)
	v_add_nc_u64_e32 v[72:73], v[62:63], v[72:73]
	v_add_nc_u64_e32 v[72:73], -1, v[72:73]
; %bb.2030:                             ;   in Loop: Header=BB2_1889 Depth=3
	s_or_b32 exec_lo, exec_lo, s76
	v_dual_mov_b32 v63, v3 :: v_dual_add_nc_u32 v18, 0xffffff81, v106
	v_lshrrev_b32_e32 v19, 23, v62
	s_mov_b32 s14, exec_lo
	s_delay_alu instid0(VALU_DEP_2) | instskip(NEXT) | instid1(VALU_DEP_1)
	v_cndmask_b32_e64 v18, v18, 0xffffff82, vcc_lo
	v_add3_u32 v73, v107, v18, v19
	v_and_b32_e32 v18, 0xfffff, v72
                                        ; implicit-def: $vgpr72
	s_delay_alu instid0(VALU_DEP_1) | instskip(NEXT) | instid1(VALU_DEP_1)
	v_dual_add_nc_u32 v106, 6, v73 :: v_dual_add_nc_u32 v62, v18, v62
	v_cmpx_ne_u32_e32 0, v106
	s_xor_b32 s14, exec_lo, s14
; %bb.2031:                             ;   in Loop: Header=BB2_1889 Depth=3
	s_delay_alu instid0(VALU_DEP_2) | instskip(SKIP_1) | instid1(VALU_DEP_1)
	v_cmp_lt_u64_e32 vcc_lo, 0xffffff, v[62:63]
	v_add_nc_u32_e32 v18, 7, v73
	v_cndmask_b32_e32 v72, v106, v18, vcc_lo
	v_cndmask_b32_e64 v18, 0, 1, vcc_lo
	s_delay_alu instid0(VALU_DEP_1)
	v_lshrrev_b64 v[62:63], v18, v[62:63]
; %bb.2032:                             ;   in Loop: Header=BB2_1889 Depth=3
	s_and_not1_saveexec_b32 s14, s14
; %bb.2033:                             ;   in Loop: Header=BB2_1889 Depth=3
	s_delay_alu instid0(VALU_DEP_1)
	v_bfe_u32 v72, v62, 23, 1
; %bb.2034:                             ;   in Loop: Header=BB2_1889 Depth=3
	s_or_b32 exec_lo, exec_lo, s14
	s_delay_alu instid0(VALU_DEP_2) | instskip(NEXT) | instid1(VALU_DEP_2)
	v_lshrrev_b64 v[62:63], 20, v[62:63]
	v_cmp_gt_i32_e32 vcc_lo, 16, v72
	v_min_i32_e32 v18, 15, v72
	v_cmp_eq_u32_e64 s14, 0, v72
	s_delay_alu instid0(VALU_DEP_2) | instskip(SKIP_1) | instid1(VALU_DEP_2)
	v_dual_cndmask_b32 v63, 0, v63 :: v_dual_lshlrev_b32 v18, 3, v18
	v_cndmask_b32_e32 v62, 7, v62, vcc_lo
	v_and_b32_e32 v18, 0xf8, v18
	s_delay_alu instid0(VALU_DEP_2) | instskip(NEXT) | instid1(VALU_DEP_2)
	v_cmp_eq_u64_e32 vcc_lo, 0, v[62:63]
	v_and_or_b32 v18, v62, 7, v18
	s_and_b32 s14, s14, vcc_lo
	s_delay_alu instid0(VALU_DEP_1) | instid1(SALU_CYCLE_1)
	v_cndmask_b32_e64 v18, v18, 0, s14
	s_delay_alu instid0(VALU_DEP_1)
	v_or_b32_e32 v72, v18, v61
.LBB2_2035:                             ;   in Loop: Header=BB2_1889 Depth=3
	s_or_b32 exec_lo, exec_lo, s45
                                        ; implicit-def: $vgpr61
.LBB2_2036:                             ;   in Loop: Header=BB2_1889 Depth=3
	s_and_not1_saveexec_b32 s14, s44
; %bb.2037:                             ;   in Loop: Header=BB2_1889 Depth=3
	v_or_b32_e32 v72, 0x7e, v61
; %bb.2038:                             ;   in Loop: Header=BB2_1889 Depth=3
	s_or_b32 exec_lo, exec_lo, s14
                                        ; implicit-def: $vgpr61
.LBB2_2039:                             ;   in Loop: Header=BB2_1889 Depth=3
	s_and_not1_saveexec_b32 s14, s15
; %bb.2040:                             ;   in Loop: Header=BB2_1889 Depth=3
	v_or_b32_e32 v72, 0x7f, v61
; %bb.2041:                             ;   in Loop: Header=BB2_1889 Depth=3
	s_or_b32 exec_lo, exec_lo, s14
	v_lshrrev_b16 v62, 8, v2
	v_mov_b32_e32 v61, 0
	s_mov_b32 s14, exec_lo
	s_delay_alu instid0(VALU_DEP_2)
	v_cmpx_ne_u16_e32 0, v62
	s_cbranch_execz .LBB2_2049
; %bb.2042:                             ;   in Loop: Header=BB2_1889 Depth=3
	v_bfrev_b32_e32 v61, 1
	s_mov_b32 s15, exec_lo
	v_cmpx_ne_u16_e32 0x80, v62
	s_cbranch_execz .LBB2_2048
; %bb.2043:                             ;   in Loop: Header=BB2_1889 Depth=3
	v_and_b32_e32 v62, 0xffff, v62
	v_mov_b32_e32 v61, 0x7f800001
	s_mov_b32 s44, exec_lo
	s_delay_alu instid0(VALU_DEP_2) | instskip(NEXT) | instid1(VALU_DEP_1)
	v_and_b32_e32 v73, 0x7f, v62
	v_cmpx_ne_u32_e32 0x7f, v73
	s_cbranch_execz .LBB2_2047
; %bb.2044:                             ;   in Loop: Header=BB2_1889 Depth=3
	v_dual_mov_b32 v63, v3 :: v_dual_bitop2_b32 v62, 7, v62 bitop3:0x40
	v_lshrrev_b32_e32 v61, 3, v73
	s_mov_b32 s45, exec_lo
	v_cmpx_gt_u32_e32 8, v73
; %bb.2045:                             ;   in Loop: Header=BB2_1889 Depth=3
	s_delay_alu instid0(VALU_DEP_3) | instskip(NEXT) | instid1(VALU_DEP_1)
	v_clz_i32_u32_e32 v18, v62
	v_min_u32_e32 v18, 32, v18
	s_delay_alu instid0(VALU_DEP_1) | instskip(SKIP_1) | instid1(VALU_DEP_2)
	v_subrev_nc_u32_e32 v19, 28, v18
	v_sub_nc_u32_e32 v61, 29, v18
	v_lshlrev_b64_e32 v[62:63], v19, v[62:63]
	s_delay_alu instid0(VALU_DEP_1)
	v_and_b32_e32 v62, 7, v62
; %bb.2046:                             ;   in Loop: Header=BB2_1889 Depth=3
	s_or_b32 exec_lo, exec_lo, s45
	v_lshlrev_b32_e32 v2, 16, v2
	s_delay_alu instid0(VALU_DEP_2) | instskip(SKIP_1) | instid1(VALU_DEP_3)
	v_lshlrev_b32_e32 v18, 20, v62
	v_lshl_add_u32 v19, v61, 23, 0x3c000000
	v_and_b32_e32 v2, 0x80000000, v2
	s_delay_alu instid0(VALU_DEP_1)
	v_or3_b32 v61, v18, v2, v19
.LBB2_2047:                             ;   in Loop: Header=BB2_1889 Depth=3
	s_or_b32 exec_lo, exec_lo, s44
.LBB2_2048:                             ;   in Loop: Header=BB2_1889 Depth=3
	s_delay_alu instid0(SALU_CYCLE_1)
	s_or_b32 exec_lo, exec_lo, s15
.LBB2_2049:                             ;   in Loop: Header=BB2_1889 Depth=3
	s_delay_alu instid0(SALU_CYCLE_1) | instskip(SKIP_3) | instid1(VALU_DEP_1)
	s_or_b32 exec_lo, exec_lo, s14
	v_lshrrev_b16 v60, 8, v60
	s_mov_b32 s15, 0
	s_mov_b32 s14, exec_lo
	v_cmpx_lt_i16_e32 0x7f, v60
	s_xor_b32 s14, exec_lo, s14
	s_cbranch_execz .LBB2_2056
; %bb.2050:                             ;   in Loop: Header=BB2_1889 Depth=3
	s_mov_b32 s15, -1
	s_mov_b32 s44, exec_lo
	v_cmpx_eq_u16_e32 0x80, v60
; %bb.2051:                             ;   in Loop: Header=BB2_1889 Depth=3
	s_xor_b32 s15, exec_lo, -1
; %bb.2052:                             ;   in Loop: Header=BB2_1889 Depth=3
	s_or_b32 exec_lo, exec_lo, s44
	s_delay_alu instid0(SALU_CYCLE_1)
	s_and_b32 s15, s15, exec_lo
	s_or_saveexec_b32 s14, s14
	v_bfrev_b32_e32 v62, 1
	s_xor_b32 exec_lo, exec_lo, s14
	s_cbranch_execnz .LBB2_2057
.LBB2_2053:                             ;   in Loop: Header=BB2_1889 Depth=3
	s_or_b32 exec_lo, exec_lo, s14
	s_and_saveexec_b32 s14, s15
	s_cbranch_execnz .LBB2_2058
	s_branch .LBB2_2061
.LBB2_2054:                             ;   in Loop: Header=BB2_1889 Depth=3
	s_or_saveexec_b32 s15, s15
	v_bfrev_b32_e32 v63, 1
	s_xor_b32 exec_lo, exec_lo, s15
	s_cbranch_execz .LBB2_2023
.LBB2_2055:                             ;   in Loop: Header=BB2_1889 Depth=3
	v_cmp_ne_u16_e32 vcc_lo, 0, v61
	v_mov_b32_e32 v63, 0
	s_and_not1_b32 s14, s14, exec_lo
	s_and_b32 s44, vcc_lo, exec_lo
	s_delay_alu instid0(SALU_CYCLE_1)
	s_or_b32 s14, s14, s44
	s_or_b32 exec_lo, exec_lo, s15
	v_mov_b32_e32 v61, v3
	s_and_saveexec_b32 s15, s14
	s_cbranch_execnz .LBB2_2024
	s_branch .LBB2_2025
.LBB2_2056:                             ;   in Loop: Header=BB2_1889 Depth=3
	s_or_saveexec_b32 s14, s14
	v_bfrev_b32_e32 v62, 1
	s_xor_b32 exec_lo, exec_lo, s14
	s_cbranch_execz .LBB2_2053
.LBB2_2057:                             ;   in Loop: Header=BB2_1889 Depth=3
	v_cmp_ne_u16_e32 vcc_lo, 0, v60
	v_mov_b32_e32 v62, 0
	s_and_not1_b32 s15, s15, exec_lo
	s_and_b32 s44, vcc_lo, exec_lo
	s_delay_alu instid0(SALU_CYCLE_1)
	s_or_b32 s15, s15, s44
	s_or_b32 exec_lo, exec_lo, s14
	s_and_saveexec_b32 s14, s15
	s_cbranch_execz .LBB2_2061
.LBB2_2058:                             ;   in Loop: Header=BB2_1889 Depth=3
	v_and_b32_e32 v2, 0xffff, v60
	v_mov_b32_e32 v62, 0x7f800001
	s_mov_b32 s15, exec_lo
	s_delay_alu instid0(VALU_DEP_2) | instskip(NEXT) | instid1(VALU_DEP_1)
	v_and_b32_e32 v63, 0x7f, v2
	v_cmpx_ne_u32_e32 0x7f, v63
	s_cbranch_execz .LBB2_2060
; %bb.2059:                             ;   in Loop: Header=BB2_1889 Depth=3
	v_and_b32_e32 v18, 7, v2
	v_cmp_gt_u32_e32 vcc_lo, 8, v63
	s_delay_alu instid0(VALU_DEP_2) | instskip(NEXT) | instid1(VALU_DEP_1)
	v_clz_i32_u32_e32 v19, v18
	v_min_u32_e32 v19, 32, v19
	s_delay_alu instid0(VALU_DEP_1) | instskip(NEXT) | instid1(VALU_DEP_1)
	v_subrev_nc_u32_e32 v62, 28, v19
	v_lshlrev_b64_e32 v[106:107], v62, v[2:3]
	v_lshrrev_b32_e32 v2, 3, v63
	s_delay_alu instid0(VALU_DEP_2) | instskip(NEXT) | instid1(VALU_DEP_1)
	v_dual_sub_nc_u32 v19, 29, v19 :: v_dual_bitop2_b32 v62, 7, v106 bitop3:0x40
	v_dual_lshlrev_b32 v60, 24, v60 :: v_dual_cndmask_b32 v2, v2, v19, vcc_lo
	s_delay_alu instid0(VALU_DEP_2) | instskip(NEXT) | instid1(VALU_DEP_2)
	v_cndmask_b32_e32 v18, v18, v62, vcc_lo
	v_and_b32_e32 v19, 0x80000000, v60
	s_delay_alu instid0(VALU_DEP_3) | instskip(NEXT) | instid1(VALU_DEP_3)
	v_lshl_add_u32 v2, v2, 23, 0x3c000000
	v_lshlrev_b32_e32 v18, 20, v18
	s_delay_alu instid0(VALU_DEP_1)
	v_or3_b32 v62, v18, v19, v2
.LBB2_2060:                             ;   in Loop: Header=BB2_1889 Depth=3
	s_or_b32 exec_lo, exec_lo, s15
.LBB2_2061:                             ;   in Loop: Header=BB2_1889 Depth=3
	s_delay_alu instid0(SALU_CYCLE_1) | instskip(NEXT) | instid1(VALU_DEP_1)
	s_or_b32 exec_lo, exec_lo, s14
	v_add_f32_e32 v60, v61, v62
                                        ; implicit-def: $vgpr73
	s_mov_b32 s14, exec_lo
	s_delay_alu instid0(VALU_DEP_1) | instskip(SKIP_1) | instid1(VALU_DEP_2)
	v_and_b32_e32 v2, 0x7f800000, v60
	v_lshrrev_b32_e32 v61, 24, v60
	v_cmpx_ne_u64_e32 0x7f800000, v[2:3]
	s_xor_b32 s15, exec_lo, s14
	s_cbranch_execz .LBB2_2075
; %bb.2062:                             ;   in Loop: Header=BB2_1889 Depth=3
	v_and_b32_e32 v2, 0x7fffffff, v60
	v_and_b32_e32 v106, 0x80, v61
                                        ; implicit-def: $vgpr73
	s_mov_b32 s14, exec_lo
	s_delay_alu instid0(VALU_DEP_2)
	v_cmpx_gt_u64_e32 0x43e00001, v[2:3]
	s_xor_b32 s44, exec_lo, s14
	s_cbranch_execz .LBB2_2072
; %bb.2063:                             ;   in Loop: Header=BB2_1889 Depth=3
	v_mov_b32_e32 v73, 0
	s_mov_b32 s45, exec_lo
	v_cmpx_ne_u32_e32 0, v60
	s_cbranch_execz .LBB2_2071
; %bb.2064:                             ;   in Loop: Header=BB2_1889 Depth=3
	v_bfe_u32 v73, v60, 23, 8
	s_delay_alu instid0(VALU_DEP_1) | instskip(SKIP_1) | instid1(VALU_DEP_2)
	v_sub_nc_u32_e32 v2, 0x79, v73
	v_cmp_gt_u32_e32 vcc_lo, 0x7a, v73
	v_cndmask_b32_e32 v2, 0, v2, vcc_lo
	v_cmp_eq_u32_e32 vcc_lo, 0, v73
	s_delay_alu instid0(VALU_DEP_2) | instskip(SKIP_1) | instid1(VALU_DEP_2)
	v_cndmask_b32_e64 v107, v2, 0x78, vcc_lo
	v_and_b32_e32 v2, 0x7fffff, v60
	v_add_nc_u32_e32 v18, 20, v107
	s_delay_alu instid0(VALU_DEP_2) | instskip(NEXT) | instid1(VALU_DEP_2)
	v_or_b32_e32 v19, 0x800000, v2
	v_lshlrev_b64_e64 v[60:61], v18, -1
	s_delay_alu instid0(VALU_DEP_2) | instskip(NEXT) | instid1(VALU_DEP_1)
	v_dual_add_nc_u32 v18, 19, v107 :: v_dual_cndmask_b32 v2, v19, v2, vcc_lo
	v_lshlrev_b64_e64 v[62:63], v18, 1
	s_delay_alu instid0(VALU_DEP_3) | instskip(NEXT) | instid1(VALU_DEP_3)
	v_bfi_b32 v109, v61, 0, 0
	v_bfi_b32 v108, v60, 0, v2
	v_lshrrev_b64 v[60:61], v107, v[2:3]
	s_delay_alu instid0(VALU_DEP_2) | instskip(NEXT) | instid1(VALU_DEP_2)
	v_cmp_eq_u64_e64 s14, v[108:109], v[62:63]
	v_mov_b64_e32 v[62:63], v[60:61]
	s_and_saveexec_b32 s76, s14
; %bb.2065:                             ;   in Loop: Header=BB2_1889 Depth=3
	v_bfe_u32 v2, v60, 20, 1
	s_delay_alu instid0(VALU_DEP_1) | instskip(NEXT) | instid1(VALU_DEP_1)
	v_add_nc_u64_e32 v[62:63], v[60:61], v[2:3]
	v_add_nc_u64_e32 v[62:63], -1, v[62:63]
; %bb.2066:                             ;   in Loop: Header=BB2_1889 Depth=3
	s_or_b32 exec_lo, exec_lo, s76
	v_add_nc_u32_e32 v2, 0xffffff81, v73
	v_lshrrev_b32_e32 v18, 23, v60
	s_mov_b32 s14, exec_lo
	s_delay_alu instid0(VALU_DEP_2) | instskip(NEXT) | instid1(VALU_DEP_1)
	v_cndmask_b32_e64 v2, v2, 0xffffff82, vcc_lo
	v_add3_u32 v63, v107, v2, v18
	v_and_b32_e32 v2, 0xfffff, v62
                                        ; implicit-def: $vgpr62
	s_delay_alu instid0(VALU_DEP_1) | instskip(NEXT) | instid1(VALU_DEP_1)
	v_dual_add_nc_u32 v73, 6, v63 :: v_dual_add_nc_u32 v2, v2, v60
                                        ; implicit-def: $vgpr60_vgpr61
	v_cmpx_ne_u32_e32 0, v73
	s_xor_b32 s14, exec_lo, s14
; %bb.2067:                             ;   in Loop: Header=BB2_1889 Depth=3
	s_delay_alu instid0(VALU_DEP_2) | instskip(SKIP_1) | instid1(VALU_DEP_1)
	v_cmp_lt_u64_e32 vcc_lo, 0xffffff, v[2:3]
	v_add_nc_u32_e32 v18, 7, v63
	v_cndmask_b32_e32 v62, v73, v18, vcc_lo
	v_cndmask_b32_e64 v18, 0, 1, vcc_lo
	s_delay_alu instid0(VALU_DEP_1)
	v_lshrrev_b64 v[60:61], v18, v[2:3]
; %bb.2068:                             ;   in Loop: Header=BB2_1889 Depth=3
	s_and_not1_saveexec_b32 s14, s14
; %bb.2069:                             ;   in Loop: Header=BB2_1889 Depth=3
	v_mov_b64_e32 v[60:61], v[2:3]
	v_bfe_u32 v62, v2, 23, 1
; %bb.2070:                             ;   in Loop: Header=BB2_1889 Depth=3
	s_or_b32 exec_lo, exec_lo, s14
	s_delay_alu instid0(VALU_DEP_2) | instskip(NEXT) | instid1(VALU_DEP_2)
	v_lshrrev_b64 v[60:61], 20, v[60:61]
	v_cmp_gt_i32_e32 vcc_lo, 16, v62
	v_min_i32_e32 v2, 15, v62
	v_cmp_eq_u32_e64 s14, 0, v62
	s_delay_alu instid0(VALU_DEP_2) | instskip(SKIP_1) | instid1(VALU_DEP_2)
	v_dual_cndmask_b32 v61, 0, v61 :: v_dual_lshlrev_b32 v2, 3, v2
	v_cndmask_b32_e32 v60, 7, v60, vcc_lo
	v_and_b32_e32 v2, 0xf8, v2
	s_delay_alu instid0(VALU_DEP_2) | instskip(NEXT) | instid1(VALU_DEP_2)
	v_cmp_eq_u64_e32 vcc_lo, 0, v[60:61]
	v_and_or_b32 v2, v60, 7, v2
	s_and_b32 s14, s14, vcc_lo
	s_delay_alu instid0(VALU_DEP_1) | instid1(SALU_CYCLE_1)
	v_cndmask_b32_e64 v2, v2, 0, s14
	s_delay_alu instid0(VALU_DEP_1)
	v_or_b32_e32 v73, v2, v106
.LBB2_2071:                             ;   in Loop: Header=BB2_1889 Depth=3
	s_or_b32 exec_lo, exec_lo, s45
                                        ; implicit-def: $vgpr106
.LBB2_2072:                             ;   in Loop: Header=BB2_1889 Depth=3
	s_and_not1_saveexec_b32 s14, s44
; %bb.2073:                             ;   in Loop: Header=BB2_1889 Depth=3
	v_or_b32_e32 v73, 0x7e, v106
; %bb.2074:                             ;   in Loop: Header=BB2_1889 Depth=3
	s_or_b32 exec_lo, exec_lo, s14
                                        ; implicit-def: $vgpr61
.LBB2_2075:                             ;   in Loop: Header=BB2_1889 Depth=3
	s_and_not1_saveexec_b32 s14, s15
; %bb.2076:                             ;   in Loop: Header=BB2_1889 Depth=3
	v_or_b32_e32 v73, 0x7f, v61
; %bb.2077:                             ;   in Loop: Header=BB2_1889 Depth=3
	s_or_b32 exec_lo, exec_lo, s14
	v_dual_mov_b32 v60, 0 :: v_dual_lshrrev_b32 v61, 16, v13
	s_mov_b32 s14, exec_lo
	s_delay_alu instid0(VALU_DEP_1) | instskip(NEXT) | instid1(VALU_DEP_1)
	v_and_b32_e32 v2, 0xff, v61
	v_cmpx_ne_u16_e32 0, v2
	s_cbranch_execz .LBB2_2085
; %bb.2078:                             ;   in Loop: Header=BB2_1889 Depth=3
	v_bfrev_b32_e32 v60, 1
	s_mov_b32 s15, exec_lo
	v_cmpx_ne_u16_e32 0x80, v2
	s_cbranch_execz .LBB2_2084
; %bb.2079:                             ;   in Loop: Header=BB2_1889 Depth=3
	v_bfe_u32 v62, v13, 16, 7
	v_mov_b32_e32 v60, 0x7f800001
	s_mov_b32 s44, exec_lo
	s_delay_alu instid0(VALU_DEP_2)
	v_cmpx_ne_u32_e32 0x7f, v62
	s_cbranch_execz .LBB2_2083
; %bb.2080:                             ;   in Loop: Header=BB2_1889 Depth=3
	v_dual_lshrrev_b32 v60, 3, v62 :: v_dual_bitop2_b32 v2, 7, v61 bitop3:0x40
	s_mov_b32 s45, exec_lo
	v_cmpx_gt_u32_e32 8, v62
; %bb.2081:                             ;   in Loop: Header=BB2_1889 Depth=3
	s_delay_alu instid0(VALU_DEP_2) | instskip(NEXT) | instid1(VALU_DEP_1)
	v_clz_i32_u32_e32 v18, v2
	v_min_u32_e32 v18, 32, v18
	s_delay_alu instid0(VALU_DEP_1) | instskip(SKIP_1) | instid1(VALU_DEP_2)
	v_subrev_nc_u32_e32 v19, 28, v18
	v_sub_nc_u32_e32 v60, 29, v18
	v_lshlrev_b64_e32 v[62:63], v19, v[2:3]
	s_delay_alu instid0(VALU_DEP_1)
	v_and_b32_e32 v2, 7, v62
; %bb.2082:                             ;   in Loop: Header=BB2_1889 Depth=3
	s_or_b32 exec_lo, exec_lo, s45
	s_delay_alu instid0(VALU_DEP_1) | instskip(SKIP_1) | instid1(VALU_DEP_2)
	v_dual_lshlrev_b32 v18, 24, v61 :: v_dual_lshlrev_b32 v2, 20, v2
	v_lshl_add_u32 v19, v60, 23, 0x3c000000
	v_and_b32_e32 v18, 0x80000000, v18
	s_delay_alu instid0(VALU_DEP_1)
	v_or3_b32 v60, v2, v18, v19
.LBB2_2083:                             ;   in Loop: Header=BB2_1889 Depth=3
	s_or_b32 exec_lo, exec_lo, s44
.LBB2_2084:                             ;   in Loop: Header=BB2_1889 Depth=3
	s_delay_alu instid0(SALU_CYCLE_1)
	s_or_b32 exec_lo, exec_lo, s15
.LBB2_2085:                             ;   in Loop: Header=BB2_1889 Depth=3
	s_delay_alu instid0(SALU_CYCLE_1) | instskip(SKIP_3) | instid1(VALU_DEP_1)
	s_or_b32 exec_lo, exec_lo, s14
	v_lshrrev_b32_e32 v2, 16, v9
	s_mov_b32 s15, 0
	s_mov_b32 s14, exec_lo
	v_and_b32_e32 v62, 0xff, v2
	s_delay_alu instid0(VALU_DEP_1)
	v_cmpx_lt_i16_e32 0x7f, v62
	s_xor_b32 s14, exec_lo, s14
	s_cbranch_execz .LBB2_2090
; %bb.2086:                             ;   in Loop: Header=BB2_1889 Depth=3
	s_mov_b32 s15, -1
	s_mov_b32 s44, exec_lo
	v_cmpx_eq_u16_e32 0x80, v62
; %bb.2087:                             ;   in Loop: Header=BB2_1889 Depth=3
	s_xor_b32 s15, exec_lo, -1
; %bb.2088:                             ;   in Loop: Header=BB2_1889 Depth=3
	s_or_b32 exec_lo, exec_lo, s44
	s_delay_alu instid0(SALU_CYCLE_1)
	s_and_b32 s15, s15, exec_lo
                                        ; implicit-def: $vgpr62
	s_or_saveexec_b32 s14, s14
	v_bfrev_b32_e32 v61, 1
	s_xor_b32 exec_lo, exec_lo, s14
	s_cbranch_execnz .LBB2_2091
.LBB2_2089:                             ;   in Loop: Header=BB2_1889 Depth=3
	s_or_b32 exec_lo, exec_lo, s14
	s_and_saveexec_b32 s14, s15
	s_cbranch_execnz .LBB2_2092
	s_branch .LBB2_2095
.LBB2_2090:                             ;   in Loop: Header=BB2_1889 Depth=3
	s_or_saveexec_b32 s14, s14
	v_bfrev_b32_e32 v61, 1
	s_xor_b32 exec_lo, exec_lo, s14
	s_cbranch_execz .LBB2_2089
.LBB2_2091:                             ;   in Loop: Header=BB2_1889 Depth=3
	v_cmp_ne_u16_e32 vcc_lo, 0, v62
	v_mov_b32_e32 v61, 0
	s_and_not1_b32 s15, s15, exec_lo
	s_and_b32 s44, vcc_lo, exec_lo
	s_delay_alu instid0(SALU_CYCLE_1)
	s_or_b32 s15, s15, s44
	s_or_b32 exec_lo, exec_lo, s14
	s_and_saveexec_b32 s14, s15
	s_cbranch_execz .LBB2_2095
.LBB2_2092:                             ;   in Loop: Header=BB2_1889 Depth=3
	v_and_b32_e32 v62, 0x7f, v2
	v_mov_b32_e32 v61, 0x7f800001
	s_mov_b32 s15, exec_lo
	s_delay_alu instid0(VALU_DEP_2)
	v_cmpx_ne_u32_e32 0x7f, v62
	s_cbranch_execz .LBB2_2094
; %bb.2093:                             ;   in Loop: Header=BB2_1889 Depth=3
	v_and_b32_e32 v18, 7, v2
	v_cmp_gt_u32_e32 vcc_lo, 8, v62
	s_delay_alu instid0(VALU_DEP_2) | instskip(NEXT) | instid1(VALU_DEP_1)
	v_clz_i32_u32_e32 v19, v18
	v_min_u32_e32 v19, 32, v19
	s_delay_alu instid0(VALU_DEP_1) | instskip(SKIP_1) | instid1(VALU_DEP_2)
	v_subrev_nc_u32_e32 v61, 28, v19
	v_sub_nc_u32_e32 v19, 29, v19
	v_lshlrev_b64_e32 v[106:107], v61, v[2:3]
	v_lshrrev_b32_e32 v61, 3, v62
	v_lshlrev_b32_e32 v2, 24, v2
	s_delay_alu instid0(VALU_DEP_1) | instskip(NEXT) | instid1(VALU_DEP_4)
	v_and_b32_e32 v2, 0x80000000, v2
	v_and_b32_e32 v62, 7, v106
	s_delay_alu instid0(VALU_DEP_1) | instskip(NEXT) | instid1(VALU_DEP_1)
	v_dual_cndmask_b32 v18, v18, v62 :: v_dual_cndmask_b32 v19, v61, v19
	v_lshlrev_b32_e32 v18, 20, v18
	s_delay_alu instid0(VALU_DEP_2) | instskip(NEXT) | instid1(VALU_DEP_1)
	v_lshl_add_u32 v19, v19, 23, 0x3c000000
	v_or3_b32 v61, v18, v2, v19
.LBB2_2094:                             ;   in Loop: Header=BB2_1889 Depth=3
	s_or_b32 exec_lo, exec_lo, s15
.LBB2_2095:                             ;   in Loop: Header=BB2_1889 Depth=3
	s_delay_alu instid0(SALU_CYCLE_1) | instskip(NEXT) | instid1(VALU_DEP_1)
	s_or_b32 exec_lo, exec_lo, s14
	v_add_f32_e32 v60, v60, v61
                                        ; implicit-def: $vgpr62
	s_mov_b32 s14, exec_lo
	s_delay_alu instid0(VALU_DEP_1) | instskip(SKIP_1) | instid1(VALU_DEP_2)
	v_and_b32_e32 v2, 0x7f800000, v60
	v_lshrrev_b32_e32 v61, 24, v60
	v_cmpx_ne_u64_e32 0x7f800000, v[2:3]
	s_xor_b32 s15, exec_lo, s14
	s_cbranch_execz .LBB2_2109
; %bb.2096:                             ;   in Loop: Header=BB2_1889 Depth=3
	v_and_b32_e32 v2, 0x7fffffff, v60
	v_and_b32_e32 v106, 0x80, v61
                                        ; implicit-def: $vgpr62
	s_mov_b32 s14, exec_lo
	s_delay_alu instid0(VALU_DEP_2)
	v_cmpx_gt_u64_e32 0x43e00001, v[2:3]
	s_xor_b32 s44, exec_lo, s14
	s_cbranch_execz .LBB2_2106
; %bb.2097:                             ;   in Loop: Header=BB2_1889 Depth=3
	v_mov_b32_e32 v62, 0
	s_mov_b32 s45, exec_lo
	v_cmpx_ne_u32_e32 0, v60
	s_cbranch_execz .LBB2_2105
; %bb.2098:                             ;   in Loop: Header=BB2_1889 Depth=3
	v_bfe_u32 v107, v60, 23, 8
	s_delay_alu instid0(VALU_DEP_1) | instskip(SKIP_1) | instid1(VALU_DEP_2)
	v_sub_nc_u32_e32 v2, 0x79, v107
	v_cmp_gt_u32_e32 vcc_lo, 0x7a, v107
	v_cndmask_b32_e32 v2, 0, v2, vcc_lo
	v_cmp_eq_u32_e32 vcc_lo, 0, v107
	s_delay_alu instid0(VALU_DEP_2) | instskip(SKIP_1) | instid1(VALU_DEP_2)
	v_cndmask_b32_e64 v108, v2, 0x78, vcc_lo
	v_and_b32_e32 v2, 0x7fffff, v60
	v_add_nc_u32_e32 v18, 20, v108
	s_delay_alu instid0(VALU_DEP_2) | instskip(NEXT) | instid1(VALU_DEP_2)
	v_or_b32_e32 v19, 0x800000, v2
	v_lshlrev_b64_e64 v[60:61], v18, -1
	s_delay_alu instid0(VALU_DEP_2) | instskip(NEXT) | instid1(VALU_DEP_1)
	v_dual_add_nc_u32 v18, 19, v108 :: v_dual_cndmask_b32 v2, v19, v2, vcc_lo
	v_lshlrev_b64_e64 v[62:63], v18, 1
	s_delay_alu instid0(VALU_DEP_3) | instskip(NEXT) | instid1(VALU_DEP_3)
	v_bfi_b32 v111, v61, 0, 0
	v_bfi_b32 v110, v60, 0, v2
	v_lshrrev_b64 v[60:61], v108, v[2:3]
	s_delay_alu instid0(VALU_DEP_2) | instskip(NEXT) | instid1(VALU_DEP_2)
	v_cmp_eq_u64_e64 s14, v[110:111], v[62:63]
	v_mov_b64_e32 v[62:63], v[60:61]
	s_and_saveexec_b32 s76, s14
; %bb.2099:                             ;   in Loop: Header=BB2_1889 Depth=3
	v_bfe_u32 v2, v60, 20, 1
	s_delay_alu instid0(VALU_DEP_1) | instskip(NEXT) | instid1(VALU_DEP_1)
	v_add_nc_u64_e32 v[62:63], v[60:61], v[2:3]
	v_add_nc_u64_e32 v[62:63], -1, v[62:63]
; %bb.2100:                             ;   in Loop: Header=BB2_1889 Depth=3
	s_or_b32 exec_lo, exec_lo, s76
	v_add_nc_u32_e32 v2, 0xffffff81, v107
	v_lshrrev_b32_e32 v18, 23, v60
	s_mov_b32 s14, exec_lo
	s_delay_alu instid0(VALU_DEP_2) | instskip(NEXT) | instid1(VALU_DEP_1)
	v_cndmask_b32_e64 v2, v2, 0xffffff82, vcc_lo
	v_add3_u32 v63, v108, v2, v18
	v_and_b32_e32 v2, 0xfffff, v62
                                        ; implicit-def: $vgpr62
	s_delay_alu instid0(VALU_DEP_1) | instskip(NEXT) | instid1(VALU_DEP_1)
	v_dual_add_nc_u32 v107, 6, v63 :: v_dual_add_nc_u32 v2, v2, v60
                                        ; implicit-def: $vgpr60_vgpr61
	v_cmpx_ne_u32_e32 0, v107
	s_xor_b32 s14, exec_lo, s14
; %bb.2101:                             ;   in Loop: Header=BB2_1889 Depth=3
	s_delay_alu instid0(VALU_DEP_2) | instskip(SKIP_1) | instid1(VALU_DEP_1)
	v_cmp_lt_u64_e32 vcc_lo, 0xffffff, v[2:3]
	v_add_nc_u32_e32 v18, 7, v63
	v_cndmask_b32_e32 v62, v107, v18, vcc_lo
	v_cndmask_b32_e64 v18, 0, 1, vcc_lo
	s_delay_alu instid0(VALU_DEP_1)
	v_lshrrev_b64 v[60:61], v18, v[2:3]
; %bb.2102:                             ;   in Loop: Header=BB2_1889 Depth=3
	s_and_not1_saveexec_b32 s14, s14
; %bb.2103:                             ;   in Loop: Header=BB2_1889 Depth=3
	v_mov_b64_e32 v[60:61], v[2:3]
	v_bfe_u32 v62, v2, 23, 1
; %bb.2104:                             ;   in Loop: Header=BB2_1889 Depth=3
	s_or_b32 exec_lo, exec_lo, s14
	s_delay_alu instid0(VALU_DEP_2) | instskip(NEXT) | instid1(VALU_DEP_2)
	v_lshrrev_b64 v[60:61], 20, v[60:61]
	v_cmp_gt_i32_e32 vcc_lo, 16, v62
	v_min_i32_e32 v2, 15, v62
	v_cmp_eq_u32_e64 s14, 0, v62
	s_delay_alu instid0(VALU_DEP_2) | instskip(SKIP_1) | instid1(VALU_DEP_2)
	v_dual_cndmask_b32 v61, 0, v61 :: v_dual_lshlrev_b32 v2, 3, v2
	v_cndmask_b32_e32 v60, 7, v60, vcc_lo
	v_and_b32_e32 v2, 0xf8, v2
	s_delay_alu instid0(VALU_DEP_2) | instskip(NEXT) | instid1(VALU_DEP_2)
	v_cmp_eq_u64_e32 vcc_lo, 0, v[60:61]
	v_and_or_b32 v2, v60, 7, v2
	s_and_b32 s14, s14, vcc_lo
	s_delay_alu instid0(VALU_DEP_1) | instid1(SALU_CYCLE_1)
	v_cndmask_b32_e64 v2, v2, 0, s14
	s_delay_alu instid0(VALU_DEP_1)
	v_or_b32_e32 v62, v2, v106
.LBB2_2105:                             ;   in Loop: Header=BB2_1889 Depth=3
	s_or_b32 exec_lo, exec_lo, s45
                                        ; implicit-def: $vgpr106
.LBB2_2106:                             ;   in Loop: Header=BB2_1889 Depth=3
	s_and_not1_saveexec_b32 s14, s44
; %bb.2107:                             ;   in Loop: Header=BB2_1889 Depth=3
	v_or_b32_e32 v62, 0x7e, v106
; %bb.2108:                             ;   in Loop: Header=BB2_1889 Depth=3
	s_or_b32 exec_lo, exec_lo, s14
                                        ; implicit-def: $vgpr61
.LBB2_2109:                             ;   in Loop: Header=BB2_1889 Depth=3
	s_and_not1_saveexec_b32 s14, s15
; %bb.2110:                             ;   in Loop: Header=BB2_1889 Depth=3
	v_or_b32_e32 v62, 0x7f, v61
; %bb.2111:                             ;   in Loop: Header=BB2_1889 Depth=3
	s_or_b32 exec_lo, exec_lo, s14
	v_cmp_lt_u64_e32 vcc_lo, s[22:23], v[12:13]
	v_mov_b32_e32 v12, 0
	s_and_saveexec_b32 s14, vcc_lo
	s_cbranch_execz .LBB2_2119
; %bb.2112:                             ;   in Loop: Header=BB2_1889 Depth=3
	v_lshrrev_b32_e32 v60, 24, v13
	v_bfrev_b32_e32 v12, 1
	s_mov_b32 s15, exec_lo
	s_delay_alu instid0(VALU_DEP_2)
	v_cmpx_ne_u32_e32 0x80, v60
	s_cbranch_execz .LBB2_2118
; %bb.2113:                             ;   in Loop: Header=BB2_1889 Depth=3
	v_bfe_u32 v13, v13, 24, 7
	v_mov_b32_e32 v12, 0x7f800001
	s_mov_b32 s44, exec_lo
	s_delay_alu instid0(VALU_DEP_2)
	v_cmpx_ne_u32_e32 0x7f, v13
	s_cbranch_execz .LBB2_2117
; %bb.2114:                             ;   in Loop: Header=BB2_1889 Depth=3
	v_dual_lshrrev_b32 v12, 3, v13 :: v_dual_bitop2_b32 v2, 7, v60 bitop3:0x40
	s_mov_b32 s45, exec_lo
	v_cmpx_gt_u32_e32 8, v13
; %bb.2115:                             ;   in Loop: Header=BB2_1889 Depth=3
	s_delay_alu instid0(VALU_DEP_2) | instskip(NEXT) | instid1(VALU_DEP_1)
	v_clz_i32_u32_e32 v12, v2
	v_min_u32_e32 v12, 32, v12
	s_delay_alu instid0(VALU_DEP_1) | instskip(NEXT) | instid1(VALU_DEP_1)
	v_subrev_nc_u32_e32 v13, 28, v12
	v_lshlrev_b64_e32 v[106:107], v13, v[2:3]
	s_delay_alu instid0(VALU_DEP_1)
	v_dual_sub_nc_u32 v12, 29, v12 :: v_dual_bitop2_b32 v2, 7, v106 bitop3:0x40
; %bb.2116:                             ;   in Loop: Header=BB2_1889 Depth=3
	s_or_b32 exec_lo, exec_lo, s45
	s_delay_alu instid0(VALU_DEP_1) | instskip(NEXT) | instid1(VALU_DEP_2)
	v_dual_lshlrev_b32 v13, 24, v60 :: v_dual_lshlrev_b32 v2, 20, v2
	v_lshl_add_u32 v12, v12, 23, 0x3c000000
	s_delay_alu instid0(VALU_DEP_2) | instskip(NEXT) | instid1(VALU_DEP_1)
	v_and_b32_e32 v13, 0x80000000, v13
	v_or3_b32 v12, v2, v13, v12
.LBB2_2117:                             ;   in Loop: Header=BB2_1889 Depth=3
	s_or_b32 exec_lo, exec_lo, s44
.LBB2_2118:                             ;   in Loop: Header=BB2_1889 Depth=3
	s_delay_alu instid0(SALU_CYCLE_1)
	s_or_b32 exec_lo, exec_lo, s15
.LBB2_2119:                             ;   in Loop: Header=BB2_1889 Depth=3
	s_delay_alu instid0(SALU_CYCLE_1) | instskip(SKIP_3) | instid1(VALU_DEP_3)
	s_or_b32 exec_lo, exec_lo, s14
	v_lshrrev_b32_e32 v2, 24, v9
	v_bfe_u32 v13, v9, 24, 7
	v_cmp_gt_u64_e64 s15, s[24:25], v[8:9]
	v_cmp_eq_u32_e64 s14, 0x80, v2
	s_delay_alu instid0(VALU_DEP_3) | instskip(NEXT) | instid1(VALU_DEP_2)
	v_cmp_eq_u32_e32 vcc_lo, 0x7f, v13
	v_cndmask_b32_e64 v18, 0x7f800001, v77, s14
	s_or_b32 s14, s14, vcc_lo
	s_delay_alu instid0(VALU_DEP_1) | instskip(SKIP_1) | instid1(SALU_CYCLE_1)
	v_cndmask_b32_e64 v8, v18, 0, s15
	s_nor_b32 s15, s15, s14
	s_and_saveexec_b32 s14, s15
	s_cbranch_execz .LBB2_2121
; %bb.2120:                             ;   in Loop: Header=BB2_1889 Depth=3
	v_and_b32_e32 v18, 7, v2
	v_cmp_gt_u32_e32 vcc_lo, 8, v13
	s_delay_alu instid0(VALU_DEP_2) | instskip(NEXT) | instid1(VALU_DEP_1)
	v_clz_i32_u32_e32 v8, v18
	v_min_u32_e32 v19, 32, v8
	s_delay_alu instid0(VALU_DEP_1) | instskip(NEXT) | instid1(VALU_DEP_1)
	v_subrev_nc_u32_e32 v8, 28, v19
	v_lshlrev_b64_e32 v[8:9], v8, v[2:3]
	v_dual_lshrrev_b32 v9, 3, v13 :: v_dual_sub_nc_u32 v19, 29, v19
	s_delay_alu instid0(VALU_DEP_2) | instskip(NEXT) | instid1(VALU_DEP_1)
	v_dual_lshlrev_b32 v2, 24, v2 :: v_dual_bitop2_b32 v8, 7, v8 bitop3:0x40
	v_dual_cndmask_b32 v9, v9, v19 :: v_dual_cndmask_b32 v8, v18, v8
	s_delay_alu instid0(VALU_DEP_2) | instskip(NEXT) | instid1(VALU_DEP_2)
	v_and_b32_e32 v2, 0x80000000, v2
	v_lshl_add_u32 v9, v9, 23, 0x3c000000
	s_delay_alu instid0(VALU_DEP_3) | instskip(NEXT) | instid1(VALU_DEP_1)
	v_lshlrev_b32_e32 v8, 20, v8
	v_or3_b32 v8, v8, v2, v9
.LBB2_2121:                             ;   in Loop: Header=BB2_1889 Depth=3
	s_or_b32 exec_lo, exec_lo, s14
	s_delay_alu instid0(VALU_DEP_1) | instskip(SKIP_1) | instid1(VALU_DEP_1)
	v_add_f32_e32 v8, v12, v8
                                        ; implicit-def: $vgpr63
	s_mov_b32 s14, exec_lo
	v_and_b32_e32 v2, 0x7f800000, v8
	v_lshrrev_b32_e32 v9, 24, v8
	s_delay_alu instid0(VALU_DEP_2)
	v_cmpx_ne_u64_e32 0x7f800000, v[2:3]
	s_xor_b32 s15, exec_lo, s14
	s_cbranch_execz .LBB2_2135
; %bb.2122:                             ;   in Loop: Header=BB2_1889 Depth=3
	v_and_b32_e32 v2, 0x7fffffff, v8
	v_and_b32_e32 v60, 0x80, v9
                                        ; implicit-def: $vgpr63
	s_mov_b32 s14, exec_lo
	s_delay_alu instid0(VALU_DEP_2)
	v_cmpx_gt_u64_e32 0x43e00001, v[2:3]
	s_xor_b32 s44, exec_lo, s14
	s_cbranch_execz .LBB2_2132
; %bb.2123:                             ;   in Loop: Header=BB2_1889 Depth=3
	v_mov_b32_e32 v63, 0
	s_mov_b32 s45, exec_lo
	v_cmpx_ne_u32_e32 0, v8
	s_cbranch_execz .LBB2_2131
; %bb.2124:                             ;   in Loop: Header=BB2_1889 Depth=3
	v_bfe_u32 v61, v8, 23, 8
	s_delay_alu instid0(VALU_DEP_1) | instskip(SKIP_1) | instid1(VALU_DEP_2)
	v_sub_nc_u32_e32 v2, 0x79, v61
	v_cmp_gt_u32_e32 vcc_lo, 0x7a, v61
	v_cndmask_b32_e32 v2, 0, v2, vcc_lo
	v_cmp_eq_u32_e32 vcc_lo, 0, v61
	s_delay_alu instid0(VALU_DEP_2) | instskip(SKIP_1) | instid1(VALU_DEP_2)
	v_cndmask_b32_e64 v63, v2, 0x78, vcc_lo
	v_and_b32_e32 v2, 0x7fffff, v8
	v_add_nc_u32_e32 v8, 20, v63
	s_delay_alu instid0(VALU_DEP_2) | instskip(SKIP_1) | instid1(VALU_DEP_3)
	v_or_b32_e32 v12, 0x800000, v2
	v_add_nc_u32_e32 v13, 19, v63
	v_lshlrev_b64_e64 v[8:9], v8, -1
	s_delay_alu instid0(VALU_DEP_3) | instskip(NEXT) | instid1(VALU_DEP_3)
	v_cndmask_b32_e32 v2, v12, v2, vcc_lo
	v_lshlrev_b64_e64 v[12:13], v13, 1
	s_delay_alu instid0(VALU_DEP_3) | instskip(NEXT) | instid1(VALU_DEP_3)
	v_bfi_b32 v107, v9, 0, 0
	v_bfi_b32 v106, v8, 0, v2
	v_lshrrev_b64 v[8:9], v63, v[2:3]
	s_delay_alu instid0(VALU_DEP_2) | instskip(NEXT) | instid1(VALU_DEP_2)
	v_cmp_eq_u64_e64 s14, v[106:107], v[12:13]
	v_mov_b64_e32 v[12:13], v[8:9]
	s_and_saveexec_b32 s76, s14
; %bb.2125:                             ;   in Loop: Header=BB2_1889 Depth=3
	v_bfe_u32 v2, v8, 20, 1
	s_delay_alu instid0(VALU_DEP_1) | instskip(NEXT) | instid1(VALU_DEP_1)
	v_add_nc_u64_e32 v[12:13], v[8:9], v[2:3]
	v_add_nc_u64_e32 v[12:13], -1, v[12:13]
; %bb.2126:                             ;   in Loop: Header=BB2_1889 Depth=3
	s_or_b32 exec_lo, exec_lo, s76
	v_add_nc_u32_e32 v2, 0xffffff81, v61
	v_lshrrev_b32_e32 v9, 23, v8
	s_mov_b32 s14, exec_lo
	s_delay_alu instid0(VALU_DEP_2) | instskip(NEXT) | instid1(VALU_DEP_1)
	v_cndmask_b32_e64 v2, v2, 0xffffff82, vcc_lo
	v_add3_u32 v13, v63, v2, v9
	v_and_b32_e32 v2, 0xfffff, v12
                                        ; implicit-def: $vgpr12
	s_delay_alu instid0(VALU_DEP_1) | instskip(NEXT) | instid1(VALU_DEP_1)
	v_dual_add_nc_u32 v61, 6, v13 :: v_dual_add_nc_u32 v2, v2, v8
                                        ; implicit-def: $vgpr8_vgpr9
	v_cmpx_ne_u32_e32 0, v61
	s_xor_b32 s14, exec_lo, s14
; %bb.2127:                             ;   in Loop: Header=BB2_1889 Depth=3
	s_delay_alu instid0(VALU_DEP_2) | instskip(SKIP_1) | instid1(VALU_DEP_1)
	v_cmp_lt_u64_e32 vcc_lo, 0xffffff, v[2:3]
	v_add_nc_u32_e32 v8, 7, v13
	v_cndmask_b32_e32 v12, v61, v8, vcc_lo
	v_cndmask_b32_e64 v8, 0, 1, vcc_lo
	s_delay_alu instid0(VALU_DEP_1)
	v_lshrrev_b64 v[8:9], v8, v[2:3]
; %bb.2128:                             ;   in Loop: Header=BB2_1889 Depth=3
	s_and_not1_saveexec_b32 s14, s14
; %bb.2129:                             ;   in Loop: Header=BB2_1889 Depth=3
	v_mov_b64_e32 v[8:9], v[2:3]
	v_bfe_u32 v12, v2, 23, 1
; %bb.2130:                             ;   in Loop: Header=BB2_1889 Depth=3
	s_or_b32 exec_lo, exec_lo, s14
	s_delay_alu instid0(VALU_DEP_2) | instskip(NEXT) | instid1(VALU_DEP_2)
	v_lshrrev_b64 v[8:9], 20, v[8:9]
	v_cmp_gt_i32_e32 vcc_lo, 16, v12
	v_min_i32_e32 v2, 15, v12
	v_cmp_eq_u32_e64 s14, 0, v12
	s_delay_alu instid0(VALU_DEP_2) | instskip(SKIP_1) | instid1(VALU_DEP_2)
	v_dual_cndmask_b32 v9, 0, v9 :: v_dual_lshlrev_b32 v2, 3, v2
	v_cndmask_b32_e32 v8, 7, v8, vcc_lo
	v_and_b32_e32 v2, 0xf8, v2
	s_delay_alu instid0(VALU_DEP_2) | instskip(NEXT) | instid1(VALU_DEP_2)
	v_cmp_eq_u64_e32 vcc_lo, 0, v[8:9]
	v_and_or_b32 v2, v8, 7, v2
	s_and_b32 s14, s14, vcc_lo
	s_delay_alu instid0(VALU_DEP_1) | instid1(SALU_CYCLE_1)
	v_cndmask_b32_e64 v2, v2, 0, s14
	s_delay_alu instid0(VALU_DEP_1)
	v_or_b32_e32 v63, v2, v60
.LBB2_2131:                             ;   in Loop: Header=BB2_1889 Depth=3
	s_or_b32 exec_lo, exec_lo, s45
                                        ; implicit-def: $vgpr60
.LBB2_2132:                             ;   in Loop: Header=BB2_1889 Depth=3
	s_and_not1_saveexec_b32 s14, s44
; %bb.2133:                             ;   in Loop: Header=BB2_1889 Depth=3
	v_or_b32_e32 v63, 0x7e, v60
; %bb.2134:                             ;   in Loop: Header=BB2_1889 Depth=3
	s_or_b32 exec_lo, exec_lo, s14
                                        ; implicit-def: $vgpr9
.LBB2_2135:                             ;   in Loop: Header=BB2_1889 Depth=3
	s_and_not1_saveexec_b32 s14, s15
; %bb.2136:                             ;   in Loop: Header=BB2_1889 Depth=3
	v_or_b32_e32 v63, 0x7f, v9
; %bb.2137:                             ;   in Loop: Header=BB2_1889 Depth=3
	s_or_b32 exec_lo, exec_lo, s14
	v_and_b32_e32 v8, 0xff, v14
	v_mov_b32_e32 v2, 0
	s_mov_b32 s14, exec_lo
	s_delay_alu instid0(VALU_DEP_2)
	v_cmpx_ne_u16_e32 0, v8
	s_cbranch_execz .LBB2_2143
; %bb.2138:                             ;   in Loop: Header=BB2_1889 Depth=3
	v_bfrev_b32_e32 v2, 1
	s_mov_b32 s15, exec_lo
	v_cmpx_ne_u16_e32 0x80, v8
	s_cbranch_execz .LBB2_2142
; %bb.2139:                             ;   in Loop: Header=BB2_1889 Depth=3
	v_and_b32_e32 v8, 0x7f, v14
	v_mov_b32_e32 v2, 0x7f800001
	s_mov_b32 s44, exec_lo
	s_delay_alu instid0(VALU_DEP_2)
	v_cmpx_ne_u32_e32 0x7f, v8
	s_cbranch_execz .LBB2_2141
; %bb.2140:                             ;   in Loop: Header=BB2_1889 Depth=3
	v_dual_lshrrev_b32 v9, 3, v8 :: v_dual_bitop2_b32 v2, 7, v14 bitop3:0x40
	v_cmp_gt_u32_e32 vcc_lo, 8, v8
	s_delay_alu instid0(VALU_DEP_2) | instskip(NEXT) | instid1(VALU_DEP_1)
	v_clz_i32_u32_e32 v2, v2
	v_min_u32_e32 v2, 32, v2
	s_delay_alu instid0(VALU_DEP_1) | instskip(NEXT) | instid1(VALU_DEP_1)
	v_subrev_nc_u32_e32 v12, 28, v2
	v_dual_sub_nc_u32 v2, 29, v2 :: v_dual_cndmask_b32 v8, 0, v12, vcc_lo
	s_delay_alu instid0(VALU_DEP_1) | instskip(NEXT) | instid1(VALU_DEP_2)
	v_cndmask_b32_e32 v2, v9, v2, vcc_lo
	v_lshlrev_b64_e32 v[8:9], v8, v[14:15]
	v_lshlrev_b32_e32 v9, 24, v14
	s_delay_alu instid0(VALU_DEP_1) | instskip(NEXT) | instid1(VALU_DEP_3)
	v_and_b32_e32 v9, 0x80000000, v9
	v_lshlrev_b32_e32 v8, 20, v8
	v_lshl_add_u32 v2, v2, 23, 0x3c000000
	s_delay_alu instid0(VALU_DEP_2) | instskip(NEXT) | instid1(VALU_DEP_1)
	v_and_b32_e32 v8, 0x700000, v8
	v_or3_b32 v2, v8, v9, v2
.LBB2_2141:                             ;   in Loop: Header=BB2_1889 Depth=3
	s_or_b32 exec_lo, exec_lo, s44
.LBB2_2142:                             ;   in Loop: Header=BB2_1889 Depth=3
	s_delay_alu instid0(SALU_CYCLE_1)
	s_or_b32 exec_lo, exec_lo, s15
.LBB2_2143:                             ;   in Loop: Header=BB2_1889 Depth=3
	s_delay_alu instid0(SALU_CYCLE_1) | instskip(SKIP_3) | instid1(VALU_DEP_1)
	s_or_b32 exec_lo, exec_lo, s14
	v_and_b32_e32 v9, 0xff, v10
	s_mov_b32 s14, 0
	s_mov_b32 s15, exec_lo
	v_cmpx_lt_i16_e32 0x7f, v9
	s_xor_b32 s15, exec_lo, s15
	s_cbranch_execz .LBB2_2178
; %bb.2144:                             ;   in Loop: Header=BB2_1889 Depth=3
	s_mov_b32 s14, -1
	s_mov_b32 s44, exec_lo
	v_cmpx_eq_u16_e32 0x80, v9
; %bb.2145:                             ;   in Loop: Header=BB2_1889 Depth=3
	s_xor_b32 s14, exec_lo, -1
; %bb.2146:                             ;   in Loop: Header=BB2_1889 Depth=3
	s_or_b32 exec_lo, exec_lo, s44
	s_delay_alu instid0(SALU_CYCLE_1)
	s_and_b32 s14, s14, exec_lo
                                        ; implicit-def: $vgpr9
	s_or_saveexec_b32 s15, s15
	v_bfrev_b32_e32 v8, 1
	s_xor_b32 exec_lo, exec_lo, s15
	s_cbranch_execnz .LBB2_2179
.LBB2_2147:                             ;   in Loop: Header=BB2_1889 Depth=3
	s_or_b32 exec_lo, exec_lo, s15
	s_and_saveexec_b32 s15, s14
	s_cbranch_execz .LBB2_2149
.LBB2_2148:                             ;   in Loop: Header=BB2_1889 Depth=3
	v_and_b32_e32 v8, 7, v10
	v_and_b32_e32 v12, 0x7f, v10
	v_bfe_u32 v9, v10, 3, 4
	s_delay_alu instid0(VALU_DEP_3) | instskip(NEXT) | instid1(VALU_DEP_3)
	v_clz_i32_u32_e32 v8, v8
	v_cmp_gt_u32_e32 vcc_lo, 8, v12
	s_delay_alu instid0(VALU_DEP_2) | instskip(NEXT) | instid1(VALU_DEP_1)
	v_min_u32_e32 v8, 32, v8
	v_subrev_nc_u32_e32 v13, 28, v8
	v_sub_nc_u32_e32 v8, 29, v8
	s_delay_alu instid0(VALU_DEP_1) | instskip(SKIP_1) | instid1(VALU_DEP_2)
	v_dual_cndmask_b32 v18, v9, v8, vcc_lo :: v_dual_cndmask_b32 v8, 0, v13, vcc_lo
	v_cmp_ne_u32_e32 vcc_lo, 0x7f, v12
	v_lshl_add_u32 v13, v18, 23, 0x3c000000
	s_delay_alu instid0(VALU_DEP_3) | instskip(SKIP_1) | instid1(VALU_DEP_1)
	v_lshlrev_b64_e32 v[8:9], v8, v[10:11]
	v_lshlrev_b32_e32 v9, 24, v10
	v_and_b32_e32 v9, 0x80000000, v9
	s_delay_alu instid0(VALU_DEP_3) | instskip(NEXT) | instid1(VALU_DEP_1)
	v_lshlrev_b32_e32 v8, 20, v8
	v_and_b32_e32 v8, 0x700000, v8
	s_delay_alu instid0(VALU_DEP_1) | instskip(NEXT) | instid1(VALU_DEP_1)
	v_or3_b32 v8, v8, v9, v13
	v_cndmask_b32_e32 v8, 0x7f800001, v8, vcc_lo
.LBB2_2149:                             ;   in Loop: Header=BB2_1889 Depth=3
	s_or_b32 exec_lo, exec_lo, s15
	s_delay_alu instid0(VALU_DEP_1) | instskip(SKIP_1) | instid1(VALU_DEP_1)
	v_add_f32_e32 v8, v2, v8
                                        ; implicit-def: $vgpr106
	s_mov_b32 s14, exec_lo
	v_and_b32_e32 v2, 0x7f800000, v8
	v_lshrrev_b32_e32 v9, 24, v8
	s_delay_alu instid0(VALU_DEP_2)
	v_cmpx_ne_u64_e32 0x7f800000, v[2:3]
	s_xor_b32 s15, exec_lo, s14
	s_cbranch_execz .LBB2_2163
; %bb.2150:                             ;   in Loop: Header=BB2_1889 Depth=3
	v_and_b32_e32 v2, 0x7fffffff, v8
	v_and_b32_e32 v60, 0x80, v9
                                        ; implicit-def: $vgpr106
	s_mov_b32 s14, exec_lo
	s_delay_alu instid0(VALU_DEP_2)
	v_cmpx_gt_u64_e32 0x43e00001, v[2:3]
	s_xor_b32 s44, exec_lo, s14
	s_cbranch_execz .LBB2_2160
; %bb.2151:                             ;   in Loop: Header=BB2_1889 Depth=3
	v_mov_b32_e32 v106, 0
	s_mov_b32 s45, exec_lo
	v_cmpx_ne_u32_e32 0, v8
	s_cbranch_execz .LBB2_2159
; %bb.2152:                             ;   in Loop: Header=BB2_1889 Depth=3
	v_bfe_u32 v61, v8, 23, 8
	s_delay_alu instid0(VALU_DEP_1) | instskip(SKIP_1) | instid1(VALU_DEP_2)
	v_sub_nc_u32_e32 v2, 0x79, v61
	v_cmp_gt_u32_e32 vcc_lo, 0x7a, v61
	v_cndmask_b32_e32 v2, 0, v2, vcc_lo
	v_cmp_eq_u32_e32 vcc_lo, 0, v61
	s_delay_alu instid0(VALU_DEP_2) | instskip(SKIP_1) | instid1(VALU_DEP_2)
	v_cndmask_b32_e64 v106, v2, 0x78, vcc_lo
	v_and_b32_e32 v2, 0x7fffff, v8
	v_dual_add_nc_u32 v8, 20, v106 :: v_dual_add_nc_u32 v13, 19, v106
	s_delay_alu instid0(VALU_DEP_2) | instskip(NEXT) | instid1(VALU_DEP_2)
	v_or_b32_e32 v12, 0x800000, v2
	v_lshlrev_b64_e64 v[8:9], v8, -1
	s_delay_alu instid0(VALU_DEP_2) | instskip(NEXT) | instid1(VALU_DEP_4)
	v_cndmask_b32_e32 v2, v12, v2, vcc_lo
	v_lshlrev_b64_e64 v[12:13], v13, 1
	s_delay_alu instid0(VALU_DEP_3) | instskip(NEXT) | instid1(VALU_DEP_3)
	v_bfi_b32 v109, v9, 0, 0
	v_bfi_b32 v108, v8, 0, v2
	v_lshrrev_b64 v[8:9], v106, v[2:3]
	s_delay_alu instid0(VALU_DEP_2) | instskip(NEXT) | instid1(VALU_DEP_2)
	v_cmp_eq_u64_e64 s14, v[108:109], v[12:13]
	v_mov_b64_e32 v[12:13], v[8:9]
	s_and_saveexec_b32 s76, s14
; %bb.2153:                             ;   in Loop: Header=BB2_1889 Depth=3
	v_bfe_u32 v2, v8, 20, 1
	s_delay_alu instid0(VALU_DEP_1) | instskip(NEXT) | instid1(VALU_DEP_1)
	v_add_nc_u64_e32 v[12:13], v[8:9], v[2:3]
	v_add_nc_u64_e32 v[12:13], -1, v[12:13]
; %bb.2154:                             ;   in Loop: Header=BB2_1889 Depth=3
	s_or_b32 exec_lo, exec_lo, s76
	v_add_nc_u32_e32 v2, 0xffffff81, v61
	v_lshrrev_b32_e32 v9, 23, v8
	s_mov_b32 s14, exec_lo
	s_delay_alu instid0(VALU_DEP_2) | instskip(NEXT) | instid1(VALU_DEP_1)
	v_cndmask_b32_e64 v2, v2, 0xffffff82, vcc_lo
	v_add3_u32 v13, v106, v2, v9
	v_and_b32_e32 v2, 0xfffff, v12
                                        ; implicit-def: $vgpr12
	s_delay_alu instid0(VALU_DEP_1) | instskip(NEXT) | instid1(VALU_DEP_1)
	v_dual_add_nc_u32 v61, 6, v13 :: v_dual_add_nc_u32 v2, v2, v8
                                        ; implicit-def: $vgpr8_vgpr9
	v_cmpx_ne_u32_e32 0, v61
	s_xor_b32 s14, exec_lo, s14
; %bb.2155:                             ;   in Loop: Header=BB2_1889 Depth=3
	s_delay_alu instid0(VALU_DEP_2) | instskip(SKIP_1) | instid1(VALU_DEP_1)
	v_cmp_lt_u64_e32 vcc_lo, 0xffffff, v[2:3]
	v_add_nc_u32_e32 v8, 7, v13
	v_cndmask_b32_e32 v12, v61, v8, vcc_lo
	v_cndmask_b32_e64 v8, 0, 1, vcc_lo
	s_delay_alu instid0(VALU_DEP_1)
	v_lshrrev_b64 v[8:9], v8, v[2:3]
; %bb.2156:                             ;   in Loop: Header=BB2_1889 Depth=3
	s_and_not1_saveexec_b32 s14, s14
; %bb.2157:                             ;   in Loop: Header=BB2_1889 Depth=3
	v_mov_b64_e32 v[8:9], v[2:3]
	v_bfe_u32 v12, v2, 23, 1
; %bb.2158:                             ;   in Loop: Header=BB2_1889 Depth=3
	s_or_b32 exec_lo, exec_lo, s14
	s_delay_alu instid0(VALU_DEP_2) | instskip(NEXT) | instid1(VALU_DEP_2)
	v_lshrrev_b64 v[8:9], 20, v[8:9]
	v_cmp_gt_i32_e32 vcc_lo, 16, v12
	v_min_i32_e32 v2, 15, v12
	v_cmp_eq_u32_e64 s14, 0, v12
	s_delay_alu instid0(VALU_DEP_2) | instskip(SKIP_1) | instid1(VALU_DEP_2)
	v_dual_cndmask_b32 v9, 0, v9 :: v_dual_lshlrev_b32 v2, 3, v2
	v_cndmask_b32_e32 v8, 7, v8, vcc_lo
	v_and_b32_e32 v2, 0xf8, v2
	s_delay_alu instid0(VALU_DEP_2) | instskip(NEXT) | instid1(VALU_DEP_2)
	v_cmp_eq_u64_e32 vcc_lo, 0, v[8:9]
	v_and_or_b32 v2, v8, 7, v2
	s_and_b32 s14, s14, vcc_lo
	s_delay_alu instid0(VALU_DEP_1) | instid1(SALU_CYCLE_1)
	v_cndmask_b32_e64 v2, v2, 0, s14
	s_delay_alu instid0(VALU_DEP_1)
	v_or_b32_e32 v106, v2, v60
.LBB2_2159:                             ;   in Loop: Header=BB2_1889 Depth=3
	s_or_b32 exec_lo, exec_lo, s45
                                        ; implicit-def: $vgpr60
.LBB2_2160:                             ;   in Loop: Header=BB2_1889 Depth=3
	s_and_not1_saveexec_b32 s14, s44
; %bb.2161:                             ;   in Loop: Header=BB2_1889 Depth=3
	v_or_b32_e32 v106, 0x7e, v60
; %bb.2162:                             ;   in Loop: Header=BB2_1889 Depth=3
	s_or_b32 exec_lo, exec_lo, s14
                                        ; implicit-def: $vgpr9
.LBB2_2163:                             ;   in Loop: Header=BB2_1889 Depth=3
	s_and_not1_saveexec_b32 s14, s15
; %bb.2164:                             ;   in Loop: Header=BB2_1889 Depth=3
	v_or_b32_e32 v106, 0x7f, v9
; %bb.2165:                             ;   in Loop: Header=BB2_1889 Depth=3
	s_or_b32 exec_lo, exec_lo, s14
	v_lshrrev_b16 v2, 8, v14
	v_mov_b32_e32 v8, 0
	s_mov_b32 s14, exec_lo
	s_delay_alu instid0(VALU_DEP_2)
	v_cmpx_ne_u16_e32 0, v2
	s_cbranch_execz .LBB2_2173
; %bb.2166:                             ;   in Loop: Header=BB2_1889 Depth=3
	v_bfrev_b32_e32 v8, 1
	s_mov_b32 s15, exec_lo
	v_cmpx_ne_u16_e32 0x80, v2
	s_cbranch_execz .LBB2_2172
; %bb.2167:                             ;   in Loop: Header=BB2_1889 Depth=3
	v_and_b32_e32 v2, 0xffff, v2
	v_mov_b32_e32 v8, 0x7f800001
	s_mov_b32 s44, exec_lo
	s_delay_alu instid0(VALU_DEP_2) | instskip(NEXT) | instid1(VALU_DEP_1)
	v_and_b32_e32 v9, 0x7f, v2
	v_cmpx_ne_u32_e32 0x7f, v9
	s_cbranch_execz .LBB2_2171
; %bb.2168:                             ;   in Loop: Header=BB2_1889 Depth=3
	v_dual_lshrrev_b32 v8, 3, v9 :: v_dual_bitop2_b32 v2, 7, v2 bitop3:0x40
	s_mov_b32 s45, exec_lo
	v_cmpx_gt_u32_e32 8, v9
; %bb.2169:                             ;   in Loop: Header=BB2_1889 Depth=3
	s_delay_alu instid0(VALU_DEP_2) | instskip(NEXT) | instid1(VALU_DEP_1)
	v_clz_i32_u32_e32 v8, v2
	v_min_u32_e32 v8, 32, v8
	s_delay_alu instid0(VALU_DEP_1) | instskip(SKIP_1) | instid1(VALU_DEP_2)
	v_subrev_nc_u32_e32 v9, 28, v8
	v_sub_nc_u32_e32 v8, 29, v8
	v_lshlrev_b64_e32 v[12:13], v9, v[2:3]
	s_delay_alu instid0(VALU_DEP_1)
	v_and_b32_e32 v2, 7, v12
; %bb.2170:                             ;   in Loop: Header=BB2_1889 Depth=3
	s_or_b32 exec_lo, exec_lo, s45
	v_lshlrev_b32_e32 v9, 16, v14
	s_delay_alu instid0(VALU_DEP_2) | instskip(SKIP_1) | instid1(VALU_DEP_3)
	v_lshlrev_b32_e32 v2, 20, v2
	v_lshl_add_u32 v8, v8, 23, 0x3c000000
	v_and_b32_e32 v9, 0x80000000, v9
	s_delay_alu instid0(VALU_DEP_1)
	v_or3_b32 v8, v2, v9, v8
.LBB2_2171:                             ;   in Loop: Header=BB2_1889 Depth=3
	s_or_b32 exec_lo, exec_lo, s44
.LBB2_2172:                             ;   in Loop: Header=BB2_1889 Depth=3
	s_delay_alu instid0(SALU_CYCLE_1)
	s_or_b32 exec_lo, exec_lo, s15
.LBB2_2173:                             ;   in Loop: Header=BB2_1889 Depth=3
	s_delay_alu instid0(SALU_CYCLE_1) | instskip(SKIP_3) | instid1(VALU_DEP_1)
	s_or_b32 exec_lo, exec_lo, s14
	v_lshrrev_b16 v9, 8, v10
	s_mov_b32 s15, 0
	s_mov_b32 s14, exec_lo
	v_cmpx_lt_i16_e32 0x7f, v9
	s_xor_b32 s14, exec_lo, s14
	s_cbranch_execz .LBB2_2180
; %bb.2174:                             ;   in Loop: Header=BB2_1889 Depth=3
	s_mov_b32 s15, -1
	s_mov_b32 s44, exec_lo
	v_cmpx_eq_u16_e32 0x80, v9
; %bb.2175:                             ;   in Loop: Header=BB2_1889 Depth=3
	s_xor_b32 s15, exec_lo, -1
; %bb.2176:                             ;   in Loop: Header=BB2_1889 Depth=3
	s_or_b32 exec_lo, exec_lo, s44
	s_delay_alu instid0(SALU_CYCLE_1)
	s_and_b32 s15, s15, exec_lo
	s_or_saveexec_b32 s14, s14
	v_bfrev_b32_e32 v12, 1
	s_xor_b32 exec_lo, exec_lo, s14
	s_cbranch_execnz .LBB2_2181
.LBB2_2177:                             ;   in Loop: Header=BB2_1889 Depth=3
	s_or_b32 exec_lo, exec_lo, s14
	s_and_saveexec_b32 s14, s15
	s_cbranch_execnz .LBB2_2182
	s_branch .LBB2_2185
.LBB2_2178:                             ;   in Loop: Header=BB2_1889 Depth=3
	s_or_saveexec_b32 s15, s15
	v_bfrev_b32_e32 v8, 1
	s_xor_b32 exec_lo, exec_lo, s15
	s_cbranch_execz .LBB2_2147
.LBB2_2179:                             ;   in Loop: Header=BB2_1889 Depth=3
	v_cmp_ne_u16_e32 vcc_lo, 0, v9
	v_mov_b32_e32 v8, 0
	s_and_not1_b32 s14, s14, exec_lo
	s_and_b32 s44, vcc_lo, exec_lo
	s_delay_alu instid0(SALU_CYCLE_1)
	s_or_b32 s14, s14, s44
	s_or_b32 exec_lo, exec_lo, s15
	s_and_saveexec_b32 s15, s14
	s_cbranch_execnz .LBB2_2148
	s_branch .LBB2_2149
.LBB2_2180:                             ;   in Loop: Header=BB2_1889 Depth=3
	s_or_saveexec_b32 s14, s14
	v_bfrev_b32_e32 v12, 1
	s_xor_b32 exec_lo, exec_lo, s14
	s_cbranch_execz .LBB2_2177
.LBB2_2181:                             ;   in Loop: Header=BB2_1889 Depth=3
	v_cmp_ne_u16_e32 vcc_lo, 0, v9
	v_mov_b32_e32 v12, 0
	s_and_not1_b32 s15, s15, exec_lo
	s_and_b32 s44, vcc_lo, exec_lo
	s_delay_alu instid0(SALU_CYCLE_1)
	s_or_b32 s15, s15, s44
	s_or_b32 exec_lo, exec_lo, s14
	s_and_saveexec_b32 s14, s15
	s_cbranch_execz .LBB2_2185
.LBB2_2182:                             ;   in Loop: Header=BB2_1889 Depth=3
	v_and_b32_e32 v2, 0xffff, v9
	v_mov_b32_e32 v12, 0x7f800001
	s_mov_b32 s15, exec_lo
	s_delay_alu instid0(VALU_DEP_2) | instskip(NEXT) | instid1(VALU_DEP_1)
	v_and_b32_e32 v13, 0x7f, v2
	v_cmpx_ne_u32_e32 0x7f, v13
	s_cbranch_execz .LBB2_2184
; %bb.2183:                             ;   in Loop: Header=BB2_1889 Depth=3
	v_and_b32_e32 v12, 7, v2
	v_cmp_gt_u32_e32 vcc_lo, 8, v13
	s_delay_alu instid0(VALU_DEP_2) | instskip(NEXT) | instid1(VALU_DEP_1)
	v_clz_i32_u32_e32 v18, v12
	v_min_u32_e32 v18, 32, v18
	s_delay_alu instid0(VALU_DEP_1) | instskip(NEXT) | instid1(VALU_DEP_1)
	v_subrev_nc_u32_e32 v19, 28, v18
	v_lshlrev_b64_e32 v[60:61], v19, v[2:3]
	v_dual_lshrrev_b32 v2, 3, v13 :: v_dual_sub_nc_u32 v18, 29, v18
	s_delay_alu instid0(VALU_DEP_2) | instskip(NEXT) | instid1(VALU_DEP_1)
	v_dual_lshlrev_b32 v9, 24, v9 :: v_dual_bitop2_b32 v13, 7, v60 bitop3:0x40
	v_dual_cndmask_b32 v2, v2, v18, vcc_lo :: v_dual_cndmask_b32 v12, v12, v13, vcc_lo
	s_delay_alu instid0(VALU_DEP_2) | instskip(NEXT) | instid1(VALU_DEP_2)
	v_and_b32_e32 v9, 0x80000000, v9
	v_lshl_add_u32 v2, v2, 23, 0x3c000000
	s_delay_alu instid0(VALU_DEP_3) | instskip(NEXT) | instid1(VALU_DEP_1)
	v_lshlrev_b32_e32 v12, 20, v12
	v_or3_b32 v12, v12, v9, v2
.LBB2_2184:                             ;   in Loop: Header=BB2_1889 Depth=3
	s_or_b32 exec_lo, exec_lo, s15
.LBB2_2185:                             ;   in Loop: Header=BB2_1889 Depth=3
	s_delay_alu instid0(SALU_CYCLE_1) | instskip(NEXT) | instid1(VALU_DEP_1)
	s_or_b32 exec_lo, exec_lo, s14
	v_add_f32_e32 v8, v8, v12
                                        ; implicit-def: $vgpr107
	s_mov_b32 s14, exec_lo
	s_delay_alu instid0(VALU_DEP_1) | instskip(SKIP_1) | instid1(VALU_DEP_2)
	v_and_b32_e32 v2, 0x7f800000, v8
	v_lshrrev_b32_e32 v9, 24, v8
	v_cmpx_ne_u64_e32 0x7f800000, v[2:3]
	s_xor_b32 s15, exec_lo, s14
	s_cbranch_execz .LBB2_2199
; %bb.2186:                             ;   in Loop: Header=BB2_1889 Depth=3
	v_and_b32_e32 v2, 0x7fffffff, v8
	v_and_b32_e32 v60, 0x80, v9
                                        ; implicit-def: $vgpr107
	s_mov_b32 s14, exec_lo
	s_delay_alu instid0(VALU_DEP_2)
	v_cmpx_gt_u64_e32 0x43e00001, v[2:3]
	s_xor_b32 s44, exec_lo, s14
	s_cbranch_execz .LBB2_2196
; %bb.2187:                             ;   in Loop: Header=BB2_1889 Depth=3
	v_mov_b32_e32 v107, 0
	s_mov_b32 s45, exec_lo
	v_cmpx_ne_u32_e32 0, v8
	s_cbranch_execz .LBB2_2195
; %bb.2188:                             ;   in Loop: Header=BB2_1889 Depth=3
	v_bfe_u32 v61, v8, 23, 8
	s_delay_alu instid0(VALU_DEP_1) | instskip(SKIP_1) | instid1(VALU_DEP_2)
	v_sub_nc_u32_e32 v2, 0x79, v61
	v_cmp_gt_u32_e32 vcc_lo, 0x7a, v61
	v_cndmask_b32_e32 v2, 0, v2, vcc_lo
	v_cmp_eq_u32_e32 vcc_lo, 0, v61
	s_delay_alu instid0(VALU_DEP_2) | instskip(SKIP_1) | instid1(VALU_DEP_2)
	v_cndmask_b32_e64 v107, v2, 0x78, vcc_lo
	v_and_b32_e32 v2, 0x7fffff, v8
	v_add_nc_u32_e32 v8, 20, v107
	s_delay_alu instid0(VALU_DEP_2) | instskip(SKIP_1) | instid1(VALU_DEP_3)
	v_or_b32_e32 v12, 0x800000, v2
	v_add_nc_u32_e32 v13, 19, v107
	v_lshlrev_b64_e64 v[8:9], v8, -1
	s_delay_alu instid0(VALU_DEP_3) | instskip(NEXT) | instid1(VALU_DEP_3)
	v_cndmask_b32_e32 v2, v12, v2, vcc_lo
	v_lshlrev_b64_e64 v[12:13], v13, 1
	s_delay_alu instid0(VALU_DEP_3) | instskip(NEXT) | instid1(VALU_DEP_3)
	v_bfi_b32 v109, v9, 0, 0
	v_bfi_b32 v108, v8, 0, v2
	v_lshrrev_b64 v[8:9], v107, v[2:3]
	s_delay_alu instid0(VALU_DEP_2) | instskip(NEXT) | instid1(VALU_DEP_2)
	v_cmp_eq_u64_e64 s14, v[108:109], v[12:13]
	v_mov_b64_e32 v[12:13], v[8:9]
	s_and_saveexec_b32 s76, s14
; %bb.2189:                             ;   in Loop: Header=BB2_1889 Depth=3
	v_bfe_u32 v2, v8, 20, 1
	s_delay_alu instid0(VALU_DEP_1) | instskip(NEXT) | instid1(VALU_DEP_1)
	v_add_nc_u64_e32 v[12:13], v[8:9], v[2:3]
	v_add_nc_u64_e32 v[12:13], -1, v[12:13]
; %bb.2190:                             ;   in Loop: Header=BB2_1889 Depth=3
	s_or_b32 exec_lo, exec_lo, s76
	v_add_nc_u32_e32 v2, 0xffffff81, v61
	v_lshrrev_b32_e32 v9, 23, v8
	s_mov_b32 s14, exec_lo
	s_delay_alu instid0(VALU_DEP_2) | instskip(NEXT) | instid1(VALU_DEP_1)
	v_cndmask_b32_e64 v2, v2, 0xffffff82, vcc_lo
	v_add3_u32 v13, v107, v2, v9
	v_and_b32_e32 v2, 0xfffff, v12
                                        ; implicit-def: $vgpr12
	s_delay_alu instid0(VALU_DEP_1) | instskip(NEXT) | instid1(VALU_DEP_1)
	v_dual_add_nc_u32 v61, 6, v13 :: v_dual_add_nc_u32 v2, v2, v8
                                        ; implicit-def: $vgpr8_vgpr9
	v_cmpx_ne_u32_e32 0, v61
	s_xor_b32 s14, exec_lo, s14
; %bb.2191:                             ;   in Loop: Header=BB2_1889 Depth=3
	s_delay_alu instid0(VALU_DEP_2) | instskip(SKIP_1) | instid1(VALU_DEP_1)
	v_cmp_lt_u64_e32 vcc_lo, 0xffffff, v[2:3]
	v_add_nc_u32_e32 v8, 7, v13
	v_cndmask_b32_e32 v12, v61, v8, vcc_lo
	v_cndmask_b32_e64 v8, 0, 1, vcc_lo
	s_delay_alu instid0(VALU_DEP_1)
	v_lshrrev_b64 v[8:9], v8, v[2:3]
; %bb.2192:                             ;   in Loop: Header=BB2_1889 Depth=3
	s_and_not1_saveexec_b32 s14, s14
; %bb.2193:                             ;   in Loop: Header=BB2_1889 Depth=3
	v_mov_b64_e32 v[8:9], v[2:3]
	v_bfe_u32 v12, v2, 23, 1
; %bb.2194:                             ;   in Loop: Header=BB2_1889 Depth=3
	s_or_b32 exec_lo, exec_lo, s14
	s_delay_alu instid0(VALU_DEP_2) | instskip(NEXT) | instid1(VALU_DEP_2)
	v_lshrrev_b64 v[8:9], 20, v[8:9]
	v_cmp_gt_i32_e32 vcc_lo, 16, v12
	v_min_i32_e32 v2, 15, v12
	v_cmp_eq_u32_e64 s14, 0, v12
	s_delay_alu instid0(VALU_DEP_2) | instskip(SKIP_1) | instid1(VALU_DEP_2)
	v_dual_cndmask_b32 v9, 0, v9 :: v_dual_lshlrev_b32 v2, 3, v2
	v_cndmask_b32_e32 v8, 7, v8, vcc_lo
	v_and_b32_e32 v2, 0xf8, v2
	s_delay_alu instid0(VALU_DEP_2) | instskip(NEXT) | instid1(VALU_DEP_2)
	v_cmp_eq_u64_e32 vcc_lo, 0, v[8:9]
	v_and_or_b32 v2, v8, 7, v2
	s_and_b32 s14, s14, vcc_lo
	s_delay_alu instid0(VALU_DEP_1) | instid1(SALU_CYCLE_1)
	v_cndmask_b32_e64 v2, v2, 0, s14
	s_delay_alu instid0(VALU_DEP_1)
	v_or_b32_e32 v107, v2, v60
.LBB2_2195:                             ;   in Loop: Header=BB2_1889 Depth=3
	s_or_b32 exec_lo, exec_lo, s45
                                        ; implicit-def: $vgpr60
.LBB2_2196:                             ;   in Loop: Header=BB2_1889 Depth=3
	s_and_not1_saveexec_b32 s14, s44
; %bb.2197:                             ;   in Loop: Header=BB2_1889 Depth=3
	v_or_b32_e32 v107, 0x7e, v60
; %bb.2198:                             ;   in Loop: Header=BB2_1889 Depth=3
	s_or_b32 exec_lo, exec_lo, s14
                                        ; implicit-def: $vgpr9
.LBB2_2199:                             ;   in Loop: Header=BB2_1889 Depth=3
	s_and_not1_saveexec_b32 s14, s15
; %bb.2200:                             ;   in Loop: Header=BB2_1889 Depth=3
	v_or_b32_e32 v107, 0x7f, v9
; %bb.2201:                             ;   in Loop: Header=BB2_1889 Depth=3
	s_or_b32 exec_lo, exec_lo, s14
	v_dual_mov_b32 v8, 0 :: v_dual_lshrrev_b32 v9, 16, v14
	s_mov_b32 s14, exec_lo
	s_delay_alu instid0(VALU_DEP_1) | instskip(NEXT) | instid1(VALU_DEP_1)
	v_and_b32_e32 v2, 0xff, v9
	v_cmpx_ne_u16_e32 0, v2
	s_cbranch_execz .LBB2_2209
; %bb.2202:                             ;   in Loop: Header=BB2_1889 Depth=3
	v_bfrev_b32_e32 v8, 1
	s_mov_b32 s15, exec_lo
	v_cmpx_ne_u16_e32 0x80, v2
	s_cbranch_execz .LBB2_2208
; %bb.2203:                             ;   in Loop: Header=BB2_1889 Depth=3
	v_bfe_u32 v12, v14, 16, 7
	v_mov_b32_e32 v8, 0x7f800001
	s_mov_b32 s44, exec_lo
	s_delay_alu instid0(VALU_DEP_2)
	v_cmpx_ne_u32_e32 0x7f, v12
	s_cbranch_execz .LBB2_2207
; %bb.2204:                             ;   in Loop: Header=BB2_1889 Depth=3
	v_dual_lshrrev_b32 v8, 3, v12 :: v_dual_bitop2_b32 v2, 7, v9 bitop3:0x40
	s_mov_b32 s45, exec_lo
	v_cmpx_gt_u32_e32 8, v12
; %bb.2205:                             ;   in Loop: Header=BB2_1889 Depth=3
	s_delay_alu instid0(VALU_DEP_2) | instskip(NEXT) | instid1(VALU_DEP_1)
	v_clz_i32_u32_e32 v8, v2
	v_min_u32_e32 v8, 32, v8
	s_delay_alu instid0(VALU_DEP_1) | instskip(SKIP_1) | instid1(VALU_DEP_2)
	v_subrev_nc_u32_e32 v12, 28, v8
	v_sub_nc_u32_e32 v8, 29, v8
	v_lshlrev_b64_e32 v[12:13], v12, v[2:3]
	s_delay_alu instid0(VALU_DEP_1)
	v_and_b32_e32 v2, 7, v12
; %bb.2206:                             ;   in Loop: Header=BB2_1889 Depth=3
	s_or_b32 exec_lo, exec_lo, s45
	s_delay_alu instid0(VALU_DEP_1) | instskip(SKIP_1) | instid1(VALU_DEP_2)
	v_dual_lshlrev_b32 v9, 24, v9 :: v_dual_lshlrev_b32 v2, 20, v2
	v_lshl_add_u32 v8, v8, 23, 0x3c000000
	v_and_b32_e32 v9, 0x80000000, v9
	s_delay_alu instid0(VALU_DEP_1)
	v_or3_b32 v8, v2, v9, v8
.LBB2_2207:                             ;   in Loop: Header=BB2_1889 Depth=3
	s_or_b32 exec_lo, exec_lo, s44
.LBB2_2208:                             ;   in Loop: Header=BB2_1889 Depth=3
	s_delay_alu instid0(SALU_CYCLE_1)
	s_or_b32 exec_lo, exec_lo, s15
.LBB2_2209:                             ;   in Loop: Header=BB2_1889 Depth=3
	s_delay_alu instid0(SALU_CYCLE_1) | instskip(SKIP_3) | instid1(VALU_DEP_1)
	s_or_b32 exec_lo, exec_lo, s14
	v_lshrrev_b32_e32 v2, 16, v10
	s_mov_b32 s15, 0
	s_mov_b32 s14, exec_lo
	v_and_b32_e32 v12, 0xff, v2
	s_delay_alu instid0(VALU_DEP_1)
	v_cmpx_lt_i16_e32 0x7f, v12
	s_xor_b32 s14, exec_lo, s14
	s_cbranch_execz .LBB2_2214
; %bb.2210:                             ;   in Loop: Header=BB2_1889 Depth=3
	s_mov_b32 s15, -1
	s_mov_b32 s44, exec_lo
	v_cmpx_eq_u16_e32 0x80, v12
; %bb.2211:                             ;   in Loop: Header=BB2_1889 Depth=3
	s_xor_b32 s15, exec_lo, -1
; %bb.2212:                             ;   in Loop: Header=BB2_1889 Depth=3
	s_or_b32 exec_lo, exec_lo, s44
	s_delay_alu instid0(SALU_CYCLE_1)
	s_and_b32 s15, s15, exec_lo
                                        ; implicit-def: $vgpr12
	s_or_saveexec_b32 s14, s14
	v_bfrev_b32_e32 v9, 1
	s_xor_b32 exec_lo, exec_lo, s14
	s_cbranch_execnz .LBB2_2215
.LBB2_2213:                             ;   in Loop: Header=BB2_1889 Depth=3
	s_or_b32 exec_lo, exec_lo, s14
	s_and_saveexec_b32 s14, s15
	s_cbranch_execnz .LBB2_2216
	s_branch .LBB2_2219
.LBB2_2214:                             ;   in Loop: Header=BB2_1889 Depth=3
	s_or_saveexec_b32 s14, s14
	v_bfrev_b32_e32 v9, 1
	s_xor_b32 exec_lo, exec_lo, s14
	s_cbranch_execz .LBB2_2213
.LBB2_2215:                             ;   in Loop: Header=BB2_1889 Depth=3
	v_cmp_ne_u16_e32 vcc_lo, 0, v12
	v_mov_b32_e32 v9, 0
	s_and_not1_b32 s15, s15, exec_lo
	s_and_b32 s44, vcc_lo, exec_lo
	s_delay_alu instid0(SALU_CYCLE_1)
	s_or_b32 s15, s15, s44
	s_or_b32 exec_lo, exec_lo, s14
	s_and_saveexec_b32 s14, s15
	s_cbranch_execz .LBB2_2219
.LBB2_2216:                             ;   in Loop: Header=BB2_1889 Depth=3
	v_and_b32_e32 v12, 0x7f, v2
	v_mov_b32_e32 v9, 0x7f800001
	s_mov_b32 s15, exec_lo
	s_delay_alu instid0(VALU_DEP_2)
	v_cmpx_ne_u32_e32 0x7f, v12
	s_cbranch_execz .LBB2_2218
; %bb.2217:                             ;   in Loop: Header=BB2_1889 Depth=3
	v_and_b32_e32 v9, 7, v2
	v_cmp_gt_u32_e32 vcc_lo, 8, v12
	s_delay_alu instid0(VALU_DEP_2) | instskip(NEXT) | instid1(VALU_DEP_1)
	v_clz_i32_u32_e32 v13, v9
	v_min_u32_e32 v13, 32, v13
	s_delay_alu instid0(VALU_DEP_1) | instskip(NEXT) | instid1(VALU_DEP_1)
	v_subrev_nc_u32_e32 v18, 28, v13
	v_lshlrev_b64_e32 v[60:61], v18, v[2:3]
	v_dual_lshrrev_b32 v18, 3, v12 :: v_dual_sub_nc_u32 v13, 29, v13
	s_delay_alu instid0(VALU_DEP_2) | instskip(NEXT) | instid1(VALU_DEP_1)
	v_dual_lshlrev_b32 v2, 24, v2 :: v_dual_bitop2_b32 v12, 7, v60 bitop3:0x40
	v_dual_cndmask_b32 v13, v18, v13, vcc_lo :: v_dual_cndmask_b32 v9, v9, v12, vcc_lo
	s_delay_alu instid0(VALU_DEP_2) | instskip(NEXT) | instid1(VALU_DEP_2)
	v_and_b32_e32 v2, 0x80000000, v2
	v_lshl_add_u32 v12, v13, 23, 0x3c000000
	s_delay_alu instid0(VALU_DEP_3) | instskip(NEXT) | instid1(VALU_DEP_1)
	v_lshlrev_b32_e32 v9, 20, v9
	v_or3_b32 v9, v9, v2, v12
.LBB2_2218:                             ;   in Loop: Header=BB2_1889 Depth=3
	s_or_b32 exec_lo, exec_lo, s15
.LBB2_2219:                             ;   in Loop: Header=BB2_1889 Depth=3
	s_delay_alu instid0(SALU_CYCLE_1) | instskip(NEXT) | instid1(VALU_DEP_1)
	s_or_b32 exec_lo, exec_lo, s14
	v_add_f32_e32 v8, v8, v9
                                        ; implicit-def: $vgpr108
	s_mov_b32 s14, exec_lo
	s_delay_alu instid0(VALU_DEP_1) | instskip(SKIP_1) | instid1(VALU_DEP_2)
	v_and_b32_e32 v2, 0x7f800000, v8
	v_lshrrev_b32_e32 v9, 24, v8
	v_cmpx_ne_u64_e32 0x7f800000, v[2:3]
	s_xor_b32 s15, exec_lo, s14
	s_cbranch_execz .LBB2_2233
; %bb.2220:                             ;   in Loop: Header=BB2_1889 Depth=3
	v_and_b32_e32 v2, 0x7fffffff, v8
	v_and_b32_e32 v60, 0x80, v9
                                        ; implicit-def: $vgpr108
	s_mov_b32 s14, exec_lo
	s_delay_alu instid0(VALU_DEP_2)
	v_cmpx_gt_u64_e32 0x43e00001, v[2:3]
	s_xor_b32 s44, exec_lo, s14
	s_cbranch_execz .LBB2_2230
; %bb.2221:                             ;   in Loop: Header=BB2_1889 Depth=3
	v_mov_b32_e32 v108, 0
	s_mov_b32 s45, exec_lo
	v_cmpx_ne_u32_e32 0, v8
	s_cbranch_execz .LBB2_2229
; %bb.2222:                             ;   in Loop: Header=BB2_1889 Depth=3
	v_bfe_u32 v61, v8, 23, 8
	s_delay_alu instid0(VALU_DEP_1) | instskip(SKIP_1) | instid1(VALU_DEP_2)
	v_sub_nc_u32_e32 v2, 0x79, v61
	v_cmp_gt_u32_e32 vcc_lo, 0x7a, v61
	v_cndmask_b32_e32 v2, 0, v2, vcc_lo
	v_cmp_eq_u32_e32 vcc_lo, 0, v61
	s_delay_alu instid0(VALU_DEP_2) | instskip(SKIP_1) | instid1(VALU_DEP_2)
	v_cndmask_b32_e64 v108, v2, 0x78, vcc_lo
	v_and_b32_e32 v2, 0x7fffff, v8
	v_add_nc_u32_e32 v8, 20, v108
	s_delay_alu instid0(VALU_DEP_2) | instskip(SKIP_1) | instid1(VALU_DEP_3)
	v_or_b32_e32 v12, 0x800000, v2
	v_add_nc_u32_e32 v13, 19, v108
	v_lshlrev_b64_e64 v[8:9], v8, -1
	s_delay_alu instid0(VALU_DEP_3) | instskip(NEXT) | instid1(VALU_DEP_3)
	v_cndmask_b32_e32 v2, v12, v2, vcc_lo
	v_lshlrev_b64_e64 v[12:13], v13, 1
	s_delay_alu instid0(VALU_DEP_3) | instskip(NEXT) | instid1(VALU_DEP_3)
	v_bfi_b32 v111, v9, 0, 0
	v_bfi_b32 v110, v8, 0, v2
	v_lshrrev_b64 v[8:9], v108, v[2:3]
	s_delay_alu instid0(VALU_DEP_2) | instskip(NEXT) | instid1(VALU_DEP_2)
	v_cmp_eq_u64_e64 s14, v[110:111], v[12:13]
	v_mov_b64_e32 v[12:13], v[8:9]
	s_and_saveexec_b32 s76, s14
; %bb.2223:                             ;   in Loop: Header=BB2_1889 Depth=3
	v_bfe_u32 v2, v8, 20, 1
	s_delay_alu instid0(VALU_DEP_1) | instskip(NEXT) | instid1(VALU_DEP_1)
	v_add_nc_u64_e32 v[12:13], v[8:9], v[2:3]
	v_add_nc_u64_e32 v[12:13], -1, v[12:13]
; %bb.2224:                             ;   in Loop: Header=BB2_1889 Depth=3
	s_or_b32 exec_lo, exec_lo, s76
	v_add_nc_u32_e32 v2, 0xffffff81, v61
	v_lshrrev_b32_e32 v9, 23, v8
	s_mov_b32 s14, exec_lo
	s_delay_alu instid0(VALU_DEP_2) | instskip(NEXT) | instid1(VALU_DEP_1)
	v_cndmask_b32_e64 v2, v2, 0xffffff82, vcc_lo
	v_add3_u32 v13, v108, v2, v9
	v_and_b32_e32 v2, 0xfffff, v12
                                        ; implicit-def: $vgpr12
	s_delay_alu instid0(VALU_DEP_1) | instskip(NEXT) | instid1(VALU_DEP_1)
	v_dual_add_nc_u32 v61, 6, v13 :: v_dual_add_nc_u32 v2, v2, v8
                                        ; implicit-def: $vgpr8_vgpr9
	v_cmpx_ne_u32_e32 0, v61
	s_xor_b32 s14, exec_lo, s14
; %bb.2225:                             ;   in Loop: Header=BB2_1889 Depth=3
	s_delay_alu instid0(VALU_DEP_2) | instskip(SKIP_1) | instid1(VALU_DEP_1)
	v_cmp_lt_u64_e32 vcc_lo, 0xffffff, v[2:3]
	v_add_nc_u32_e32 v8, 7, v13
	v_cndmask_b32_e32 v12, v61, v8, vcc_lo
	v_cndmask_b32_e64 v8, 0, 1, vcc_lo
	s_delay_alu instid0(VALU_DEP_1)
	v_lshrrev_b64 v[8:9], v8, v[2:3]
; %bb.2226:                             ;   in Loop: Header=BB2_1889 Depth=3
	s_and_not1_saveexec_b32 s14, s14
; %bb.2227:                             ;   in Loop: Header=BB2_1889 Depth=3
	v_mov_b64_e32 v[8:9], v[2:3]
	v_bfe_u32 v12, v2, 23, 1
; %bb.2228:                             ;   in Loop: Header=BB2_1889 Depth=3
	s_or_b32 exec_lo, exec_lo, s14
	s_delay_alu instid0(VALU_DEP_2) | instskip(NEXT) | instid1(VALU_DEP_2)
	v_lshrrev_b64 v[8:9], 20, v[8:9]
	v_cmp_gt_i32_e32 vcc_lo, 16, v12
	v_min_i32_e32 v2, 15, v12
	v_cmp_eq_u32_e64 s14, 0, v12
	s_delay_alu instid0(VALU_DEP_2) | instskip(SKIP_1) | instid1(VALU_DEP_2)
	v_dual_cndmask_b32 v9, 0, v9 :: v_dual_lshlrev_b32 v2, 3, v2
	v_cndmask_b32_e32 v8, 7, v8, vcc_lo
	v_and_b32_e32 v2, 0xf8, v2
	s_delay_alu instid0(VALU_DEP_2) | instskip(NEXT) | instid1(VALU_DEP_2)
	v_cmp_eq_u64_e32 vcc_lo, 0, v[8:9]
	v_and_or_b32 v2, v8, 7, v2
	s_and_b32 s14, s14, vcc_lo
	s_delay_alu instid0(VALU_DEP_1) | instid1(SALU_CYCLE_1)
	v_cndmask_b32_e64 v2, v2, 0, s14
	s_delay_alu instid0(VALU_DEP_1)
	v_or_b32_e32 v108, v2, v60
.LBB2_2229:                             ;   in Loop: Header=BB2_1889 Depth=3
	s_or_b32 exec_lo, exec_lo, s45
                                        ; implicit-def: $vgpr60
.LBB2_2230:                             ;   in Loop: Header=BB2_1889 Depth=3
	s_and_not1_saveexec_b32 s14, s44
; %bb.2231:                             ;   in Loop: Header=BB2_1889 Depth=3
	v_or_b32_e32 v108, 0x7e, v60
; %bb.2232:                             ;   in Loop: Header=BB2_1889 Depth=3
	s_or_b32 exec_lo, exec_lo, s14
                                        ; implicit-def: $vgpr9
.LBB2_2233:                             ;   in Loop: Header=BB2_1889 Depth=3
	s_and_not1_saveexec_b32 s14, s15
; %bb.2234:                             ;   in Loop: Header=BB2_1889 Depth=3
	v_or_b32_e32 v108, 0x7f, v9
; %bb.2235:                             ;   in Loop: Header=BB2_1889 Depth=3
	s_or_b32 exec_lo, exec_lo, s14
	v_mov_b32_e32 v8, 0
	s_mov_b32 s14, exec_lo
	v_cmpx_lt_u32_e32 0xffffff, v14
	s_cbranch_execz .LBB2_2243
; %bb.2236:                             ;   in Loop: Header=BB2_1889 Depth=3
	v_lshrrev_b32_e32 v9, 24, v14
	v_bfrev_b32_e32 v8, 1
	s_mov_b32 s15, exec_lo
	s_delay_alu instid0(VALU_DEP_2)
	v_cmpx_ne_u32_e32 0x80, v9
	s_cbranch_execz .LBB2_2242
; %bb.2237:                             ;   in Loop: Header=BB2_1889 Depth=3
	v_bfe_u32 v12, v14, 24, 7
	v_mov_b32_e32 v8, 0x7f800001
	s_mov_b32 s44, exec_lo
	s_delay_alu instid0(VALU_DEP_2)
	v_cmpx_ne_u32_e32 0x7f, v12
	s_cbranch_execz .LBB2_2241
; %bb.2238:                             ;   in Loop: Header=BB2_1889 Depth=3
	v_dual_lshrrev_b32 v8, 3, v12 :: v_dual_bitop2_b32 v2, 7, v9 bitop3:0x40
	s_mov_b32 s45, exec_lo
	v_cmpx_gt_u32_e32 8, v12
; %bb.2239:                             ;   in Loop: Header=BB2_1889 Depth=3
	s_delay_alu instid0(VALU_DEP_2) | instskip(NEXT) | instid1(VALU_DEP_1)
	v_clz_i32_u32_e32 v8, v2
	v_min_u32_e32 v8, 32, v8
	s_delay_alu instid0(VALU_DEP_1) | instskip(SKIP_1) | instid1(VALU_DEP_2)
	v_subrev_nc_u32_e32 v12, 28, v8
	v_sub_nc_u32_e32 v8, 29, v8
	v_lshlrev_b64_e32 v[12:13], v12, v[2:3]
	s_delay_alu instid0(VALU_DEP_1)
	v_and_b32_e32 v2, 7, v12
; %bb.2240:                             ;   in Loop: Header=BB2_1889 Depth=3
	s_or_b32 exec_lo, exec_lo, s45
	s_delay_alu instid0(VALU_DEP_1) | instskip(SKIP_1) | instid1(VALU_DEP_2)
	v_dual_lshlrev_b32 v9, 24, v9 :: v_dual_lshlrev_b32 v2, 20, v2
	v_lshl_add_u32 v8, v8, 23, 0x3c000000
	v_and_b32_e32 v9, 0x80000000, v9
	s_delay_alu instid0(VALU_DEP_1)
	v_or3_b32 v8, v2, v9, v8
.LBB2_2241:                             ;   in Loop: Header=BB2_1889 Depth=3
	s_or_b32 exec_lo, exec_lo, s44
.LBB2_2242:                             ;   in Loop: Header=BB2_1889 Depth=3
	s_delay_alu instid0(SALU_CYCLE_1)
	s_or_b32 exec_lo, exec_lo, s15
.LBB2_2243:                             ;   in Loop: Header=BB2_1889 Depth=3
	s_delay_alu instid0(SALU_CYCLE_1) | instskip(SKIP_3) | instid1(VALU_DEP_3)
	s_or_b32 exec_lo, exec_lo, s14
	v_lshrrev_b32_e32 v2, 24, v10
	v_bfe_u32 v9, v10, 24, 7
	v_cmp_gt_u32_e64 s15, 0x1000000, v10
	v_cmp_eq_u32_e32 vcc_lo, 0x80, v2
	s_delay_alu instid0(VALU_DEP_3) | instskip(SKIP_2) | instid1(VALU_DEP_1)
	v_cmp_eq_u32_e64 s14, 0x7f, v9
	v_cndmask_b32_e32 v12, 0x7f800001, v77, vcc_lo
	s_or_b32 s14, vcc_lo, s14
	v_cndmask_b32_e64 v12, v12, 0, s15
	s_nor_b32 s15, s15, s14
	s_delay_alu instid0(SALU_CYCLE_1)
	s_and_saveexec_b32 s14, s15
	s_cbranch_execz .LBB2_2245
; %bb.2244:                             ;   in Loop: Header=BB2_1889 Depth=3
	v_and_b32_e32 v18, 7, v2
	v_cmp_gt_u32_e32 vcc_lo, 8, v9
	s_delay_alu instid0(VALU_DEP_2) | instskip(NEXT) | instid1(VALU_DEP_1)
	v_clz_i32_u32_e32 v12, v18
	v_min_u32_e32 v19, 32, v12
	s_delay_alu instid0(VALU_DEP_1) | instskip(NEXT) | instid1(VALU_DEP_1)
	v_subrev_nc_u32_e32 v12, 28, v19
	v_lshlrev_b64_e32 v[12:13], v12, v[2:3]
	v_dual_lshrrev_b32 v13, 3, v9 :: v_dual_sub_nc_u32 v19, 29, v19
	s_delay_alu instid0(VALU_DEP_2) | instskip(NEXT) | instid1(VALU_DEP_2)
	v_dual_lshlrev_b32 v2, 24, v2 :: v_dual_bitop2_b32 v9, 7, v12 bitop3:0x40
	v_cndmask_b32_e32 v12, v13, v19, vcc_lo
	s_delay_alu instid0(VALU_DEP_2) | instskip(NEXT) | instid1(VALU_DEP_3)
	v_and_b32_e32 v2, 0x80000000, v2
	v_cndmask_b32_e32 v9, v18, v9, vcc_lo
	s_delay_alu instid0(VALU_DEP_3) | instskip(NEXT) | instid1(VALU_DEP_2)
	v_lshl_add_u32 v12, v12, 23, 0x3c000000
	v_lshlrev_b32_e32 v9, 20, v9
	s_delay_alu instid0(VALU_DEP_1)
	v_or3_b32 v12, v9, v2, v12
.LBB2_2245:                             ;   in Loop: Header=BB2_1889 Depth=3
	s_or_b32 exec_lo, exec_lo, s14
	s_delay_alu instid0(VALU_DEP_1) | instskip(SKIP_1) | instid1(VALU_DEP_1)
	v_add_f32_e32 v8, v8, v12
                                        ; implicit-def: $vgpr109
	s_mov_b32 s14, exec_lo
	v_and_b32_e32 v2, 0x7f800000, v8
	v_lshrrev_b32_e32 v9, 24, v8
	s_delay_alu instid0(VALU_DEP_2)
	v_cmpx_ne_u64_e32 0x7f800000, v[2:3]
	s_xor_b32 s15, exec_lo, s14
	s_cbranch_execz .LBB2_2259
; %bb.2246:                             ;   in Loop: Header=BB2_1889 Depth=3
	v_and_b32_e32 v2, 0x7fffffff, v8
	v_and_b32_e32 v60, 0x80, v9
                                        ; implicit-def: $vgpr109
	s_mov_b32 s14, exec_lo
	s_delay_alu instid0(VALU_DEP_2)
	v_cmpx_gt_u64_e32 0x43e00001, v[2:3]
	s_xor_b32 s44, exec_lo, s14
	s_cbranch_execz .LBB2_2256
; %bb.2247:                             ;   in Loop: Header=BB2_1889 Depth=3
	v_mov_b32_e32 v109, 0
	s_mov_b32 s45, exec_lo
	v_cmpx_ne_u32_e32 0, v8
	s_cbranch_execz .LBB2_2255
; %bb.2248:                             ;   in Loop: Header=BB2_1889 Depth=3
	v_bfe_u32 v61, v8, 23, 8
	s_delay_alu instid0(VALU_DEP_1) | instskip(SKIP_1) | instid1(VALU_DEP_2)
	v_sub_nc_u32_e32 v2, 0x79, v61
	v_cmp_gt_u32_e32 vcc_lo, 0x7a, v61
	v_cndmask_b32_e32 v2, 0, v2, vcc_lo
	v_cmp_eq_u32_e32 vcc_lo, 0, v61
	s_delay_alu instid0(VALU_DEP_2) | instskip(SKIP_1) | instid1(VALU_DEP_2)
	v_cndmask_b32_e64 v109, v2, 0x78, vcc_lo
	v_and_b32_e32 v2, 0x7fffff, v8
	v_add_nc_u32_e32 v8, 20, v109
	s_delay_alu instid0(VALU_DEP_2) | instskip(SKIP_1) | instid1(VALU_DEP_3)
	v_or_b32_e32 v12, 0x800000, v2
	v_add_nc_u32_e32 v13, 19, v109
	v_lshlrev_b64_e64 v[8:9], v8, -1
	s_delay_alu instid0(VALU_DEP_3) | instskip(NEXT) | instid1(VALU_DEP_3)
	v_cndmask_b32_e32 v2, v12, v2, vcc_lo
	v_lshlrev_b64_e64 v[12:13], v13, 1
	s_delay_alu instid0(VALU_DEP_3) | instskip(NEXT) | instid1(VALU_DEP_3)
	v_bfi_b32 v111, v9, 0, 0
	v_bfi_b32 v110, v8, 0, v2
	v_lshrrev_b64 v[8:9], v109, v[2:3]
	s_delay_alu instid0(VALU_DEP_2) | instskip(NEXT) | instid1(VALU_DEP_2)
	v_cmp_eq_u64_e64 s14, v[110:111], v[12:13]
	v_mov_b64_e32 v[12:13], v[8:9]
	s_and_saveexec_b32 s76, s14
; %bb.2249:                             ;   in Loop: Header=BB2_1889 Depth=3
	v_bfe_u32 v2, v8, 20, 1
	s_delay_alu instid0(VALU_DEP_1) | instskip(NEXT) | instid1(VALU_DEP_1)
	v_add_nc_u64_e32 v[12:13], v[8:9], v[2:3]
	v_add_nc_u64_e32 v[12:13], -1, v[12:13]
; %bb.2250:                             ;   in Loop: Header=BB2_1889 Depth=3
	s_or_b32 exec_lo, exec_lo, s76
	v_add_nc_u32_e32 v2, 0xffffff81, v61
	v_lshrrev_b32_e32 v9, 23, v8
	s_mov_b32 s14, exec_lo
	s_delay_alu instid0(VALU_DEP_2) | instskip(NEXT) | instid1(VALU_DEP_1)
	v_cndmask_b32_e64 v2, v2, 0xffffff82, vcc_lo
	v_add3_u32 v13, v109, v2, v9
	v_and_b32_e32 v2, 0xfffff, v12
                                        ; implicit-def: $vgpr12
	s_delay_alu instid0(VALU_DEP_1) | instskip(NEXT) | instid1(VALU_DEP_1)
	v_dual_add_nc_u32 v61, 6, v13 :: v_dual_add_nc_u32 v2, v2, v8
                                        ; implicit-def: $vgpr8_vgpr9
	v_cmpx_ne_u32_e32 0, v61
	s_xor_b32 s14, exec_lo, s14
; %bb.2251:                             ;   in Loop: Header=BB2_1889 Depth=3
	s_delay_alu instid0(VALU_DEP_2) | instskip(SKIP_1) | instid1(VALU_DEP_1)
	v_cmp_lt_u64_e32 vcc_lo, 0xffffff, v[2:3]
	v_add_nc_u32_e32 v8, 7, v13
	v_cndmask_b32_e32 v12, v61, v8, vcc_lo
	v_cndmask_b32_e64 v8, 0, 1, vcc_lo
	s_delay_alu instid0(VALU_DEP_1)
	v_lshrrev_b64 v[8:9], v8, v[2:3]
; %bb.2252:                             ;   in Loop: Header=BB2_1889 Depth=3
	s_and_not1_saveexec_b32 s14, s14
; %bb.2253:                             ;   in Loop: Header=BB2_1889 Depth=3
	v_mov_b64_e32 v[8:9], v[2:3]
	v_bfe_u32 v12, v2, 23, 1
; %bb.2254:                             ;   in Loop: Header=BB2_1889 Depth=3
	s_or_b32 exec_lo, exec_lo, s14
	s_delay_alu instid0(VALU_DEP_2) | instskip(NEXT) | instid1(VALU_DEP_2)
	v_lshrrev_b64 v[8:9], 20, v[8:9]
	v_cmp_gt_i32_e32 vcc_lo, 16, v12
	v_min_i32_e32 v2, 15, v12
	v_cmp_eq_u32_e64 s14, 0, v12
	s_delay_alu instid0(VALU_DEP_2) | instskip(SKIP_1) | instid1(VALU_DEP_2)
	v_dual_cndmask_b32 v9, 0, v9 :: v_dual_lshlrev_b32 v2, 3, v2
	v_cndmask_b32_e32 v8, 7, v8, vcc_lo
	v_and_b32_e32 v2, 0xf8, v2
	s_delay_alu instid0(VALU_DEP_2) | instskip(NEXT) | instid1(VALU_DEP_2)
	v_cmp_eq_u64_e32 vcc_lo, 0, v[8:9]
	v_and_or_b32 v2, v8, 7, v2
	s_and_b32 s14, s14, vcc_lo
	s_delay_alu instid0(VALU_DEP_1) | instid1(SALU_CYCLE_1)
	v_cndmask_b32_e64 v2, v2, 0, s14
	s_delay_alu instid0(VALU_DEP_1)
	v_or_b32_e32 v109, v2, v60
.LBB2_2255:                             ;   in Loop: Header=BB2_1889 Depth=3
	s_or_b32 exec_lo, exec_lo, s45
                                        ; implicit-def: $vgpr60
.LBB2_2256:                             ;   in Loop: Header=BB2_1889 Depth=3
	s_and_not1_saveexec_b32 s14, s44
; %bb.2257:                             ;   in Loop: Header=BB2_1889 Depth=3
	v_or_b32_e32 v109, 0x7e, v60
; %bb.2258:                             ;   in Loop: Header=BB2_1889 Depth=3
	s_or_b32 exec_lo, exec_lo, s14
                                        ; implicit-def: $vgpr9
.LBB2_2259:                             ;   in Loop: Header=BB2_1889 Depth=3
	s_and_not1_saveexec_b32 s14, s15
; %bb.2260:                             ;   in Loop: Header=BB2_1889 Depth=3
	v_or_b32_e32 v109, 0x7f, v9
; %bb.2261:                             ;   in Loop: Header=BB2_1889 Depth=3
	s_or_b32 exec_lo, exec_lo, s14
	v_and_b32_e32 v8, 0xff, v15
	v_dual_mov_b32 v2, v15 :: v_dual_mov_b32 v12, 0
	s_mov_b32 s14, exec_lo
	s_delay_alu instid0(VALU_DEP_2)
	v_cmpx_ne_u16_e32 0, v8
	s_cbranch_execz .LBB2_2267
; %bb.2262:                             ;   in Loop: Header=BB2_1889 Depth=3
	v_bfrev_b32_e32 v12, 1
	s_mov_b32 s15, exec_lo
	v_cmpx_ne_u16_e32 0x80, v8
	s_cbranch_execz .LBB2_2266
; %bb.2263:                             ;   in Loop: Header=BB2_1889 Depth=3
	v_and_b32_e32 v8, 0x7f, v15
	v_mov_b32_e32 v12, 0x7f800001
	s_mov_b32 s44, exec_lo
	s_delay_alu instid0(VALU_DEP_2)
	v_cmpx_ne_u32_e32 0x7f, v8
	s_cbranch_execz .LBB2_2265
; %bb.2264:                             ;   in Loop: Header=BB2_1889 Depth=3
	v_dual_lshrrev_b32 v12, 3, v8 :: v_dual_bitop2_b32 v9, 7, v15 bitop3:0x40
	v_cmp_gt_u32_e32 vcc_lo, 8, v8
	s_delay_alu instid0(VALU_DEP_2) | instskip(NEXT) | instid1(VALU_DEP_1)
	v_clz_i32_u32_e32 v9, v9
	v_min_u32_e32 v9, 32, v9
	s_delay_alu instid0(VALU_DEP_1) | instskip(SKIP_1) | instid1(VALU_DEP_2)
	v_subrev_nc_u32_e32 v13, 28, v9
	v_sub_nc_u32_e32 v9, 29, v9
	v_cndmask_b32_e32 v8, 0, v13, vcc_lo
	s_delay_alu instid0(VALU_DEP_2) | instskip(NEXT) | instid1(VALU_DEP_2)
	v_cndmask_b32_e32 v12, v12, v9, vcc_lo
	v_lshlrev_b64_e32 v[8:9], v8, v[2:3]
	v_lshlrev_b32_e32 v9, 24, v2
	s_delay_alu instid0(VALU_DEP_3) | instskip(NEXT) | instid1(VALU_DEP_2)
	v_lshl_add_u32 v12, v12, 23, 0x3c000000
	v_and_b32_e32 v9, 0x80000000, v9
	s_delay_alu instid0(VALU_DEP_4) | instskip(NEXT) | instid1(VALU_DEP_1)
	v_lshlrev_b32_e32 v8, 20, v8
	v_and_b32_e32 v8, 0x700000, v8
	s_delay_alu instid0(VALU_DEP_1)
	v_or3_b32 v12, v8, v9, v12
.LBB2_2265:                             ;   in Loop: Header=BB2_1889 Depth=3
	s_or_b32 exec_lo, exec_lo, s44
.LBB2_2266:                             ;   in Loop: Header=BB2_1889 Depth=3
	s_delay_alu instid0(SALU_CYCLE_1)
	s_or_b32 exec_lo, exec_lo, s15
.LBB2_2267:                             ;   in Loop: Header=BB2_1889 Depth=3
	s_delay_alu instid0(SALU_CYCLE_1) | instskip(SKIP_4) | instid1(VALU_DEP_2)
	s_or_b32 exec_lo, exec_lo, s14
	v_and_b32_e32 v9, 0xff, v11
	v_mov_b32_e32 v8, v11
	s_mov_b32 s14, 0
	s_mov_b32 s15, exec_lo
	v_cmpx_lt_i16_e32 0x7f, v9
	s_xor_b32 s15, exec_lo, s15
	s_cbranch_execz .LBB2_2302
; %bb.2268:                             ;   in Loop: Header=BB2_1889 Depth=3
	s_mov_b32 s14, -1
	s_mov_b32 s44, exec_lo
	v_cmpx_eq_u16_e32 0x80, v9
; %bb.2269:                             ;   in Loop: Header=BB2_1889 Depth=3
	s_xor_b32 s14, exec_lo, -1
; %bb.2270:                             ;   in Loop: Header=BB2_1889 Depth=3
	s_or_b32 exec_lo, exec_lo, s44
	s_delay_alu instid0(SALU_CYCLE_1)
	s_and_b32 s14, s14, exec_lo
                                        ; implicit-def: $vgpr9
	s_or_saveexec_b32 s15, s15
	v_bfrev_b32_e32 v13, 1
	s_xor_b32 exec_lo, exec_lo, s15
	s_cbranch_execnz .LBB2_2303
.LBB2_2271:                             ;   in Loop: Header=BB2_1889 Depth=3
	s_or_b32 exec_lo, exec_lo, s15
	v_mov_b32_e32 v9, v3
	s_and_saveexec_b32 s15, s14
	s_cbranch_execz .LBB2_2273
.LBB2_2272:                             ;   in Loop: Header=BB2_1889 Depth=3
	v_and_b32_e32 v18, 0x7f, v11
	v_bfe_u32 v19, v11, 3, 4
	s_delay_alu instid0(VALU_DEP_2) | instskip(SKIP_1) | instid1(VALU_DEP_1)
	v_cmp_gt_u32_e32 vcc_lo, 8, v18
	v_and_b32_e32 v13, 7, v11
	v_clz_i32_u32_e32 v13, v13
	s_delay_alu instid0(VALU_DEP_1) | instskip(NEXT) | instid1(VALU_DEP_1)
	v_min_u32_e32 v13, 32, v13
	v_subrev_nc_u32_e32 v60, 28, v13
	v_sub_nc_u32_e32 v13, 29, v13
	s_delay_alu instid0(VALU_DEP_1) | instskip(SKIP_1) | instid1(VALU_DEP_2)
	v_dual_cndmask_b32 v13, v19, v13, vcc_lo :: v_dual_cndmask_b32 v19, 0, v60, vcc_lo
	v_cmp_ne_u32_e32 vcc_lo, 0x7f, v18
	v_lshlrev_b64_e32 v[60:61], v19, v[8:9]
	v_lshlrev_b32_e32 v9, 24, v8
	s_delay_alu instid0(VALU_DEP_1) | instskip(NEXT) | instid1(VALU_DEP_3)
	v_and_b32_e32 v9, 0x80000000, v9
	v_lshlrev_b32_e32 v19, 20, v60
	v_lshl_add_u32 v13, v13, 23, 0x3c000000
	s_delay_alu instid0(VALU_DEP_2) | instskip(NEXT) | instid1(VALU_DEP_1)
	v_and_b32_e32 v19, 0x700000, v19
	v_or3_b32 v9, v19, v9, v13
	s_delay_alu instid0(VALU_DEP_1)
	v_cndmask_b32_e32 v13, 0x7f800001, v9, vcc_lo
.LBB2_2273:                             ;   in Loop: Header=BB2_1889 Depth=3
	s_or_b32 exec_lo, exec_lo, s15
	s_delay_alu instid0(VALU_DEP_1) | instskip(NEXT) | instid1(VALU_DEP_1)
	v_dual_add_f32 v12, v12, v13 :: v_dual_mov_b32 v61, v3
	v_and_b32_e32 v60, 0x7f800000, v12
	v_lshrrev_b32_e32 v9, 24, v12
	s_delay_alu instid0(VALU_DEP_2) | instskip(SKIP_1) | instid1(SALU_CYCLE_1)
	v_cmp_ne_u64_e32 vcc_lo, 0x7f800000, v[60:61]
                                        ; implicit-def: $vgpr60
	s_and_saveexec_b32 s14, vcc_lo
	s_xor_b32 s15, exec_lo, s14
	s_cbranch_execz .LBB2_2287
; %bb.2274:                             ;   in Loop: Header=BB2_1889 Depth=3
	v_and_b32_e32 v60, 0x7fffffff, v12
	v_mov_b32_e32 v61, v3
	v_and_b32_e32 v9, 0x80, v9
	s_delay_alu instid0(VALU_DEP_2) | instskip(SKIP_1) | instid1(SALU_CYCLE_1)
	v_cmp_gt_u64_e32 vcc_lo, 0x43e00001, v[60:61]
                                        ; implicit-def: $vgpr60
	s_and_saveexec_b32 s14, vcc_lo
	s_xor_b32 s44, exec_lo, s14
	s_cbranch_execz .LBB2_2284
; %bb.2275:                             ;   in Loop: Header=BB2_1889 Depth=3
	v_mov_b32_e32 v60, 0
	s_mov_b32 s45, exec_lo
	v_cmpx_ne_u32_e32 0, v12
	s_cbranch_execz .LBB2_2283
; %bb.2276:                             ;   in Loop: Header=BB2_1889 Depth=3
	v_bfe_u32 v110, v12, 23, 8
	v_and_b32_e32 v18, 0x7fffff, v12
	v_mov_b32_e32 v61, v3
	s_mov_b32 s76, exec_lo
	s_delay_alu instid0(VALU_DEP_3) | instskip(SKIP_2) | instid1(VALU_DEP_3)
	v_sub_nc_u32_e32 v13, 0x79, v110
	v_cmp_gt_u32_e32 vcc_lo, 0x7a, v110
	v_or_b32_e32 v19, 0x800000, v18
	v_cndmask_b32_e32 v13, 0, v13, vcc_lo
	v_cmp_eq_u32_e32 vcc_lo, 0, v110
	s_delay_alu instid0(VALU_DEP_2) | instskip(NEXT) | instid1(VALU_DEP_1)
	v_cndmask_b32_e64 v111, v13, 0x78, vcc_lo
	v_dual_cndmask_b32 v60, v19, v18, vcc_lo :: v_dual_add_nc_u32 v120, 19, v111
	v_add_nc_u32_e32 v12, 20, v111
	s_delay_alu instid0(VALU_DEP_2) | instskip(NEXT) | instid1(VALU_DEP_2)
	v_lshlrev_b64_e64 v[120:121], v120, 1
	v_lshlrev_b64_e64 v[12:13], v12, -1
	s_delay_alu instid0(VALU_DEP_1) | instskip(NEXT) | instid1(VALU_DEP_2)
	v_bfi_b32 v123, v13, 0, 0
	v_bfi_b32 v122, v12, 0, v60
	v_lshrrev_b64 v[12:13], v111, v[60:61]
	s_delay_alu instid0(VALU_DEP_1) | instskip(NEXT) | instid1(VALU_DEP_3)
	v_mov_b64_e32 v[60:61], v[12:13]
	v_cmpx_eq_u64_e64 v[122:123], v[120:121]
; %bb.2277:                             ;   in Loop: Header=BB2_1889 Depth=3
	v_bfe_u32 v60, v12, 20, 1
	v_mov_b32_e32 v61, v3
	s_delay_alu instid0(VALU_DEP_1) | instskip(NEXT) | instid1(VALU_DEP_1)
	v_add_nc_u64_e32 v[60:61], v[12:13], v[60:61]
	v_add_nc_u64_e32 v[60:61], -1, v[60:61]
; %bb.2278:                             ;   in Loop: Header=BB2_1889 Depth=3
	s_or_b32 exec_lo, exec_lo, s76
	v_add_nc_u32_e32 v13, 0xffffff81, v110
	v_lshrrev_b32_e32 v18, 23, v12
	s_mov_b32 s14, exec_lo
	s_delay_alu instid0(VALU_DEP_2) | instskip(NEXT) | instid1(VALU_DEP_1)
	v_cndmask_b32_e64 v13, v13, 0xffffff82, vcc_lo
	v_add3_u32 v61, v111, v13, v18
	v_and_b32_e32 v13, 0xfffff, v60
                                        ; implicit-def: $vgpr60
	s_delay_alu instid0(VALU_DEP_1) | instskip(SKIP_1) | instid1(VALU_DEP_2)
	v_dual_add_nc_u32 v110, 6, v61 :: v_dual_add_nc_u32 v12, v13, v12
	v_mov_b32_e32 v13, v3
	v_cmpx_ne_u32_e32 0, v110
	s_xor_b32 s14, exec_lo, s14
; %bb.2279:                             ;   in Loop: Header=BB2_1889 Depth=3
	s_delay_alu instid0(VALU_DEP_2) | instskip(SKIP_1) | instid1(VALU_DEP_1)
	v_cmp_lt_u64_e32 vcc_lo, 0xffffff, v[12:13]
	v_add_nc_u32_e32 v18, 7, v61
	v_cndmask_b32_e32 v60, v110, v18, vcc_lo
	v_cndmask_b32_e64 v18, 0, 1, vcc_lo
	s_delay_alu instid0(VALU_DEP_1)
	v_lshrrev_b64 v[12:13], v18, v[12:13]
; %bb.2280:                             ;   in Loop: Header=BB2_1889 Depth=3
	s_and_not1_saveexec_b32 s14, s14
; %bb.2281:                             ;   in Loop: Header=BB2_1889 Depth=3
	s_delay_alu instid0(VALU_DEP_1)
	v_bfe_u32 v60, v12, 23, 1
; %bb.2282:                             ;   in Loop: Header=BB2_1889 Depth=3
	s_or_b32 exec_lo, exec_lo, s14
	s_delay_alu instid0(VALU_DEP_2) | instskip(NEXT) | instid1(VALU_DEP_2)
	v_lshrrev_b64 v[12:13], 20, v[12:13]
	v_cmp_gt_i32_e32 vcc_lo, 16, v60
	v_min_i32_e32 v18, 15, v60
	v_cmp_eq_u32_e64 s14, 0, v60
	s_delay_alu instid0(VALU_DEP_2) | instskip(SKIP_1) | instid1(VALU_DEP_2)
	v_dual_cndmask_b32 v13, 0, v13 :: v_dual_lshlrev_b32 v18, 3, v18
	v_cndmask_b32_e32 v12, 7, v12, vcc_lo
	v_and_b32_e32 v18, 0xf8, v18
	s_delay_alu instid0(VALU_DEP_2) | instskip(NEXT) | instid1(VALU_DEP_2)
	v_cmp_eq_u64_e32 vcc_lo, 0, v[12:13]
	v_and_or_b32 v12, v12, 7, v18
	s_and_b32 s14, s14, vcc_lo
	s_delay_alu instid0(VALU_DEP_1) | instid1(SALU_CYCLE_1)
	v_cndmask_b32_e64 v12, v12, 0, s14
	s_delay_alu instid0(VALU_DEP_1)
	v_or_b32_e32 v60, v12, v9
.LBB2_2283:                             ;   in Loop: Header=BB2_1889 Depth=3
	s_or_b32 exec_lo, exec_lo, s45
                                        ; implicit-def: $vgpr9
.LBB2_2284:                             ;   in Loop: Header=BB2_1889 Depth=3
	s_and_not1_saveexec_b32 s14, s44
; %bb.2285:                             ;   in Loop: Header=BB2_1889 Depth=3
	v_or_b32_e32 v60, 0x7e, v9
; %bb.2286:                             ;   in Loop: Header=BB2_1889 Depth=3
	s_or_b32 exec_lo, exec_lo, s14
                                        ; implicit-def: $vgpr9
.LBB2_2287:                             ;   in Loop: Header=BB2_1889 Depth=3
	s_and_not1_saveexec_b32 s14, s15
; %bb.2288:                             ;   in Loop: Header=BB2_1889 Depth=3
	v_or_b32_e32 v60, 0x7f, v9
; %bb.2289:                             ;   in Loop: Header=BB2_1889 Depth=3
	s_or_b32 exec_lo, exec_lo, s14
	v_lshrrev_b16 v12, 8, v2
	v_mov_b32_e32 v9, 0
	s_mov_b32 s14, exec_lo
	s_delay_alu instid0(VALU_DEP_2)
	v_cmpx_ne_u16_e32 0, v12
	s_cbranch_execz .LBB2_2297
; %bb.2290:                             ;   in Loop: Header=BB2_1889 Depth=3
	v_bfrev_b32_e32 v9, 1
	s_mov_b32 s15, exec_lo
	v_cmpx_ne_u16_e32 0x80, v12
	s_cbranch_execz .LBB2_2296
; %bb.2291:                             ;   in Loop: Header=BB2_1889 Depth=3
	v_and_b32_e32 v12, 0xffff, v12
	v_mov_b32_e32 v9, 0x7f800001
	s_mov_b32 s44, exec_lo
	s_delay_alu instid0(VALU_DEP_2) | instskip(NEXT) | instid1(VALU_DEP_1)
	v_and_b32_e32 v61, 0x7f, v12
	v_cmpx_ne_u32_e32 0x7f, v61
	s_cbranch_execz .LBB2_2295
; %bb.2292:                             ;   in Loop: Header=BB2_1889 Depth=3
	v_dual_mov_b32 v13, v3 :: v_dual_bitop2_b32 v12, 7, v12 bitop3:0x40
	v_lshrrev_b32_e32 v9, 3, v61
	s_mov_b32 s45, exec_lo
	v_cmpx_gt_u32_e32 8, v61
; %bb.2293:                             ;   in Loop: Header=BB2_1889 Depth=3
	s_delay_alu instid0(VALU_DEP_3) | instskip(NEXT) | instid1(VALU_DEP_1)
	v_clz_i32_u32_e32 v9, v12
	v_min_u32_e32 v9, 32, v9
	s_delay_alu instid0(VALU_DEP_1) | instskip(NEXT) | instid1(VALU_DEP_1)
	v_subrev_nc_u32_e32 v18, 28, v9
	v_lshlrev_b64_e32 v[12:13], v18, v[12:13]
	s_delay_alu instid0(VALU_DEP_1)
	v_dual_sub_nc_u32 v9, 29, v9 :: v_dual_bitop2_b32 v12, 7, v12 bitop3:0x40
; %bb.2294:                             ;   in Loop: Header=BB2_1889 Depth=3
	s_or_b32 exec_lo, exec_lo, s45
	s_delay_alu instid0(VALU_DEP_1) | instskip(NEXT) | instid1(VALU_DEP_2)
	v_dual_lshlrev_b32 v2, 16, v2 :: v_dual_lshlrev_b32 v12, 20, v12
	v_lshl_add_u32 v9, v9, 23, 0x3c000000
	s_delay_alu instid0(VALU_DEP_2) | instskip(NEXT) | instid1(VALU_DEP_1)
	v_and_b32_e32 v2, 0x80000000, v2
	v_or3_b32 v9, v12, v2, v9
.LBB2_2295:                             ;   in Loop: Header=BB2_1889 Depth=3
	s_or_b32 exec_lo, exec_lo, s44
.LBB2_2296:                             ;   in Loop: Header=BB2_1889 Depth=3
	s_delay_alu instid0(SALU_CYCLE_1)
	s_or_b32 exec_lo, exec_lo, s15
.LBB2_2297:                             ;   in Loop: Header=BB2_1889 Depth=3
	s_delay_alu instid0(SALU_CYCLE_1) | instskip(SKIP_3) | instid1(VALU_DEP_1)
	s_or_b32 exec_lo, exec_lo, s14
	v_lshrrev_b16 v8, 8, v8
	s_mov_b32 s15, 0
	s_mov_b32 s14, exec_lo
	v_cmpx_lt_i16_e32 0x7f, v8
	s_xor_b32 s14, exec_lo, s14
	s_cbranch_execz .LBB2_2304
; %bb.2298:                             ;   in Loop: Header=BB2_1889 Depth=3
	s_mov_b32 s15, -1
	s_mov_b32 s44, exec_lo
	v_cmpx_eq_u16_e32 0x80, v8
; %bb.2299:                             ;   in Loop: Header=BB2_1889 Depth=3
	s_xor_b32 s15, exec_lo, -1
; %bb.2300:                             ;   in Loop: Header=BB2_1889 Depth=3
	s_or_b32 exec_lo, exec_lo, s44
	s_delay_alu instid0(SALU_CYCLE_1)
	s_and_b32 s15, s15, exec_lo
	s_or_saveexec_b32 s14, s14
	v_bfrev_b32_e32 v12, 1
	s_xor_b32 exec_lo, exec_lo, s14
	s_cbranch_execnz .LBB2_2305
.LBB2_2301:                             ;   in Loop: Header=BB2_1889 Depth=3
	s_or_b32 exec_lo, exec_lo, s14
	s_and_saveexec_b32 s14, s15
	s_cbranch_execnz .LBB2_2306
	s_branch .LBB2_2309
.LBB2_2302:                             ;   in Loop: Header=BB2_1889 Depth=3
	s_or_saveexec_b32 s15, s15
	v_bfrev_b32_e32 v13, 1
	s_xor_b32 exec_lo, exec_lo, s15
	s_cbranch_execz .LBB2_2271
.LBB2_2303:                             ;   in Loop: Header=BB2_1889 Depth=3
	v_cmp_ne_u16_e32 vcc_lo, 0, v9
	v_mov_b32_e32 v13, 0
	s_and_not1_b32 s14, s14, exec_lo
	s_and_b32 s44, vcc_lo, exec_lo
	s_delay_alu instid0(SALU_CYCLE_1)
	s_or_b32 s14, s14, s44
	s_or_b32 exec_lo, exec_lo, s15
	v_mov_b32_e32 v9, v3
	s_and_saveexec_b32 s15, s14
	s_cbranch_execnz .LBB2_2272
	s_branch .LBB2_2273
.LBB2_2304:                             ;   in Loop: Header=BB2_1889 Depth=3
	s_or_saveexec_b32 s14, s14
	v_bfrev_b32_e32 v12, 1
	s_xor_b32 exec_lo, exec_lo, s14
	s_cbranch_execz .LBB2_2301
.LBB2_2305:                             ;   in Loop: Header=BB2_1889 Depth=3
	v_cmp_ne_u16_e32 vcc_lo, 0, v8
	v_mov_b32_e32 v12, 0
	s_and_not1_b32 s15, s15, exec_lo
	s_and_b32 s44, vcc_lo, exec_lo
	s_delay_alu instid0(SALU_CYCLE_1)
	s_or_b32 s15, s15, s44
	s_or_b32 exec_lo, exec_lo, s14
	s_and_saveexec_b32 s14, s15
	s_cbranch_execz .LBB2_2309
.LBB2_2306:                             ;   in Loop: Header=BB2_1889 Depth=3
	v_and_b32_e32 v2, 0xffff, v8
	v_mov_b32_e32 v12, 0x7f800001
	s_mov_b32 s15, exec_lo
	s_delay_alu instid0(VALU_DEP_2) | instskip(NEXT) | instid1(VALU_DEP_1)
	v_and_b32_e32 v13, 0x7f, v2
	v_cmpx_ne_u32_e32 0x7f, v13
	s_cbranch_execz .LBB2_2308
; %bb.2307:                             ;   in Loop: Header=BB2_1889 Depth=3
	v_and_b32_e32 v12, 7, v2
	v_cmp_gt_u32_e32 vcc_lo, 8, v13
	v_lshlrev_b32_e32 v8, 24, v8
	s_delay_alu instid0(VALU_DEP_3) | instskip(NEXT) | instid1(VALU_DEP_2)
	v_clz_i32_u32_e32 v18, v12
	v_and_b32_e32 v8, 0x80000000, v8
	s_delay_alu instid0(VALU_DEP_2) | instskip(NEXT) | instid1(VALU_DEP_1)
	v_min_u32_e32 v18, 32, v18
	v_subrev_nc_u32_e32 v19, 28, v18
	v_sub_nc_u32_e32 v18, 29, v18
	s_delay_alu instid0(VALU_DEP_2) | instskip(NEXT) | instid1(VALU_DEP_1)
	v_lshlrev_b64_e32 v[110:111], v19, v[2:3]
	v_dual_lshrrev_b32 v2, 3, v13 :: v_dual_bitop2_b32 v13, 7, v110 bitop3:0x40
	s_delay_alu instid0(VALU_DEP_1) | instskip(NEXT) | instid1(VALU_DEP_1)
	v_dual_cndmask_b32 v2, v2, v18, vcc_lo :: v_dual_cndmask_b32 v12, v12, v13, vcc_lo
	v_lshl_add_u32 v2, v2, 23, 0x3c000000
	s_delay_alu instid0(VALU_DEP_2) | instskip(NEXT) | instid1(VALU_DEP_1)
	v_lshlrev_b32_e32 v12, 20, v12
	v_or3_b32 v12, v12, v8, v2
.LBB2_2308:                             ;   in Loop: Header=BB2_1889 Depth=3
	s_or_b32 exec_lo, exec_lo, s15
.LBB2_2309:                             ;   in Loop: Header=BB2_1889 Depth=3
	s_delay_alu instid0(SALU_CYCLE_1) | instskip(NEXT) | instid1(VALU_DEP_1)
	s_or_b32 exec_lo, exec_lo, s14
	v_add_f32_e32 v8, v9, v12
                                        ; implicit-def: $vgpr61
	s_mov_b32 s14, exec_lo
	s_delay_alu instid0(VALU_DEP_1) | instskip(SKIP_1) | instid1(VALU_DEP_2)
	v_and_b32_e32 v2, 0x7f800000, v8
	v_lshrrev_b32_e32 v9, 24, v8
	v_cmpx_ne_u64_e32 0x7f800000, v[2:3]
	s_xor_b32 s15, exec_lo, s14
	s_cbranch_execz .LBB2_2323
; %bb.2310:                             ;   in Loop: Header=BB2_1889 Depth=3
	v_and_b32_e32 v2, 0x7fffffff, v8
	v_and_b32_e32 v110, 0x80, v9
                                        ; implicit-def: $vgpr61
	s_mov_b32 s14, exec_lo
	s_delay_alu instid0(VALU_DEP_2)
	v_cmpx_gt_u64_e32 0x43e00001, v[2:3]
	s_xor_b32 s44, exec_lo, s14
	s_cbranch_execz .LBB2_2320
; %bb.2311:                             ;   in Loop: Header=BB2_1889 Depth=3
	v_mov_b32_e32 v61, 0
	s_mov_b32 s45, exec_lo
	v_cmpx_ne_u32_e32 0, v8
	s_cbranch_execz .LBB2_2319
; %bb.2312:                             ;   in Loop: Header=BB2_1889 Depth=3
	v_bfe_u32 v61, v8, 23, 8
	s_delay_alu instid0(VALU_DEP_1) | instskip(SKIP_1) | instid1(VALU_DEP_2)
	v_sub_nc_u32_e32 v2, 0x79, v61
	v_cmp_gt_u32_e32 vcc_lo, 0x7a, v61
	v_cndmask_b32_e32 v2, 0, v2, vcc_lo
	v_cmp_eq_u32_e32 vcc_lo, 0, v61
	s_delay_alu instid0(VALU_DEP_2) | instskip(SKIP_1) | instid1(VALU_DEP_2)
	v_cndmask_b32_e64 v111, v2, 0x78, vcc_lo
	v_and_b32_e32 v2, 0x7fffff, v8
	v_add_nc_u32_e32 v8, 20, v111
	s_delay_alu instid0(VALU_DEP_2) | instskip(SKIP_1) | instid1(VALU_DEP_3)
	v_or_b32_e32 v12, 0x800000, v2
	v_add_nc_u32_e32 v13, 19, v111
	v_lshlrev_b64_e64 v[8:9], v8, -1
	s_delay_alu instid0(VALU_DEP_3) | instskip(NEXT) | instid1(VALU_DEP_3)
	v_cndmask_b32_e32 v2, v12, v2, vcc_lo
	v_lshlrev_b64_e64 v[12:13], v13, 1
	s_delay_alu instid0(VALU_DEP_3) | instskip(NEXT) | instid1(VALU_DEP_3)
	v_bfi_b32 v121, v9, 0, 0
	v_bfi_b32 v120, v8, 0, v2
	v_lshrrev_b64 v[8:9], v111, v[2:3]
	s_delay_alu instid0(VALU_DEP_2) | instskip(NEXT) | instid1(VALU_DEP_2)
	v_cmp_eq_u64_e64 s14, v[120:121], v[12:13]
	v_mov_b64_e32 v[12:13], v[8:9]
	s_and_saveexec_b32 s76, s14
; %bb.2313:                             ;   in Loop: Header=BB2_1889 Depth=3
	v_bfe_u32 v2, v8, 20, 1
	s_delay_alu instid0(VALU_DEP_1) | instskip(NEXT) | instid1(VALU_DEP_1)
	v_add_nc_u64_e32 v[12:13], v[8:9], v[2:3]
	v_add_nc_u64_e32 v[12:13], -1, v[12:13]
; %bb.2314:                             ;   in Loop: Header=BB2_1889 Depth=3
	s_or_b32 exec_lo, exec_lo, s76
	v_add_nc_u32_e32 v2, 0xffffff81, v61
	v_lshrrev_b32_e32 v9, 23, v8
	s_mov_b32 s14, exec_lo
	s_delay_alu instid0(VALU_DEP_2) | instskip(NEXT) | instid1(VALU_DEP_1)
	v_cndmask_b32_e64 v2, v2, 0xffffff82, vcc_lo
	v_add3_u32 v13, v111, v2, v9
	v_and_b32_e32 v2, 0xfffff, v12
                                        ; implicit-def: $vgpr12
	s_delay_alu instid0(VALU_DEP_1) | instskip(NEXT) | instid1(VALU_DEP_1)
	v_dual_add_nc_u32 v61, 6, v13 :: v_dual_add_nc_u32 v2, v2, v8
                                        ; implicit-def: $vgpr8_vgpr9
	v_cmpx_ne_u32_e32 0, v61
	s_xor_b32 s14, exec_lo, s14
; %bb.2315:                             ;   in Loop: Header=BB2_1889 Depth=3
	s_delay_alu instid0(VALU_DEP_2) | instskip(SKIP_1) | instid1(VALU_DEP_1)
	v_cmp_lt_u64_e32 vcc_lo, 0xffffff, v[2:3]
	v_add_nc_u32_e32 v8, 7, v13
	v_cndmask_b32_e32 v12, v61, v8, vcc_lo
	v_cndmask_b32_e64 v8, 0, 1, vcc_lo
	s_delay_alu instid0(VALU_DEP_1)
	v_lshrrev_b64 v[8:9], v8, v[2:3]
; %bb.2316:                             ;   in Loop: Header=BB2_1889 Depth=3
	s_and_not1_saveexec_b32 s14, s14
; %bb.2317:                             ;   in Loop: Header=BB2_1889 Depth=3
	v_mov_b64_e32 v[8:9], v[2:3]
	v_bfe_u32 v12, v2, 23, 1
; %bb.2318:                             ;   in Loop: Header=BB2_1889 Depth=3
	s_or_b32 exec_lo, exec_lo, s14
	s_delay_alu instid0(VALU_DEP_2) | instskip(NEXT) | instid1(VALU_DEP_2)
	v_lshrrev_b64 v[8:9], 20, v[8:9]
	v_cmp_gt_i32_e32 vcc_lo, 16, v12
	v_min_i32_e32 v2, 15, v12
	v_cmp_eq_u32_e64 s14, 0, v12
	s_delay_alu instid0(VALU_DEP_2) | instskip(SKIP_1) | instid1(VALU_DEP_2)
	v_dual_cndmask_b32 v9, 0, v9 :: v_dual_lshlrev_b32 v2, 3, v2
	v_cndmask_b32_e32 v8, 7, v8, vcc_lo
	v_and_b32_e32 v2, 0xf8, v2
	s_delay_alu instid0(VALU_DEP_2) | instskip(NEXT) | instid1(VALU_DEP_2)
	v_cmp_eq_u64_e32 vcc_lo, 0, v[8:9]
	v_and_or_b32 v2, v8, 7, v2
	s_and_b32 s14, s14, vcc_lo
	s_delay_alu instid0(VALU_DEP_1) | instid1(SALU_CYCLE_1)
	v_cndmask_b32_e64 v2, v2, 0, s14
	s_delay_alu instid0(VALU_DEP_1)
	v_or_b32_e32 v61, v2, v110
.LBB2_2319:                             ;   in Loop: Header=BB2_1889 Depth=3
	s_or_b32 exec_lo, exec_lo, s45
                                        ; implicit-def: $vgpr110
.LBB2_2320:                             ;   in Loop: Header=BB2_1889 Depth=3
	s_and_not1_saveexec_b32 s14, s44
; %bb.2321:                             ;   in Loop: Header=BB2_1889 Depth=3
	v_or_b32_e32 v61, 0x7e, v110
; %bb.2322:                             ;   in Loop: Header=BB2_1889 Depth=3
	s_or_b32 exec_lo, exec_lo, s14
                                        ; implicit-def: $vgpr9
.LBB2_2323:                             ;   in Loop: Header=BB2_1889 Depth=3
	s_and_not1_saveexec_b32 s14, s15
; %bb.2324:                             ;   in Loop: Header=BB2_1889 Depth=3
	v_or_b32_e32 v61, 0x7f, v9
; %bb.2325:                             ;   in Loop: Header=BB2_1889 Depth=3
	s_or_b32 exec_lo, exec_lo, s14
	v_dual_mov_b32 v8, 0 :: v_dual_lshrrev_b32 v9, 16, v15
	s_mov_b32 s14, exec_lo
	s_delay_alu instid0(VALU_DEP_1) | instskip(NEXT) | instid1(VALU_DEP_1)
	v_and_b32_e32 v2, 0xff, v9
	v_cmpx_ne_u16_e32 0, v2
	s_cbranch_execz .LBB2_2333
; %bb.2326:                             ;   in Loop: Header=BB2_1889 Depth=3
	v_bfrev_b32_e32 v8, 1
	s_mov_b32 s15, exec_lo
	v_cmpx_ne_u16_e32 0x80, v2
	s_cbranch_execz .LBB2_2332
; %bb.2327:                             ;   in Loop: Header=BB2_1889 Depth=3
	v_bfe_u32 v12, v15, 16, 7
	v_mov_b32_e32 v8, 0x7f800001
	s_mov_b32 s44, exec_lo
	s_delay_alu instid0(VALU_DEP_2)
	v_cmpx_ne_u32_e32 0x7f, v12
	s_cbranch_execz .LBB2_2331
; %bb.2328:                             ;   in Loop: Header=BB2_1889 Depth=3
	v_dual_lshrrev_b32 v8, 3, v12 :: v_dual_bitop2_b32 v2, 7, v9 bitop3:0x40
	s_mov_b32 s45, exec_lo
	v_cmpx_gt_u32_e32 8, v12
; %bb.2329:                             ;   in Loop: Header=BB2_1889 Depth=3
	s_delay_alu instid0(VALU_DEP_2) | instskip(NEXT) | instid1(VALU_DEP_1)
	v_clz_i32_u32_e32 v8, v2
	v_min_u32_e32 v8, 32, v8
	s_delay_alu instid0(VALU_DEP_1) | instskip(SKIP_1) | instid1(VALU_DEP_2)
	v_subrev_nc_u32_e32 v12, 28, v8
	v_sub_nc_u32_e32 v8, 29, v8
	v_lshlrev_b64_e32 v[12:13], v12, v[2:3]
	s_delay_alu instid0(VALU_DEP_1)
	v_and_b32_e32 v2, 7, v12
; %bb.2330:                             ;   in Loop: Header=BB2_1889 Depth=3
	s_or_b32 exec_lo, exec_lo, s45
	s_delay_alu instid0(VALU_DEP_1) | instskip(SKIP_1) | instid1(VALU_DEP_2)
	v_dual_lshlrev_b32 v9, 24, v9 :: v_dual_lshlrev_b32 v2, 20, v2
	v_lshl_add_u32 v8, v8, 23, 0x3c000000
	v_and_b32_e32 v9, 0x80000000, v9
	s_delay_alu instid0(VALU_DEP_1)
	v_or3_b32 v8, v2, v9, v8
.LBB2_2331:                             ;   in Loop: Header=BB2_1889 Depth=3
	s_or_b32 exec_lo, exec_lo, s44
.LBB2_2332:                             ;   in Loop: Header=BB2_1889 Depth=3
	s_delay_alu instid0(SALU_CYCLE_1)
	s_or_b32 exec_lo, exec_lo, s15
.LBB2_2333:                             ;   in Loop: Header=BB2_1889 Depth=3
	s_delay_alu instid0(SALU_CYCLE_1) | instskip(SKIP_3) | instid1(VALU_DEP_1)
	s_or_b32 exec_lo, exec_lo, s14
	v_lshrrev_b32_e32 v2, 16, v11
	s_mov_b32 s15, 0
	s_mov_b32 s14, exec_lo
	v_and_b32_e32 v12, 0xff, v2
	s_delay_alu instid0(VALU_DEP_1)
	v_cmpx_lt_i16_e32 0x7f, v12
	s_xor_b32 s14, exec_lo, s14
	s_cbranch_execz .LBB2_2338
; %bb.2334:                             ;   in Loop: Header=BB2_1889 Depth=3
	s_mov_b32 s15, -1
	s_mov_b32 s44, exec_lo
	v_cmpx_eq_u16_e32 0x80, v12
; %bb.2335:                             ;   in Loop: Header=BB2_1889 Depth=3
	s_xor_b32 s15, exec_lo, -1
; %bb.2336:                             ;   in Loop: Header=BB2_1889 Depth=3
	s_or_b32 exec_lo, exec_lo, s44
	s_delay_alu instid0(SALU_CYCLE_1)
	s_and_b32 s15, s15, exec_lo
                                        ; implicit-def: $vgpr12
	s_or_saveexec_b32 s14, s14
	v_bfrev_b32_e32 v9, 1
	s_xor_b32 exec_lo, exec_lo, s14
	s_cbranch_execnz .LBB2_2339
.LBB2_2337:                             ;   in Loop: Header=BB2_1889 Depth=3
	s_or_b32 exec_lo, exec_lo, s14
	s_and_saveexec_b32 s14, s15
	s_cbranch_execnz .LBB2_2340
	s_branch .LBB2_2343
.LBB2_2338:                             ;   in Loop: Header=BB2_1889 Depth=3
	s_or_saveexec_b32 s14, s14
	v_bfrev_b32_e32 v9, 1
	s_xor_b32 exec_lo, exec_lo, s14
	s_cbranch_execz .LBB2_2337
.LBB2_2339:                             ;   in Loop: Header=BB2_1889 Depth=3
	v_cmp_ne_u16_e32 vcc_lo, 0, v12
	v_mov_b32_e32 v9, 0
	s_and_not1_b32 s15, s15, exec_lo
	s_and_b32 s44, vcc_lo, exec_lo
	s_delay_alu instid0(SALU_CYCLE_1)
	s_or_b32 s15, s15, s44
	s_or_b32 exec_lo, exec_lo, s14
	s_and_saveexec_b32 s14, s15
	s_cbranch_execz .LBB2_2343
.LBB2_2340:                             ;   in Loop: Header=BB2_1889 Depth=3
	v_and_b32_e32 v12, 0x7f, v2
	v_mov_b32_e32 v9, 0x7f800001
	s_mov_b32 s15, exec_lo
	s_delay_alu instid0(VALU_DEP_2)
	v_cmpx_ne_u32_e32 0x7f, v12
	s_cbranch_execz .LBB2_2342
; %bb.2341:                             ;   in Loop: Header=BB2_1889 Depth=3
	v_and_b32_e32 v9, 7, v2
	v_cmp_gt_u32_e32 vcc_lo, 8, v12
	s_delay_alu instid0(VALU_DEP_2) | instskip(NEXT) | instid1(VALU_DEP_1)
	v_clz_i32_u32_e32 v13, v9
	v_min_u32_e32 v13, 32, v13
	s_delay_alu instid0(VALU_DEP_1) | instskip(NEXT) | instid1(VALU_DEP_1)
	v_subrev_nc_u32_e32 v18, 28, v13
	v_lshlrev_b64_e32 v[110:111], v18, v[2:3]
	v_dual_lshrrev_b32 v18, 3, v12 :: v_dual_sub_nc_u32 v13, 29, v13
	s_delay_alu instid0(VALU_DEP_2) | instskip(NEXT) | instid1(VALU_DEP_2)
	v_and_b32_e32 v12, 7, v110
	v_dual_cndmask_b32 v13, v18, v13 :: v_dual_lshlrev_b32 v2, 24, v2
	s_delay_alu instid0(VALU_DEP_2) | instskip(NEXT) | instid1(VALU_DEP_2)
	v_cndmask_b32_e32 v9, v9, v12, vcc_lo
	v_and_b32_e32 v2, 0x80000000, v2
	s_delay_alu instid0(VALU_DEP_3) | instskip(NEXT) | instid1(VALU_DEP_3)
	v_lshl_add_u32 v12, v13, 23, 0x3c000000
	v_lshlrev_b32_e32 v9, 20, v9
	s_delay_alu instid0(VALU_DEP_1)
	v_or3_b32 v9, v9, v2, v12
.LBB2_2342:                             ;   in Loop: Header=BB2_1889 Depth=3
	s_or_b32 exec_lo, exec_lo, s15
.LBB2_2343:                             ;   in Loop: Header=BB2_1889 Depth=3
	s_delay_alu instid0(SALU_CYCLE_1) | instskip(NEXT) | instid1(VALU_DEP_1)
	s_or_b32 exec_lo, exec_lo, s14
	v_add_f32_e32 v8, v8, v9
                                        ; implicit-def: $vgpr12
	s_mov_b32 s14, exec_lo
	s_delay_alu instid0(VALU_DEP_1) | instskip(SKIP_1) | instid1(VALU_DEP_2)
	v_and_b32_e32 v2, 0x7f800000, v8
	v_lshrrev_b32_e32 v9, 24, v8
	v_cmpx_ne_u64_e32 0x7f800000, v[2:3]
	s_xor_b32 s15, exec_lo, s14
	s_cbranch_execz .LBB2_2357
; %bb.2344:                             ;   in Loop: Header=BB2_1889 Depth=3
	v_and_b32_e32 v2, 0x7fffffff, v8
	v_and_b32_e32 v110, 0x80, v9
                                        ; implicit-def: $vgpr12
	s_mov_b32 s14, exec_lo
	s_delay_alu instid0(VALU_DEP_2)
	v_cmpx_gt_u64_e32 0x43e00001, v[2:3]
	s_xor_b32 s44, exec_lo, s14
	s_cbranch_execz .LBB2_2354
; %bb.2345:                             ;   in Loop: Header=BB2_1889 Depth=3
	v_mov_b32_e32 v12, 0
	s_mov_b32 s45, exec_lo
	v_cmpx_ne_u32_e32 0, v8
	s_cbranch_execz .LBB2_2353
; %bb.2346:                             ;   in Loop: Header=BB2_1889 Depth=3
	v_bfe_u32 v111, v8, 23, 8
	s_delay_alu instid0(VALU_DEP_1) | instskip(SKIP_1) | instid1(VALU_DEP_2)
	v_sub_nc_u32_e32 v2, 0x79, v111
	v_cmp_gt_u32_e32 vcc_lo, 0x7a, v111
	v_cndmask_b32_e32 v2, 0, v2, vcc_lo
	v_cmp_eq_u32_e32 vcc_lo, 0, v111
	s_delay_alu instid0(VALU_DEP_2) | instskip(SKIP_1) | instid1(VALU_DEP_2)
	v_cndmask_b32_e64 v120, v2, 0x78, vcc_lo
	v_and_b32_e32 v2, 0x7fffff, v8
	v_add_nc_u32_e32 v8, 20, v120
	s_delay_alu instid0(VALU_DEP_2) | instskip(SKIP_1) | instid1(VALU_DEP_3)
	v_or_b32_e32 v12, 0x800000, v2
	v_add_nc_u32_e32 v13, 19, v120
	v_lshlrev_b64_e64 v[8:9], v8, -1
	s_delay_alu instid0(VALU_DEP_3) | instskip(NEXT) | instid1(VALU_DEP_3)
	v_cndmask_b32_e32 v2, v12, v2, vcc_lo
	v_lshlrev_b64_e64 v[12:13], v13, 1
	s_delay_alu instid0(VALU_DEP_3) | instskip(NEXT) | instid1(VALU_DEP_3)
	v_bfi_b32 v123, v9, 0, 0
	v_bfi_b32 v122, v8, 0, v2
	v_lshrrev_b64 v[8:9], v120, v[2:3]
	s_delay_alu instid0(VALU_DEP_2) | instskip(NEXT) | instid1(VALU_DEP_2)
	v_cmp_eq_u64_e64 s14, v[122:123], v[12:13]
	v_mov_b64_e32 v[12:13], v[8:9]
	s_and_saveexec_b32 s76, s14
; %bb.2347:                             ;   in Loop: Header=BB2_1889 Depth=3
	v_bfe_u32 v2, v8, 20, 1
	s_delay_alu instid0(VALU_DEP_1) | instskip(NEXT) | instid1(VALU_DEP_1)
	v_add_nc_u64_e32 v[12:13], v[8:9], v[2:3]
	v_add_nc_u64_e32 v[12:13], -1, v[12:13]
; %bb.2348:                             ;   in Loop: Header=BB2_1889 Depth=3
	s_or_b32 exec_lo, exec_lo, s76
	v_add_nc_u32_e32 v2, 0xffffff81, v111
	v_lshrrev_b32_e32 v9, 23, v8
	s_mov_b32 s14, exec_lo
	s_delay_alu instid0(VALU_DEP_2) | instskip(NEXT) | instid1(VALU_DEP_1)
	v_cndmask_b32_e64 v2, v2, 0xffffff82, vcc_lo
	v_add3_u32 v13, v120, v2, v9
	v_and_b32_e32 v2, 0xfffff, v12
                                        ; implicit-def: $vgpr12
	s_delay_alu instid0(VALU_DEP_1) | instskip(NEXT) | instid1(VALU_DEP_1)
	v_dual_add_nc_u32 v111, 6, v13 :: v_dual_add_nc_u32 v2, v2, v8
                                        ; implicit-def: $vgpr8_vgpr9
	v_cmpx_ne_u32_e32 0, v111
	s_xor_b32 s14, exec_lo, s14
; %bb.2349:                             ;   in Loop: Header=BB2_1889 Depth=3
	s_delay_alu instid0(VALU_DEP_2) | instskip(SKIP_1) | instid1(VALU_DEP_1)
	v_cmp_lt_u64_e32 vcc_lo, 0xffffff, v[2:3]
	v_add_nc_u32_e32 v8, 7, v13
	v_cndmask_b32_e32 v12, v111, v8, vcc_lo
	v_cndmask_b32_e64 v8, 0, 1, vcc_lo
	s_delay_alu instid0(VALU_DEP_1)
	v_lshrrev_b64 v[8:9], v8, v[2:3]
; %bb.2350:                             ;   in Loop: Header=BB2_1889 Depth=3
	s_and_not1_saveexec_b32 s14, s14
; %bb.2351:                             ;   in Loop: Header=BB2_1889 Depth=3
	v_mov_b64_e32 v[8:9], v[2:3]
	v_bfe_u32 v12, v2, 23, 1
; %bb.2352:                             ;   in Loop: Header=BB2_1889 Depth=3
	s_or_b32 exec_lo, exec_lo, s14
	s_delay_alu instid0(VALU_DEP_2) | instskip(NEXT) | instid1(VALU_DEP_2)
	v_lshrrev_b64 v[8:9], 20, v[8:9]
	v_cmp_gt_i32_e32 vcc_lo, 16, v12
	v_min_i32_e32 v2, 15, v12
	v_cmp_eq_u32_e64 s14, 0, v12
	s_delay_alu instid0(VALU_DEP_2) | instskip(SKIP_1) | instid1(VALU_DEP_2)
	v_dual_cndmask_b32 v9, 0, v9 :: v_dual_lshlrev_b32 v2, 3, v2
	v_cndmask_b32_e32 v8, 7, v8, vcc_lo
	v_and_b32_e32 v2, 0xf8, v2
	s_delay_alu instid0(VALU_DEP_2) | instskip(NEXT) | instid1(VALU_DEP_2)
	v_cmp_eq_u64_e32 vcc_lo, 0, v[8:9]
	v_and_or_b32 v2, v8, 7, v2
	s_and_b32 s14, s14, vcc_lo
	s_delay_alu instid0(VALU_DEP_1) | instid1(SALU_CYCLE_1)
	v_cndmask_b32_e64 v2, v2, 0, s14
	s_delay_alu instid0(VALU_DEP_1)
	v_or_b32_e32 v12, v2, v110
.LBB2_2353:                             ;   in Loop: Header=BB2_1889 Depth=3
	s_or_b32 exec_lo, exec_lo, s45
                                        ; implicit-def: $vgpr110
.LBB2_2354:                             ;   in Loop: Header=BB2_1889 Depth=3
	s_and_not1_saveexec_b32 s14, s44
; %bb.2355:                             ;   in Loop: Header=BB2_1889 Depth=3
	v_or_b32_e32 v12, 0x7e, v110
; %bb.2356:                             ;   in Loop: Header=BB2_1889 Depth=3
	s_or_b32 exec_lo, exec_lo, s14
                                        ; implicit-def: $vgpr9
.LBB2_2357:                             ;   in Loop: Header=BB2_1889 Depth=3
	s_and_not1_saveexec_b32 s14, s15
; %bb.2358:                             ;   in Loop: Header=BB2_1889 Depth=3
	v_or_b32_e32 v12, 0x7f, v9
; %bb.2359:                             ;   in Loop: Header=BB2_1889 Depth=3
	s_or_b32 exec_lo, exec_lo, s14
	v_mov_b32_e32 v8, 0
	s_mov_b32 s14, exec_lo
	v_cmpx_lt_u64_e64 s[22:23], v[14:15]
	s_cbranch_execz .LBB2_2367
; %bb.2360:                             ;   in Loop: Header=BB2_1889 Depth=3
	v_lshrrev_b32_e32 v9, 24, v15
	v_bfrev_b32_e32 v8, 1
	s_mov_b32 s15, exec_lo
	s_delay_alu instid0(VALU_DEP_2)
	v_cmpx_ne_u32_e32 0x80, v9
	s_cbranch_execz .LBB2_2366
; %bb.2361:                             ;   in Loop: Header=BB2_1889 Depth=3
	v_bfe_u32 v13, v15, 24, 7
	v_mov_b32_e32 v8, 0x7f800001
	s_mov_b32 s44, exec_lo
	s_delay_alu instid0(VALU_DEP_2)
	v_cmpx_ne_u32_e32 0x7f, v13
	s_cbranch_execz .LBB2_2365
; %bb.2362:                             ;   in Loop: Header=BB2_1889 Depth=3
	v_and_b32_e32 v2, 7, v9
	v_lshrrev_b32_e32 v8, 3, v13
	s_mov_b32 s45, exec_lo
	v_cmpx_gt_u32_e32 8, v13
; %bb.2363:                             ;   in Loop: Header=BB2_1889 Depth=3
	s_delay_alu instid0(VALU_DEP_3) | instskip(NEXT) | instid1(VALU_DEP_1)
	v_clz_i32_u32_e32 v8, v2
	v_min_u32_e32 v8, 32, v8
	s_delay_alu instid0(VALU_DEP_1) | instskip(NEXT) | instid1(VALU_DEP_1)
	v_subrev_nc_u32_e32 v13, 28, v8
	v_lshlrev_b64_e32 v[14:15], v13, v[2:3]
	s_delay_alu instid0(VALU_DEP_1)
	v_dual_sub_nc_u32 v8, 29, v8 :: v_dual_bitop2_b32 v2, 7, v14 bitop3:0x40
; %bb.2364:                             ;   in Loop: Header=BB2_1889 Depth=3
	s_or_b32 exec_lo, exec_lo, s45
	s_delay_alu instid0(VALU_DEP_1) | instskip(NEXT) | instid1(VALU_DEP_2)
	v_dual_lshlrev_b32 v9, 24, v9 :: v_dual_lshlrev_b32 v2, 20, v2
	v_lshl_add_u32 v8, v8, 23, 0x3c000000
	s_delay_alu instid0(VALU_DEP_2) | instskip(NEXT) | instid1(VALU_DEP_1)
	v_and_b32_e32 v9, 0x80000000, v9
	v_or3_b32 v8, v2, v9, v8
.LBB2_2365:                             ;   in Loop: Header=BB2_1889 Depth=3
	s_or_b32 exec_lo, exec_lo, s44
.LBB2_2366:                             ;   in Loop: Header=BB2_1889 Depth=3
	s_delay_alu instid0(SALU_CYCLE_1)
	s_or_b32 exec_lo, exec_lo, s15
.LBB2_2367:                             ;   in Loop: Header=BB2_1889 Depth=3
	s_delay_alu instid0(SALU_CYCLE_1) | instskip(SKIP_3) | instid1(VALU_DEP_3)
	s_or_b32 exec_lo, exec_lo, s14
	v_lshrrev_b32_e32 v2, 24, v11
	v_bfe_u32 v9, v11, 24, 7
	v_cmp_gt_u64_e64 s15, s[24:25], v[10:11]
	v_cmp_eq_u32_e64 s14, 0x80, v2
	s_delay_alu instid0(VALU_DEP_3) | instskip(NEXT) | instid1(VALU_DEP_2)
	v_cmp_eq_u32_e32 vcc_lo, 0x7f, v9
	v_cndmask_b32_e64 v13, 0x7f800001, v77, s14
	s_or_b32 s14, s14, vcc_lo
	s_delay_alu instid0(VALU_DEP_1) | instskip(SKIP_1) | instid1(SALU_CYCLE_1)
	v_cndmask_b32_e64 v10, v13, 0, s15
	s_nor_b32 s15, s15, s14
	s_and_saveexec_b32 s14, s15
	s_cbranch_execz .LBB2_2369
; %bb.2368:                             ;   in Loop: Header=BB2_1889 Depth=3
	v_and_b32_e32 v13, 7, v2
	v_cmp_gt_u32_e32 vcc_lo, 8, v9
	s_delay_alu instid0(VALU_DEP_2) | instskip(NEXT) | instid1(VALU_DEP_1)
	v_clz_i32_u32_e32 v10, v13
	v_min_u32_e32 v14, 32, v10
	s_delay_alu instid0(VALU_DEP_1) | instskip(NEXT) | instid1(VALU_DEP_1)
	v_subrev_nc_u32_e32 v10, 28, v14
	v_lshlrev_b64_e32 v[10:11], v10, v[2:3]
	s_delay_alu instid0(VALU_DEP_1) | instskip(NEXT) | instid1(VALU_DEP_1)
	v_dual_lshrrev_b32 v11, 3, v9 :: v_dual_bitop2_b32 v9, 7, v10 bitop3:0x40
	v_dual_cndmask_b32 v9, v13, v9 :: v_dual_sub_nc_u32 v14, 29, v14
	v_lshlrev_b32_e32 v2, 24, v2
	s_delay_alu instid0(VALU_DEP_2) | instskip(NEXT) | instid1(VALU_DEP_2)
	v_dual_cndmask_b32 v10, v11, v14 :: v_dual_lshlrev_b32 v9, 20, v9
	v_and_b32_e32 v2, 0x80000000, v2
	s_delay_alu instid0(VALU_DEP_2) | instskip(NEXT) | instid1(VALU_DEP_1)
	v_lshl_add_u32 v10, v10, 23, 0x3c000000
	v_or3_b32 v10, v9, v2, v10
.LBB2_2369:                             ;   in Loop: Header=BB2_1889 Depth=3
	s_or_b32 exec_lo, exec_lo, s14
	s_delay_alu instid0(VALU_DEP_1) | instskip(NEXT) | instid1(VALU_DEP_1)
	v_add_f32_e32 v8, v8, v10
	v_and_b32_e32 v2, 0x7f800000, v8
	v_lshrrev_b32_e32 v9, 24, v8
	s_delay_alu instid0(VALU_DEP_2) | instskip(SKIP_1) | instid1(SALU_CYCLE_1)
	v_cmp_ne_u64_e32 vcc_lo, 0x7f800000, v[2:3]
                                        ; implicit-def: $vgpr2
	s_and_saveexec_b32 s14, vcc_lo
	s_xor_b32 s15, exec_lo, s14
	s_cbranch_execz .LBB2_2383
; %bb.2370:                             ;   in Loop: Header=BB2_1889 Depth=3
	v_and_b32_e32 v2, 0x7fffffff, v8
	v_and_b32_e32 v13, 0x80, v9
	s_delay_alu instid0(VALU_DEP_2) | instskip(SKIP_1) | instid1(SALU_CYCLE_1)
	v_cmp_gt_u64_e32 vcc_lo, 0x43e00001, v[2:3]
                                        ; implicit-def: $vgpr2
	s_and_saveexec_b32 s14, vcc_lo
	s_xor_b32 s44, exec_lo, s14
	s_cbranch_execz .LBB2_2380
; %bb.2371:                             ;   in Loop: Header=BB2_1889 Depth=3
	v_mov_b32_e32 v2, 0
	s_mov_b32 s45, exec_lo
	v_cmpx_ne_u32_e32 0, v8
	s_cbranch_execz .LBB2_2379
; %bb.2372:                             ;   in Loop: Header=BB2_1889 Depth=3
	v_bfe_u32 v14, v8, 23, 8
	s_delay_alu instid0(VALU_DEP_1) | instskip(SKIP_1) | instid1(VALU_DEP_2)
	v_sub_nc_u32_e32 v2, 0x79, v14
	v_cmp_gt_u32_e32 vcc_lo, 0x7a, v14
	v_cndmask_b32_e32 v2, 0, v2, vcc_lo
	v_cmp_eq_u32_e32 vcc_lo, 0, v14
	s_delay_alu instid0(VALU_DEP_2) | instskip(SKIP_1) | instid1(VALU_DEP_2)
	v_cndmask_b32_e64 v15, v2, 0x78, vcc_lo
	v_and_b32_e32 v2, 0x7fffff, v8
	v_add_nc_u32_e32 v8, 20, v15
	s_delay_alu instid0(VALU_DEP_2) | instskip(SKIP_1) | instid1(VALU_DEP_3)
	v_or_b32_e32 v10, 0x800000, v2
	v_add_nc_u32_e32 v11, 19, v15
	v_lshlrev_b64_e64 v[8:9], v8, -1
	s_delay_alu instid0(VALU_DEP_3) | instskip(NEXT) | instid1(VALU_DEP_3)
	v_cndmask_b32_e32 v2, v10, v2, vcc_lo
	v_lshlrev_b64_e64 v[10:11], v11, 1
	s_delay_alu instid0(VALU_DEP_3) | instskip(NEXT) | instid1(VALU_DEP_3)
	v_bfi_b32 v111, v9, 0, 0
	v_bfi_b32 v110, v8, 0, v2
	v_lshrrev_b64 v[8:9], v15, v[2:3]
	s_delay_alu instid0(VALU_DEP_2) | instskip(NEXT) | instid1(VALU_DEP_2)
	v_cmp_eq_u64_e64 s14, v[110:111], v[10:11]
	v_mov_b64_e32 v[10:11], v[8:9]
	s_and_saveexec_b32 s76, s14
; %bb.2373:                             ;   in Loop: Header=BB2_1889 Depth=3
	v_bfe_u32 v2, v8, 20, 1
	s_delay_alu instid0(VALU_DEP_1) | instskip(NEXT) | instid1(VALU_DEP_1)
	v_add_nc_u64_e32 v[10:11], v[8:9], v[2:3]
	v_add_nc_u64_e32 v[10:11], -1, v[10:11]
; %bb.2374:                             ;   in Loop: Header=BB2_1889 Depth=3
	s_or_b32 exec_lo, exec_lo, s76
	v_add_nc_u32_e32 v2, 0xffffff81, v14
	v_lshrrev_b32_e32 v9, 23, v8
	s_mov_b32 s14, exec_lo
	s_delay_alu instid0(VALU_DEP_2) | instskip(NEXT) | instid1(VALU_DEP_1)
	v_cndmask_b32_e64 v2, v2, 0xffffff82, vcc_lo
	v_add3_u32 v11, v15, v2, v9
	v_and_b32_e32 v2, 0xfffff, v10
                                        ; implicit-def: $vgpr10
	s_delay_alu instid0(VALU_DEP_1) | instskip(NEXT) | instid1(VALU_DEP_1)
	v_dual_add_nc_u32 v14, 6, v11 :: v_dual_add_nc_u32 v2, v2, v8
                                        ; implicit-def: $vgpr8_vgpr9
	v_cmpx_ne_u32_e32 0, v14
	s_xor_b32 s14, exec_lo, s14
; %bb.2375:                             ;   in Loop: Header=BB2_1889 Depth=3
	s_delay_alu instid0(VALU_DEP_2) | instskip(SKIP_1) | instid1(VALU_DEP_1)
	v_cmp_lt_u64_e32 vcc_lo, 0xffffff, v[2:3]
	v_add_nc_u32_e32 v8, 7, v11
	v_cndmask_b32_e32 v10, v14, v8, vcc_lo
	v_cndmask_b32_e64 v8, 0, 1, vcc_lo
	s_delay_alu instid0(VALU_DEP_1)
	v_lshrrev_b64 v[8:9], v8, v[2:3]
; %bb.2376:                             ;   in Loop: Header=BB2_1889 Depth=3
	s_and_not1_saveexec_b32 s14, s14
; %bb.2377:                             ;   in Loop: Header=BB2_1889 Depth=3
	v_mov_b64_e32 v[8:9], v[2:3]
	v_bfe_u32 v10, v2, 23, 1
; %bb.2378:                             ;   in Loop: Header=BB2_1889 Depth=3
	s_or_b32 exec_lo, exec_lo, s14
	s_delay_alu instid0(VALU_DEP_2) | instskip(NEXT) | instid1(VALU_DEP_2)
	v_lshrrev_b64 v[8:9], 20, v[8:9]
	v_cmp_gt_i32_e32 vcc_lo, 16, v10
	v_min_i32_e32 v2, 15, v10
	v_cmp_eq_u32_e64 s14, 0, v10
	s_delay_alu instid0(VALU_DEP_2) | instskip(SKIP_1) | instid1(VALU_DEP_2)
	v_dual_cndmask_b32 v9, 0, v9 :: v_dual_lshlrev_b32 v2, 3, v2
	v_cndmask_b32_e32 v8, 7, v8, vcc_lo
	v_and_b32_e32 v2, 0xf8, v2
	s_delay_alu instid0(VALU_DEP_2) | instskip(NEXT) | instid1(VALU_DEP_2)
	v_cmp_eq_u64_e32 vcc_lo, 0, v[8:9]
	v_and_or_b32 v2, v8, 7, v2
	s_and_b32 s14, s14, vcc_lo
	s_delay_alu instid0(VALU_DEP_1) | instid1(SALU_CYCLE_1)
	v_cndmask_b32_e64 v2, v2, 0, s14
	s_delay_alu instid0(VALU_DEP_1)
	v_or_b32_e32 v2, v2, v13
.LBB2_2379:                             ;   in Loop: Header=BB2_1889 Depth=3
	s_or_b32 exec_lo, exec_lo, s45
                                        ; implicit-def: $vgpr13
.LBB2_2380:                             ;   in Loop: Header=BB2_1889 Depth=3
	s_and_not1_saveexec_b32 s14, s44
; %bb.2381:                             ;   in Loop: Header=BB2_1889 Depth=3
	v_or_b32_e32 v2, 0x7e, v13
; %bb.2382:                             ;   in Loop: Header=BB2_1889 Depth=3
	s_or_b32 exec_lo, exec_lo, s14
                                        ; implicit-def: $vgpr9
.LBB2_2383:                             ;   in Loop: Header=BB2_1889 Depth=3
	s_and_not1_saveexec_b32 s14, s15
; %bb.2384:                             ;   in Loop: Header=BB2_1889 Depth=3
	v_or_b32_e32 v2, 0x7f, v9
; %bb.2385:                             ;   in Loop: Header=BB2_1889 Depth=3
	s_or_b32 exec_lo, exec_lo, s14
	v_lshl_or_b32 v8, v73, 8, v72
	v_dual_lshlrev_b32 v9, 16, v62 :: v_dual_lshlrev_b32 v10, 24, v63
	v_lshl_or_b32 v11, v95, 8, v94
	v_dual_lshlrev_b32 v13, 16, v104 :: v_dual_lshlrev_b32 v14, 24, v105
	;; [unrolled: 2-line block ×3, first 2 shown]
	v_dual_lshlrev_b32 v2, 24, v2 :: v_dual_lshlrev_b32 v12, 16, v12
	v_lshl_or_b32 v60, v61, 8, v60
	v_or3_b32 v9, v8, v9, v10
	v_or3_b32 v8, v11, v13, v14
	;; [unrolled: 1-line block ×3, first 2 shown]
	s_mov_b64 s[44:45], 0
	v_or3_b32 v11, v60, v12, v2
	s_mov_b32 s76, -1
.LBB2_2386:                             ;   Parent Loop BB2_47 Depth=1
                                        ;     Parent Loop BB2_1811 Depth=2
                                        ;       Parent Loop BB2_1889 Depth=3
                                        ; =>      This Inner Loop Header: Depth=4
	s_cmp_eq_u32 s44, 1
	s_cselect_b32 vcc_lo, -1, 0
	s_cmp_eq_u32 s44, 0
	s_wait_xcnt 0x0
	v_dual_cndmask_b32 v13, v45, v47 :: v_dual_cndmask_b32 v12, v44, v46
	s_cselect_b32 s14, -1, 0
	s_and_b32 s15, exec_lo, s76
	s_mov_b64 s[44:45], 1
	s_mov_b32 s76, 0
	v_add_nc_u64_e32 v[14:15], 0x200, v[12:13]
	global_store_b128 v[12:13], v[8:11], off th:TH_STORE_NT
	v_dual_cndmask_b32 v47, v47, v15 :: v_dual_cndmask_b32 v46, v46, v14
	v_dual_cndmask_b32 v45, v45, v15, s14 :: v_dual_cndmask_b32 v44, v44, v14, s14
	s_mov_b32 vcc_lo, s15
	s_cbranch_vccnz .LBB2_2386
; %bb.2387:                             ;   in Loop: Header=BB2_1889 Depth=3
	v_dual_sub_nc_u32 v115, v115, v66 :: v_dual_sub_nc_u32 v93, v93, v36
	v_add_nc_u64_e32 v[56:57], v[56:57], v[84:85]
	v_add_nc_u64_e32 v[58:59], v[58:59], v[84:85]
	;; [unrolled: 1-line block ×3, first 2 shown]
	s_delay_alu instid0(VALU_DEP_4)
	v_cmp_gt_i32_e32 vcc_lo, 16, v115
	v_add_nc_u64_e32 v[46:47], v[46:47], v[80:81]
	s_or_b32 s75, vcc_lo, s75
	s_wait_xcnt 0x0
	s_and_not1_b32 exec_lo, exec_lo, s75
	s_cbranch_execnz .LBB2_1889
; %bb.2388:                             ;   in Loop: Header=BB2_1811 Depth=2
	s_or_b32 exec_lo, exec_lo, s75
.LBB2_2389:                             ;   in Loop: Header=BB2_1811 Depth=2
	s_delay_alu instid0(SALU_CYCLE_1) | instskip(SKIP_3) | instid1(VALU_DEP_1)
	s_or_b32 exec_lo, exec_lo, s74
	v_dual_mov_b32 v46, 0 :: v_dual_bitop2_b32 v8, 15, v113 bitop3:0x40
	s_mov_b32 s14, 0
	s_mov_b32 s74, exec_lo
                                        ; implicit-def: $vgpr47
                                        ; implicit-def: $vgpr56
                                        ; implicit-def: $vgpr2
	v_cndmask_b32_e64 v115, v92, v8, s13
	s_delay_alu instid0(VALU_DEP_1)
	v_cmpx_ne_u32_e32 0, v115
	s_cbranch_execz .LBB2_2895
; %bb.2390:                             ;   in Loop: Header=BB2_1811 Depth=2
	v_cmp_lt_i32_e32 vcc_lo, 0, v93
	s_mov_b32 s75, exec_lo
	v_dual_ashrrev_i32 v10, 31, v115 :: v_dual_sub_nc_u32 v8, v92, v8
	s_delay_alu instid0(VALU_DEP_1) | instskip(NEXT) | instid1(VALU_DEP_1)
	v_dual_cndmask_b32 v2, 0, v36, vcc_lo :: v_dual_lshrrev_b32 v10, 23, v10
	v_sub_nc_u32_e32 v2, v2, v93
	s_delay_alu instid0(VALU_DEP_1) | instskip(NEXT) | instid1(VALU_DEP_1)
	v_lshl_add_u32 v2, v2, 5, v88
	v_ashrrev_i32_e32 v9, 31, v2
	s_delay_alu instid0(VALU_DEP_1) | instskip(NEXT) | instid1(VALU_DEP_1)
	v_lshrrev_b32_e32 v9, 27, v9
	v_dual_add_nc_u32 v9, v2, v9 :: v_dual_add_nc_u32 v10, v115, v10
	s_delay_alu instid0(VALU_DEP_1) | instskip(SKIP_1) | instid1(VALU_DEP_3)
	v_and_b32_e32 v11, 0xffffffe0, v9
	v_ashrrev_i32_e32 v9, 5, v9
	v_and_b32_e32 v93, 0xfffffe00, v10
	s_delay_alu instid0(VALU_DEP_3) | instskip(NEXT) | instid1(VALU_DEP_1)
	v_dual_ashrrev_i32 v10, 9, v10 :: v_dual_sub_nc_u32 v94, v2, v11
	v_dual_sub_nc_u32 v92, v115, v93 :: v_dual_lshlrev_b32 v2, 4, v94
	s_delay_alu instid0(VALU_DEP_1) | instskip(SKIP_1) | instid1(VALU_DEP_3)
	v_lshl_add_u32 v2, v9, 9, v2
	v_cndmask_b32_e64 v8, 0, v8, s13
	v_cmp_lt_i32_e64 s13, 15, v92
	s_delay_alu instid0(VALU_DEP_3) | instskip(NEXT) | instid1(VALU_DEP_2)
	v_sub_nc_u32_e32 v104, v115, v2
	v_add_co_ci_u32_e64 v10, null, 0, v10, s13
	s_delay_alu instid0(VALU_DEP_1) | instskip(NEXT) | instid1(VALU_DEP_3)
	v_dual_add_nc_u32 v91, v8, v91 :: v_dual_sub_nc_u32 v95, v10, v9
	v_cmpx_lt_i32_e32 15, v104
	s_cbranch_execz .LBB2_2892
; %bb.2391:                             ;   in Loop: Header=BB2_1811 Depth=2
	s_trap 2
	ds_load_b64 v[8:9], v0
	v_add_nc_u32_e32 v10, v2, v91
	s_mov_b32 s76, 0
	s_delay_alu instid0(VALU_DEP_1) | instskip(NEXT) | instid1(VALU_DEP_1)
	v_ashrrev_i32_e32 v11, 31, v10
	v_add_nc_u64_e32 v[44:45], v[10:11], v[40:41]
	v_add_nc_u64_e32 v[46:47], v[10:11], v[42:43]
	;; [unrolled: 1-line block ×3, first 2 shown]
	s_wait_dscnt 0x0
	v_add_nc_u64_e32 v[58:59], v[8:9], v[10:11]
.LBB2_2392:                             ;   Parent Loop BB2_47 Depth=1
                                        ;     Parent Loop BB2_1811 Depth=2
                                        ; =>    This Loop Header: Depth=3
                                        ;         Child Loop BB2_2889 Depth 4
	global_load_b128 v[12:15], v[56:57], off th:TH_LOAD_NT
	global_load_b128 v[8:11], v[58:59], off th:TH_LOAD_NT
	v_mov_b32_e32 v2, 0
	s_mov_b32 s14, exec_lo
	s_wait_loadcnt 0x1
	v_and_b32_e32 v60, 0xff, v12
	s_wait_xcnt 0x0
	s_delay_alu instid0(VALU_DEP_1)
	v_cmpx_ne_u16_e32 0, v60
	s_cbranch_execz .LBB2_2398
; %bb.2393:                             ;   in Loop: Header=BB2_2392 Depth=3
	v_bfrev_b32_e32 v2, 1
	s_mov_b32 s15, exec_lo
	v_cmpx_ne_u16_e32 0x80, v60
	s_cbranch_execz .LBB2_2397
; %bb.2394:                             ;   in Loop: Header=BB2_2392 Depth=3
	v_and_b32_e32 v60, 0x7f, v12
	v_mov_b32_e32 v2, 0x7f800001
	s_mov_b32 s44, exec_lo
	s_delay_alu instid0(VALU_DEP_2)
	v_cmpx_ne_u32_e32 0x7f, v60
	s_cbranch_execz .LBB2_2396
; %bb.2395:                             ;   in Loop: Header=BB2_2392 Depth=3
	v_cmp_gt_u32_e32 vcc_lo, 8, v60
	v_and_b32_e32 v2, 7, v12
	s_delay_alu instid0(VALU_DEP_1) | instskip(NEXT) | instid1(VALU_DEP_1)
	v_clz_i32_u32_e32 v2, v2
	v_min_u32_e32 v2, 32, v2
	v_lshrrev_b32_e32 v18, 3, v60
	s_delay_alu instid0(VALU_DEP_2) | instskip(SKIP_1) | instid1(VALU_DEP_1)
	v_subrev_nc_u32_e32 v19, 28, v2
	v_sub_nc_u32_e32 v2, 29, v2
	v_dual_cndmask_b32 v2, v18, v2, vcc_lo :: v_dual_cndmask_b32 v18, 0, v19, vcc_lo
	s_delay_alu instid0(VALU_DEP_1) | instskip(SKIP_1) | instid1(VALU_DEP_3)
	v_lshlrev_b64_e32 v[60:61], v18, v[12:13]
	v_lshlrev_b32_e32 v18, 24, v12
	v_lshl_add_u32 v2, v2, 23, 0x3c000000
	s_delay_alu instid0(VALU_DEP_2) | instskip(NEXT) | instid1(VALU_DEP_4)
	v_and_b32_e32 v18, 0x80000000, v18
	v_lshlrev_b32_e32 v19, 20, v60
	s_delay_alu instid0(VALU_DEP_1) | instskip(NEXT) | instid1(VALU_DEP_1)
	v_and_b32_e32 v19, 0x700000, v19
	v_or3_b32 v2, v19, v18, v2
.LBB2_2396:                             ;   in Loop: Header=BB2_2392 Depth=3
	s_or_b32 exec_lo, exec_lo, s44
.LBB2_2397:                             ;   in Loop: Header=BB2_2392 Depth=3
	s_delay_alu instid0(SALU_CYCLE_1)
	s_or_b32 exec_lo, exec_lo, s15
.LBB2_2398:                             ;   in Loop: Header=BB2_2392 Depth=3
	s_delay_alu instid0(SALU_CYCLE_1) | instskip(SKIP_4) | instid1(VALU_DEP_1)
	s_or_b32 exec_lo, exec_lo, s14
	s_wait_loadcnt 0x0
	v_and_b32_e32 v61, 0xff, v8
	s_mov_b32 s14, 0
	s_mov_b32 s15, exec_lo
	v_cmpx_lt_i16_e32 0x7f, v61
	s_xor_b32 s15, exec_lo, s15
	s_cbranch_execz .LBB2_2433
; %bb.2399:                             ;   in Loop: Header=BB2_2392 Depth=3
	s_mov_b32 s14, -1
	s_mov_b32 s44, exec_lo
	v_cmpx_eq_u16_e32 0x80, v61
; %bb.2400:                             ;   in Loop: Header=BB2_2392 Depth=3
	s_xor_b32 s14, exec_lo, -1
; %bb.2401:                             ;   in Loop: Header=BB2_2392 Depth=3
	s_or_b32 exec_lo, exec_lo, s44
	s_delay_alu instid0(SALU_CYCLE_1)
	s_and_b32 s14, s14, exec_lo
                                        ; implicit-def: $vgpr61
	s_or_saveexec_b32 s15, s15
	v_bfrev_b32_e32 v60, 1
	s_xor_b32 exec_lo, exec_lo, s15
	s_cbranch_execnz .LBB2_2434
.LBB2_2402:                             ;   in Loop: Header=BB2_2392 Depth=3
	s_or_b32 exec_lo, exec_lo, s15
	s_and_saveexec_b32 s15, s14
	s_cbranch_execz .LBB2_2404
.LBB2_2403:                             ;   in Loop: Header=BB2_2392 Depth=3
	v_and_b32_e32 v19, 0x7f, v8
	v_bfe_u32 v60, v8, 3, 4
	s_delay_alu instid0(VALU_DEP_2) | instskip(SKIP_1) | instid1(VALU_DEP_1)
	v_cmp_gt_u32_e32 vcc_lo, 8, v19
	v_and_b32_e32 v18, 7, v8
	v_clz_i32_u32_e32 v18, v18
	s_delay_alu instid0(VALU_DEP_1) | instskip(NEXT) | instid1(VALU_DEP_1)
	v_min_u32_e32 v18, 32, v18
	v_subrev_nc_u32_e32 v61, 28, v18
	v_sub_nc_u32_e32 v18, 29, v18
	s_delay_alu instid0(VALU_DEP_1) | instskip(SKIP_1) | instid1(VALU_DEP_2)
	v_dual_cndmask_b32 v18, v60, v18, vcc_lo :: v_dual_cndmask_b32 v60, 0, v61, vcc_lo
	v_cmp_ne_u32_e32 vcc_lo, 0x7f, v19
	v_lshlrev_b64_e32 v[60:61], v60, v[8:9]
	v_lshlrev_b32_e32 v61, 24, v8
	s_delay_alu instid0(VALU_DEP_1) | instskip(NEXT) | instid1(VALU_DEP_3)
	v_and_b32_e32 v61, 0x80000000, v61
	v_lshlrev_b32_e32 v60, 20, v60
	v_lshl_add_u32 v18, v18, 23, 0x3c000000
	s_delay_alu instid0(VALU_DEP_2) | instskip(NEXT) | instid1(VALU_DEP_1)
	v_and_b32_e32 v60, 0x700000, v60
	v_or3_b32 v18, v60, v61, v18
	s_delay_alu instid0(VALU_DEP_1)
	v_cndmask_b32_e32 v60, 0x7f800001, v18, vcc_lo
.LBB2_2404:                             ;   in Loop: Header=BB2_2392 Depth=3
	s_or_b32 exec_lo, exec_lo, s15
	s_delay_alu instid0(VALU_DEP_1) | instskip(SKIP_1) | instid1(VALU_DEP_1)
	v_add_f32_e32 v60, v2, v60
                                        ; implicit-def: $vgpr105
	s_mov_b32 s14, exec_lo
	v_and_b32_e32 v2, 0x7f800000, v60
	v_lshrrev_b32_e32 v61, 24, v60
	s_delay_alu instid0(VALU_DEP_2)
	v_cmpx_ne_u64_e32 0x7f800000, v[2:3]
	s_xor_b32 s15, exec_lo, s14
	s_cbranch_execz .LBB2_2418
; %bb.2405:                             ;   in Loop: Header=BB2_2392 Depth=3
	v_and_b32_e32 v2, 0x7fffffff, v60
	v_and_b32_e32 v72, 0x80, v61
                                        ; implicit-def: $vgpr105
	s_mov_b32 s14, exec_lo
	s_delay_alu instid0(VALU_DEP_2)
	v_cmpx_gt_u64_e32 0x43e00001, v[2:3]
	s_xor_b32 s44, exec_lo, s14
	s_cbranch_execz .LBB2_2415
; %bb.2406:                             ;   in Loop: Header=BB2_2392 Depth=3
	v_mov_b32_e32 v105, 0
	s_mov_b32 s45, exec_lo
	v_cmpx_ne_u32_e32 0, v60
	s_cbranch_execz .LBB2_2414
; %bb.2407:                             ;   in Loop: Header=BB2_2392 Depth=3
	v_bfe_u32 v73, v60, 23, 8
	s_delay_alu instid0(VALU_DEP_1) | instskip(SKIP_1) | instid1(VALU_DEP_2)
	v_sub_nc_u32_e32 v2, 0x79, v73
	v_cmp_gt_u32_e32 vcc_lo, 0x7a, v73
	v_cndmask_b32_e32 v2, 0, v2, vcc_lo
	v_cmp_eq_u32_e32 vcc_lo, 0, v73
	s_delay_alu instid0(VALU_DEP_2) | instskip(SKIP_1) | instid1(VALU_DEP_2)
	v_cndmask_b32_e64 v105, v2, 0x78, vcc_lo
	v_and_b32_e32 v2, 0x7fffff, v60
	v_add_nc_u32_e32 v18, 20, v105
	s_delay_alu instid0(VALU_DEP_2) | instskip(NEXT) | instid1(VALU_DEP_2)
	v_or_b32_e32 v19, 0x800000, v2
	v_lshlrev_b64_e64 v[60:61], v18, -1
	s_delay_alu instid0(VALU_DEP_2) | instskip(NEXT) | instid1(VALU_DEP_1)
	v_dual_add_nc_u32 v18, 19, v105 :: v_dual_cndmask_b32 v2, v19, v2, vcc_lo
	v_lshlrev_b64_e64 v[62:63], v18, 1
	s_delay_alu instid0(VALU_DEP_3) | instskip(NEXT) | instid1(VALU_DEP_3)
	v_bfi_b32 v107, v61, 0, 0
	v_bfi_b32 v106, v60, 0, v2
	v_lshrrev_b64 v[60:61], v105, v[2:3]
	s_delay_alu instid0(VALU_DEP_2) | instskip(NEXT) | instid1(VALU_DEP_2)
	v_cmp_eq_u64_e64 s14, v[106:107], v[62:63]
	v_mov_b64_e32 v[62:63], v[60:61]
	s_and_saveexec_b32 s77, s14
; %bb.2408:                             ;   in Loop: Header=BB2_2392 Depth=3
	v_bfe_u32 v2, v60, 20, 1
	s_delay_alu instid0(VALU_DEP_1) | instskip(NEXT) | instid1(VALU_DEP_1)
	v_add_nc_u64_e32 v[62:63], v[60:61], v[2:3]
	v_add_nc_u64_e32 v[62:63], -1, v[62:63]
; %bb.2409:                             ;   in Loop: Header=BB2_2392 Depth=3
	s_or_b32 exec_lo, exec_lo, s77
	v_add_nc_u32_e32 v2, 0xffffff81, v73
	v_lshrrev_b32_e32 v18, 23, v60
	s_mov_b32 s14, exec_lo
	s_delay_alu instid0(VALU_DEP_2) | instskip(NEXT) | instid1(VALU_DEP_1)
	v_cndmask_b32_e64 v2, v2, 0xffffff82, vcc_lo
	v_add3_u32 v63, v105, v2, v18
	v_and_b32_e32 v2, 0xfffff, v62
                                        ; implicit-def: $vgpr62
	s_delay_alu instid0(VALU_DEP_1) | instskip(NEXT) | instid1(VALU_DEP_1)
	v_dual_add_nc_u32 v73, 6, v63 :: v_dual_add_nc_u32 v2, v2, v60
                                        ; implicit-def: $vgpr60_vgpr61
	v_cmpx_ne_u32_e32 0, v73
	s_xor_b32 s14, exec_lo, s14
; %bb.2410:                             ;   in Loop: Header=BB2_2392 Depth=3
	s_delay_alu instid0(VALU_DEP_2) | instskip(SKIP_1) | instid1(VALU_DEP_1)
	v_cmp_lt_u64_e32 vcc_lo, 0xffffff, v[2:3]
	v_add_nc_u32_e32 v18, 7, v63
	v_cndmask_b32_e32 v62, v73, v18, vcc_lo
	v_cndmask_b32_e64 v18, 0, 1, vcc_lo
	s_delay_alu instid0(VALU_DEP_1)
	v_lshrrev_b64 v[60:61], v18, v[2:3]
; %bb.2411:                             ;   in Loop: Header=BB2_2392 Depth=3
	s_and_not1_saveexec_b32 s14, s14
; %bb.2412:                             ;   in Loop: Header=BB2_2392 Depth=3
	v_mov_b64_e32 v[60:61], v[2:3]
	v_bfe_u32 v62, v2, 23, 1
; %bb.2413:                             ;   in Loop: Header=BB2_2392 Depth=3
	s_or_b32 exec_lo, exec_lo, s14
	s_delay_alu instid0(VALU_DEP_2) | instskip(NEXT) | instid1(VALU_DEP_2)
	v_lshrrev_b64 v[60:61], 20, v[60:61]
	v_cmp_gt_i32_e32 vcc_lo, 16, v62
	v_min_i32_e32 v2, 15, v62
	v_cmp_eq_u32_e64 s14, 0, v62
	s_delay_alu instid0(VALU_DEP_2) | instskip(SKIP_1) | instid1(VALU_DEP_2)
	v_dual_cndmask_b32 v61, 0, v61 :: v_dual_lshlrev_b32 v2, 3, v2
	v_cndmask_b32_e32 v60, 7, v60, vcc_lo
	v_and_b32_e32 v2, 0xf8, v2
	s_delay_alu instid0(VALU_DEP_2) | instskip(NEXT) | instid1(VALU_DEP_2)
	v_cmp_eq_u64_e32 vcc_lo, 0, v[60:61]
	v_and_or_b32 v2, v60, 7, v2
	s_and_b32 s14, s14, vcc_lo
	s_delay_alu instid0(VALU_DEP_1) | instid1(SALU_CYCLE_1)
	v_cndmask_b32_e64 v2, v2, 0, s14
	s_delay_alu instid0(VALU_DEP_1)
	v_or_b32_e32 v105, v2, v72
.LBB2_2414:                             ;   in Loop: Header=BB2_2392 Depth=3
	s_or_b32 exec_lo, exec_lo, s45
                                        ; implicit-def: $vgpr72
.LBB2_2415:                             ;   in Loop: Header=BB2_2392 Depth=3
	s_and_not1_saveexec_b32 s14, s44
; %bb.2416:                             ;   in Loop: Header=BB2_2392 Depth=3
	v_or_b32_e32 v105, 0x7e, v72
; %bb.2417:                             ;   in Loop: Header=BB2_2392 Depth=3
	s_or_b32 exec_lo, exec_lo, s14
                                        ; implicit-def: $vgpr61
.LBB2_2418:                             ;   in Loop: Header=BB2_2392 Depth=3
	s_and_not1_saveexec_b32 s14, s15
; %bb.2419:                             ;   in Loop: Header=BB2_2392 Depth=3
	v_or_b32_e32 v105, 0x7f, v61
; %bb.2420:                             ;   in Loop: Header=BB2_2392 Depth=3
	s_or_b32 exec_lo, exec_lo, s14
	v_lshrrev_b16 v2, 8, v12
	v_mov_b32_e32 v60, 0
	s_mov_b32 s14, exec_lo
	s_delay_alu instid0(VALU_DEP_2)
	v_cmpx_ne_u16_e32 0, v2
	s_cbranch_execz .LBB2_2428
; %bb.2421:                             ;   in Loop: Header=BB2_2392 Depth=3
	v_bfrev_b32_e32 v60, 1
	s_mov_b32 s15, exec_lo
	v_cmpx_ne_u16_e32 0x80, v2
	s_cbranch_execz .LBB2_2427
; %bb.2422:                             ;   in Loop: Header=BB2_2392 Depth=3
	v_and_b32_e32 v2, 0xffff, v2
	v_mov_b32_e32 v60, 0x7f800001
	s_mov_b32 s44, exec_lo
	s_delay_alu instid0(VALU_DEP_2) | instskip(NEXT) | instid1(VALU_DEP_1)
	v_and_b32_e32 v61, 0x7f, v2
	v_cmpx_ne_u32_e32 0x7f, v61
	s_cbranch_execz .LBB2_2426
; %bb.2423:                             ;   in Loop: Header=BB2_2392 Depth=3
	v_dual_lshrrev_b32 v60, 3, v61 :: v_dual_bitop2_b32 v2, 7, v2 bitop3:0x40
	s_mov_b32 s45, exec_lo
	v_cmpx_gt_u32_e32 8, v61
; %bb.2424:                             ;   in Loop: Header=BB2_2392 Depth=3
	s_delay_alu instid0(VALU_DEP_2) | instskip(NEXT) | instid1(VALU_DEP_1)
	v_clz_i32_u32_e32 v18, v2
	v_min_u32_e32 v18, 32, v18
	s_delay_alu instid0(VALU_DEP_1) | instskip(SKIP_1) | instid1(VALU_DEP_2)
	v_subrev_nc_u32_e32 v19, 28, v18
	v_sub_nc_u32_e32 v60, 29, v18
	v_lshlrev_b64_e32 v[62:63], v19, v[2:3]
	s_delay_alu instid0(VALU_DEP_1)
	v_and_b32_e32 v2, 7, v62
; %bb.2425:                             ;   in Loop: Header=BB2_2392 Depth=3
	s_or_b32 exec_lo, exec_lo, s45
	s_delay_alu instid0(VALU_DEP_1) | instskip(SKIP_1) | instid1(VALU_DEP_2)
	v_dual_lshlrev_b32 v18, 16, v12 :: v_dual_lshlrev_b32 v2, 20, v2
	v_lshl_add_u32 v19, v60, 23, 0x3c000000
	v_and_b32_e32 v18, 0x80000000, v18
	s_delay_alu instid0(VALU_DEP_1)
	v_or3_b32 v60, v2, v18, v19
.LBB2_2426:                             ;   in Loop: Header=BB2_2392 Depth=3
	s_or_b32 exec_lo, exec_lo, s44
.LBB2_2427:                             ;   in Loop: Header=BB2_2392 Depth=3
	s_delay_alu instid0(SALU_CYCLE_1)
	s_or_b32 exec_lo, exec_lo, s15
.LBB2_2428:                             ;   in Loop: Header=BB2_2392 Depth=3
	s_delay_alu instid0(SALU_CYCLE_1) | instskip(SKIP_3) | instid1(VALU_DEP_1)
	s_or_b32 exec_lo, exec_lo, s14
	v_lshrrev_b16 v61, 8, v8
	s_mov_b32 s15, 0
	s_mov_b32 s14, exec_lo
	v_cmpx_lt_i16_e32 0x7f, v61
	s_xor_b32 s14, exec_lo, s14
	s_cbranch_execz .LBB2_2435
; %bb.2429:                             ;   in Loop: Header=BB2_2392 Depth=3
	s_mov_b32 s15, -1
	s_mov_b32 s44, exec_lo
	v_cmpx_eq_u16_e32 0x80, v61
; %bb.2430:                             ;   in Loop: Header=BB2_2392 Depth=3
	s_xor_b32 s15, exec_lo, -1
; %bb.2431:                             ;   in Loop: Header=BB2_2392 Depth=3
	s_or_b32 exec_lo, exec_lo, s44
	s_delay_alu instid0(SALU_CYCLE_1)
	s_and_b32 s15, s15, exec_lo
	s_or_saveexec_b32 s14, s14
	v_bfrev_b32_e32 v62, 1
	s_xor_b32 exec_lo, exec_lo, s14
	s_cbranch_execnz .LBB2_2436
.LBB2_2432:                             ;   in Loop: Header=BB2_2392 Depth=3
	s_or_b32 exec_lo, exec_lo, s14
	s_and_saveexec_b32 s14, s15
	s_cbranch_execnz .LBB2_2437
	s_branch .LBB2_2440
.LBB2_2433:                             ;   in Loop: Header=BB2_2392 Depth=3
	s_or_saveexec_b32 s15, s15
	v_bfrev_b32_e32 v60, 1
	s_xor_b32 exec_lo, exec_lo, s15
	s_cbranch_execz .LBB2_2402
.LBB2_2434:                             ;   in Loop: Header=BB2_2392 Depth=3
	v_cmp_ne_u16_e32 vcc_lo, 0, v61
	v_mov_b32_e32 v60, 0
	s_and_not1_b32 s14, s14, exec_lo
	s_and_b32 s44, vcc_lo, exec_lo
	s_delay_alu instid0(SALU_CYCLE_1)
	s_or_b32 s14, s14, s44
	s_or_b32 exec_lo, exec_lo, s15
	s_and_saveexec_b32 s15, s14
	s_cbranch_execnz .LBB2_2403
	s_branch .LBB2_2404
.LBB2_2435:                             ;   in Loop: Header=BB2_2392 Depth=3
	s_or_saveexec_b32 s14, s14
	v_bfrev_b32_e32 v62, 1
	s_xor_b32 exec_lo, exec_lo, s14
	s_cbranch_execz .LBB2_2432
.LBB2_2436:                             ;   in Loop: Header=BB2_2392 Depth=3
	v_cmp_ne_u16_e32 vcc_lo, 0, v61
	v_mov_b32_e32 v62, 0
	s_and_not1_b32 s15, s15, exec_lo
	s_and_b32 s44, vcc_lo, exec_lo
	s_delay_alu instid0(SALU_CYCLE_1)
	s_or_b32 s15, s15, s44
	s_or_b32 exec_lo, exec_lo, s14
	s_and_saveexec_b32 s14, s15
	s_cbranch_execz .LBB2_2440
.LBB2_2437:                             ;   in Loop: Header=BB2_2392 Depth=3
	v_and_b32_e32 v2, 0xffff, v61
	v_mov_b32_e32 v62, 0x7f800001
	s_mov_b32 s15, exec_lo
	s_delay_alu instid0(VALU_DEP_2) | instskip(NEXT) | instid1(VALU_DEP_1)
	v_and_b32_e32 v63, 0x7f, v2
	v_cmpx_ne_u32_e32 0x7f, v63
	s_cbranch_execz .LBB2_2439
; %bb.2438:                             ;   in Loop: Header=BB2_2392 Depth=3
	v_and_b32_e32 v18, 7, v2
	v_cmp_gt_u32_e32 vcc_lo, 8, v63
	s_delay_alu instid0(VALU_DEP_2) | instskip(NEXT) | instid1(VALU_DEP_1)
	v_clz_i32_u32_e32 v19, v18
	v_min_u32_e32 v19, 32, v19
	s_delay_alu instid0(VALU_DEP_1) | instskip(NEXT) | instid1(VALU_DEP_1)
	v_subrev_nc_u32_e32 v62, 28, v19
	v_lshlrev_b64_e32 v[72:73], v62, v[2:3]
	v_lshrrev_b32_e32 v2, 3, v63
	s_delay_alu instid0(VALU_DEP_2) | instskip(NEXT) | instid1(VALU_DEP_1)
	v_dual_sub_nc_u32 v19, 29, v19 :: v_dual_bitop2_b32 v62, 7, v72 bitop3:0x40
	v_dual_cndmask_b32 v2, v2, v19 :: v_dual_lshlrev_b32 v61, 24, v61
	s_delay_alu instid0(VALU_DEP_2) | instskip(NEXT) | instid1(VALU_DEP_2)
	v_cndmask_b32_e32 v18, v18, v62, vcc_lo
	v_and_b32_e32 v19, 0x80000000, v61
	s_delay_alu instid0(VALU_DEP_3) | instskip(NEXT) | instid1(VALU_DEP_3)
	v_lshl_add_u32 v2, v2, 23, 0x3c000000
	v_lshlrev_b32_e32 v18, 20, v18
	s_delay_alu instid0(VALU_DEP_1)
	v_or3_b32 v62, v18, v19, v2
.LBB2_2439:                             ;   in Loop: Header=BB2_2392 Depth=3
	s_or_b32 exec_lo, exec_lo, s15
.LBB2_2440:                             ;   in Loop: Header=BB2_2392 Depth=3
	s_delay_alu instid0(SALU_CYCLE_1) | instskip(NEXT) | instid1(VALU_DEP_1)
	s_or_b32 exec_lo, exec_lo, s14
	v_add_f32_e32 v60, v60, v62
                                        ; implicit-def: $vgpr106
	s_mov_b32 s14, exec_lo
	s_delay_alu instid0(VALU_DEP_1) | instskip(SKIP_1) | instid1(VALU_DEP_2)
	v_and_b32_e32 v2, 0x7f800000, v60
	v_lshrrev_b32_e32 v61, 24, v60
	v_cmpx_ne_u64_e32 0x7f800000, v[2:3]
	s_xor_b32 s15, exec_lo, s14
	s_cbranch_execz .LBB2_2454
; %bb.2441:                             ;   in Loop: Header=BB2_2392 Depth=3
	v_and_b32_e32 v2, 0x7fffffff, v60
	v_and_b32_e32 v72, 0x80, v61
                                        ; implicit-def: $vgpr106
	s_mov_b32 s14, exec_lo
	s_delay_alu instid0(VALU_DEP_2)
	v_cmpx_gt_u64_e32 0x43e00001, v[2:3]
	s_xor_b32 s44, exec_lo, s14
	s_cbranch_execz .LBB2_2451
; %bb.2442:                             ;   in Loop: Header=BB2_2392 Depth=3
	v_mov_b32_e32 v106, 0
	s_mov_b32 s45, exec_lo
	v_cmpx_ne_u32_e32 0, v60
	s_cbranch_execz .LBB2_2450
; %bb.2443:                             ;   in Loop: Header=BB2_2392 Depth=3
	v_bfe_u32 v73, v60, 23, 8
	s_delay_alu instid0(VALU_DEP_1) | instskip(SKIP_1) | instid1(VALU_DEP_2)
	v_sub_nc_u32_e32 v2, 0x79, v73
	v_cmp_gt_u32_e32 vcc_lo, 0x7a, v73
	v_cndmask_b32_e32 v2, 0, v2, vcc_lo
	v_cmp_eq_u32_e32 vcc_lo, 0, v73
	s_delay_alu instid0(VALU_DEP_2) | instskip(SKIP_1) | instid1(VALU_DEP_2)
	v_cndmask_b32_e64 v106, v2, 0x78, vcc_lo
	v_and_b32_e32 v2, 0x7fffff, v60
	v_add_nc_u32_e32 v18, 20, v106
	s_delay_alu instid0(VALU_DEP_2) | instskip(NEXT) | instid1(VALU_DEP_2)
	v_or_b32_e32 v19, 0x800000, v2
	v_lshlrev_b64_e64 v[60:61], v18, -1
	v_add_nc_u32_e32 v18, 19, v106
	s_delay_alu instid0(VALU_DEP_3) | instskip(NEXT) | instid1(VALU_DEP_2)
	v_cndmask_b32_e32 v2, v19, v2, vcc_lo
	v_lshlrev_b64_e64 v[62:63], v18, 1
	s_delay_alu instid0(VALU_DEP_4) | instskip(NEXT) | instid1(VALU_DEP_3)
	v_bfi_b32 v109, v61, 0, 0
	v_bfi_b32 v108, v60, 0, v2
	v_lshrrev_b64 v[60:61], v106, v[2:3]
	s_delay_alu instid0(VALU_DEP_2) | instskip(NEXT) | instid1(VALU_DEP_2)
	v_cmp_eq_u64_e64 s14, v[108:109], v[62:63]
	v_mov_b64_e32 v[62:63], v[60:61]
	s_and_saveexec_b32 s77, s14
; %bb.2444:                             ;   in Loop: Header=BB2_2392 Depth=3
	v_bfe_u32 v2, v60, 20, 1
	s_delay_alu instid0(VALU_DEP_1) | instskip(NEXT) | instid1(VALU_DEP_1)
	v_add_nc_u64_e32 v[62:63], v[60:61], v[2:3]
	v_add_nc_u64_e32 v[62:63], -1, v[62:63]
; %bb.2445:                             ;   in Loop: Header=BB2_2392 Depth=3
	s_or_b32 exec_lo, exec_lo, s77
	v_add_nc_u32_e32 v2, 0xffffff81, v73
	v_lshrrev_b32_e32 v18, 23, v60
	s_mov_b32 s14, exec_lo
	s_delay_alu instid0(VALU_DEP_2) | instskip(NEXT) | instid1(VALU_DEP_1)
	v_cndmask_b32_e64 v2, v2, 0xffffff82, vcc_lo
	v_add3_u32 v63, v106, v2, v18
	v_and_b32_e32 v2, 0xfffff, v62
                                        ; implicit-def: $vgpr62
	s_delay_alu instid0(VALU_DEP_1) | instskip(NEXT) | instid1(VALU_DEP_1)
	v_dual_add_nc_u32 v73, 6, v63 :: v_dual_add_nc_u32 v2, v2, v60
                                        ; implicit-def: $vgpr60_vgpr61
	v_cmpx_ne_u32_e32 0, v73
	s_xor_b32 s14, exec_lo, s14
; %bb.2446:                             ;   in Loop: Header=BB2_2392 Depth=3
	s_delay_alu instid0(VALU_DEP_2) | instskip(SKIP_1) | instid1(VALU_DEP_1)
	v_cmp_lt_u64_e32 vcc_lo, 0xffffff, v[2:3]
	v_add_nc_u32_e32 v18, 7, v63
	v_cndmask_b32_e32 v62, v73, v18, vcc_lo
	v_cndmask_b32_e64 v18, 0, 1, vcc_lo
	s_delay_alu instid0(VALU_DEP_1)
	v_lshrrev_b64 v[60:61], v18, v[2:3]
; %bb.2447:                             ;   in Loop: Header=BB2_2392 Depth=3
	s_and_not1_saveexec_b32 s14, s14
; %bb.2448:                             ;   in Loop: Header=BB2_2392 Depth=3
	v_mov_b64_e32 v[60:61], v[2:3]
	v_bfe_u32 v62, v2, 23, 1
; %bb.2449:                             ;   in Loop: Header=BB2_2392 Depth=3
	s_or_b32 exec_lo, exec_lo, s14
	s_delay_alu instid0(VALU_DEP_2) | instskip(NEXT) | instid1(VALU_DEP_2)
	v_lshrrev_b64 v[60:61], 20, v[60:61]
	v_cmp_gt_i32_e32 vcc_lo, 16, v62
	v_min_i32_e32 v2, 15, v62
	v_cmp_eq_u32_e64 s14, 0, v62
	s_delay_alu instid0(VALU_DEP_2) | instskip(SKIP_1) | instid1(VALU_DEP_2)
	v_dual_cndmask_b32 v61, 0, v61 :: v_dual_lshlrev_b32 v2, 3, v2
	v_cndmask_b32_e32 v60, 7, v60, vcc_lo
	v_and_b32_e32 v2, 0xf8, v2
	s_delay_alu instid0(VALU_DEP_2) | instskip(NEXT) | instid1(VALU_DEP_2)
	v_cmp_eq_u64_e32 vcc_lo, 0, v[60:61]
	v_and_or_b32 v2, v60, 7, v2
	s_and_b32 s14, s14, vcc_lo
	s_delay_alu instid0(VALU_DEP_1) | instid1(SALU_CYCLE_1)
	v_cndmask_b32_e64 v2, v2, 0, s14
	s_delay_alu instid0(VALU_DEP_1)
	v_or_b32_e32 v106, v2, v72
.LBB2_2450:                             ;   in Loop: Header=BB2_2392 Depth=3
	s_or_b32 exec_lo, exec_lo, s45
                                        ; implicit-def: $vgpr72
.LBB2_2451:                             ;   in Loop: Header=BB2_2392 Depth=3
	s_and_not1_saveexec_b32 s14, s44
; %bb.2452:                             ;   in Loop: Header=BB2_2392 Depth=3
	v_or_b32_e32 v106, 0x7e, v72
; %bb.2453:                             ;   in Loop: Header=BB2_2392 Depth=3
	s_or_b32 exec_lo, exec_lo, s14
                                        ; implicit-def: $vgpr61
.LBB2_2454:                             ;   in Loop: Header=BB2_2392 Depth=3
	s_and_not1_saveexec_b32 s14, s15
; %bb.2455:                             ;   in Loop: Header=BB2_2392 Depth=3
	v_or_b32_e32 v106, 0x7f, v61
; %bb.2456:                             ;   in Loop: Header=BB2_2392 Depth=3
	s_or_b32 exec_lo, exec_lo, s14
	v_dual_mov_b32 v60, 0 :: v_dual_lshrrev_b32 v61, 16, v12
	s_mov_b32 s14, exec_lo
	s_delay_alu instid0(VALU_DEP_1) | instskip(NEXT) | instid1(VALU_DEP_1)
	v_and_b32_e32 v2, 0xff, v61
	v_cmpx_ne_u16_e32 0, v2
	s_cbranch_execz .LBB2_2464
; %bb.2457:                             ;   in Loop: Header=BB2_2392 Depth=3
	v_bfrev_b32_e32 v60, 1
	s_mov_b32 s15, exec_lo
	v_cmpx_ne_u16_e32 0x80, v2
	s_cbranch_execz .LBB2_2463
; %bb.2458:                             ;   in Loop: Header=BB2_2392 Depth=3
	v_bfe_u32 v62, v12, 16, 7
	v_mov_b32_e32 v60, 0x7f800001
	s_mov_b32 s44, exec_lo
	s_delay_alu instid0(VALU_DEP_2)
	v_cmpx_ne_u32_e32 0x7f, v62
	s_cbranch_execz .LBB2_2462
; %bb.2459:                             ;   in Loop: Header=BB2_2392 Depth=3
	v_dual_lshrrev_b32 v60, 3, v62 :: v_dual_bitop2_b32 v2, 7, v61 bitop3:0x40
	s_mov_b32 s45, exec_lo
	v_cmpx_gt_u32_e32 8, v62
; %bb.2460:                             ;   in Loop: Header=BB2_2392 Depth=3
	s_delay_alu instid0(VALU_DEP_2) | instskip(NEXT) | instid1(VALU_DEP_1)
	v_clz_i32_u32_e32 v18, v2
	v_min_u32_e32 v18, 32, v18
	s_delay_alu instid0(VALU_DEP_1) | instskip(SKIP_1) | instid1(VALU_DEP_2)
	v_subrev_nc_u32_e32 v19, 28, v18
	v_sub_nc_u32_e32 v60, 29, v18
	v_lshlrev_b64_e32 v[62:63], v19, v[2:3]
	s_delay_alu instid0(VALU_DEP_1)
	v_and_b32_e32 v2, 7, v62
; %bb.2461:                             ;   in Loop: Header=BB2_2392 Depth=3
	s_or_b32 exec_lo, exec_lo, s45
	s_delay_alu instid0(VALU_DEP_1) | instskip(SKIP_1) | instid1(VALU_DEP_2)
	v_dual_lshlrev_b32 v18, 24, v61 :: v_dual_lshlrev_b32 v2, 20, v2
	v_lshl_add_u32 v19, v60, 23, 0x3c000000
	v_and_b32_e32 v18, 0x80000000, v18
	s_delay_alu instid0(VALU_DEP_1)
	v_or3_b32 v60, v2, v18, v19
.LBB2_2462:                             ;   in Loop: Header=BB2_2392 Depth=3
	s_or_b32 exec_lo, exec_lo, s44
.LBB2_2463:                             ;   in Loop: Header=BB2_2392 Depth=3
	s_delay_alu instid0(SALU_CYCLE_1)
	s_or_b32 exec_lo, exec_lo, s15
.LBB2_2464:                             ;   in Loop: Header=BB2_2392 Depth=3
	s_delay_alu instid0(SALU_CYCLE_1) | instskip(SKIP_3) | instid1(VALU_DEP_1)
	s_or_b32 exec_lo, exec_lo, s14
	v_lshrrev_b32_e32 v2, 16, v8
	s_mov_b32 s15, 0
	s_mov_b32 s14, exec_lo
	v_and_b32_e32 v62, 0xff, v2
	s_delay_alu instid0(VALU_DEP_1)
	v_cmpx_lt_i16_e32 0x7f, v62
	s_xor_b32 s14, exec_lo, s14
	s_cbranch_execz .LBB2_2469
; %bb.2465:                             ;   in Loop: Header=BB2_2392 Depth=3
	s_mov_b32 s15, -1
	s_mov_b32 s44, exec_lo
	v_cmpx_eq_u16_e32 0x80, v62
; %bb.2466:                             ;   in Loop: Header=BB2_2392 Depth=3
	s_xor_b32 s15, exec_lo, -1
; %bb.2467:                             ;   in Loop: Header=BB2_2392 Depth=3
	s_or_b32 exec_lo, exec_lo, s44
	s_delay_alu instid0(SALU_CYCLE_1)
	s_and_b32 s15, s15, exec_lo
                                        ; implicit-def: $vgpr62
	s_or_saveexec_b32 s14, s14
	v_bfrev_b32_e32 v61, 1
	s_xor_b32 exec_lo, exec_lo, s14
	s_cbranch_execnz .LBB2_2470
.LBB2_2468:                             ;   in Loop: Header=BB2_2392 Depth=3
	s_or_b32 exec_lo, exec_lo, s14
	s_and_saveexec_b32 s14, s15
	s_cbranch_execnz .LBB2_2471
	s_branch .LBB2_2474
.LBB2_2469:                             ;   in Loop: Header=BB2_2392 Depth=3
	s_or_saveexec_b32 s14, s14
	v_bfrev_b32_e32 v61, 1
	s_xor_b32 exec_lo, exec_lo, s14
	s_cbranch_execz .LBB2_2468
.LBB2_2470:                             ;   in Loop: Header=BB2_2392 Depth=3
	v_cmp_ne_u16_e32 vcc_lo, 0, v62
	v_mov_b32_e32 v61, 0
	s_and_not1_b32 s15, s15, exec_lo
	s_and_b32 s44, vcc_lo, exec_lo
	s_delay_alu instid0(SALU_CYCLE_1)
	s_or_b32 s15, s15, s44
	s_or_b32 exec_lo, exec_lo, s14
	s_and_saveexec_b32 s14, s15
	s_cbranch_execz .LBB2_2474
.LBB2_2471:                             ;   in Loop: Header=BB2_2392 Depth=3
	v_and_b32_e32 v62, 0x7f, v2
	v_mov_b32_e32 v61, 0x7f800001
	s_mov_b32 s15, exec_lo
	s_delay_alu instid0(VALU_DEP_2)
	v_cmpx_ne_u32_e32 0x7f, v62
	s_cbranch_execz .LBB2_2473
; %bb.2472:                             ;   in Loop: Header=BB2_2392 Depth=3
	v_and_b32_e32 v18, 7, v2
	v_cmp_gt_u32_e32 vcc_lo, 8, v62
	s_delay_alu instid0(VALU_DEP_2) | instskip(NEXT) | instid1(VALU_DEP_1)
	v_clz_i32_u32_e32 v19, v18
	v_min_u32_e32 v19, 32, v19
	s_delay_alu instid0(VALU_DEP_1) | instskip(SKIP_1) | instid1(VALU_DEP_2)
	v_subrev_nc_u32_e32 v61, 28, v19
	v_sub_nc_u32_e32 v19, 29, v19
	v_lshlrev_b64_e32 v[72:73], v61, v[2:3]
	s_delay_alu instid0(VALU_DEP_1) | instskip(NEXT) | instid1(VALU_DEP_1)
	v_dual_lshrrev_b32 v61, 3, v62 :: v_dual_bitop2_b32 v62, 7, v72 bitop3:0x40
	v_dual_cndmask_b32 v19, v61, v19 :: v_dual_lshlrev_b32 v2, 24, v2
	s_delay_alu instid0(VALU_DEP_2) | instskip(NEXT) | instid1(VALU_DEP_2)
	v_cndmask_b32_e32 v18, v18, v62, vcc_lo
	v_and_b32_e32 v2, 0x80000000, v2
	s_delay_alu instid0(VALU_DEP_3) | instskip(NEXT) | instid1(VALU_DEP_3)
	v_lshl_add_u32 v19, v19, 23, 0x3c000000
	v_lshlrev_b32_e32 v18, 20, v18
	s_delay_alu instid0(VALU_DEP_1)
	v_or3_b32 v61, v18, v2, v19
.LBB2_2473:                             ;   in Loop: Header=BB2_2392 Depth=3
	s_or_b32 exec_lo, exec_lo, s15
.LBB2_2474:                             ;   in Loop: Header=BB2_2392 Depth=3
	s_delay_alu instid0(SALU_CYCLE_1) | instskip(NEXT) | instid1(VALU_DEP_1)
	s_or_b32 exec_lo, exec_lo, s14
	v_add_f32_e32 v60, v60, v61
                                        ; implicit-def: $vgpr107
	s_mov_b32 s14, exec_lo
	s_delay_alu instid0(VALU_DEP_1) | instskip(SKIP_1) | instid1(VALU_DEP_2)
	v_and_b32_e32 v2, 0x7f800000, v60
	v_lshrrev_b32_e32 v61, 24, v60
	v_cmpx_ne_u64_e32 0x7f800000, v[2:3]
	s_xor_b32 s15, exec_lo, s14
	s_cbranch_execz .LBB2_2488
; %bb.2475:                             ;   in Loop: Header=BB2_2392 Depth=3
	v_and_b32_e32 v2, 0x7fffffff, v60
	v_and_b32_e32 v72, 0x80, v61
                                        ; implicit-def: $vgpr107
	s_mov_b32 s14, exec_lo
	s_delay_alu instid0(VALU_DEP_2)
	v_cmpx_gt_u64_e32 0x43e00001, v[2:3]
	s_xor_b32 s44, exec_lo, s14
	s_cbranch_execz .LBB2_2485
; %bb.2476:                             ;   in Loop: Header=BB2_2392 Depth=3
	v_mov_b32_e32 v107, 0
	s_mov_b32 s45, exec_lo
	v_cmpx_ne_u32_e32 0, v60
	s_cbranch_execz .LBB2_2484
; %bb.2477:                             ;   in Loop: Header=BB2_2392 Depth=3
	v_bfe_u32 v73, v60, 23, 8
	s_delay_alu instid0(VALU_DEP_1) | instskip(SKIP_1) | instid1(VALU_DEP_2)
	v_sub_nc_u32_e32 v2, 0x79, v73
	v_cmp_gt_u32_e32 vcc_lo, 0x7a, v73
	v_cndmask_b32_e32 v2, 0, v2, vcc_lo
	v_cmp_eq_u32_e32 vcc_lo, 0, v73
	s_delay_alu instid0(VALU_DEP_2) | instskip(SKIP_1) | instid1(VALU_DEP_2)
	v_cndmask_b32_e64 v107, v2, 0x78, vcc_lo
	v_and_b32_e32 v2, 0x7fffff, v60
	v_add_nc_u32_e32 v18, 20, v107
	s_delay_alu instid0(VALU_DEP_2) | instskip(NEXT) | instid1(VALU_DEP_2)
	v_or_b32_e32 v19, 0x800000, v2
	v_lshlrev_b64_e64 v[60:61], v18, -1
	s_delay_alu instid0(VALU_DEP_2) | instskip(NEXT) | instid1(VALU_DEP_1)
	v_dual_add_nc_u32 v18, 19, v107 :: v_dual_cndmask_b32 v2, v19, v2, vcc_lo
	v_lshlrev_b64_e64 v[62:63], v18, 1
	s_delay_alu instid0(VALU_DEP_3) | instskip(NEXT) | instid1(VALU_DEP_3)
	v_bfi_b32 v109, v61, 0, 0
	v_bfi_b32 v108, v60, 0, v2
	v_lshrrev_b64 v[60:61], v107, v[2:3]
	s_delay_alu instid0(VALU_DEP_2) | instskip(NEXT) | instid1(VALU_DEP_2)
	v_cmp_eq_u64_e64 s14, v[108:109], v[62:63]
	v_mov_b64_e32 v[62:63], v[60:61]
	s_and_saveexec_b32 s77, s14
; %bb.2478:                             ;   in Loop: Header=BB2_2392 Depth=3
	v_bfe_u32 v2, v60, 20, 1
	s_delay_alu instid0(VALU_DEP_1) | instskip(NEXT) | instid1(VALU_DEP_1)
	v_add_nc_u64_e32 v[62:63], v[60:61], v[2:3]
	v_add_nc_u64_e32 v[62:63], -1, v[62:63]
; %bb.2479:                             ;   in Loop: Header=BB2_2392 Depth=3
	s_or_b32 exec_lo, exec_lo, s77
	v_add_nc_u32_e32 v2, 0xffffff81, v73
	v_lshrrev_b32_e32 v18, 23, v60
	s_mov_b32 s14, exec_lo
	s_delay_alu instid0(VALU_DEP_2) | instskip(NEXT) | instid1(VALU_DEP_1)
	v_cndmask_b32_e64 v2, v2, 0xffffff82, vcc_lo
	v_add3_u32 v63, v107, v2, v18
	v_and_b32_e32 v2, 0xfffff, v62
                                        ; implicit-def: $vgpr62
	s_delay_alu instid0(VALU_DEP_1) | instskip(NEXT) | instid1(VALU_DEP_1)
	v_dual_add_nc_u32 v73, 6, v63 :: v_dual_add_nc_u32 v2, v2, v60
                                        ; implicit-def: $vgpr60_vgpr61
	v_cmpx_ne_u32_e32 0, v73
	s_xor_b32 s14, exec_lo, s14
; %bb.2480:                             ;   in Loop: Header=BB2_2392 Depth=3
	s_delay_alu instid0(VALU_DEP_2) | instskip(SKIP_1) | instid1(VALU_DEP_1)
	v_cmp_lt_u64_e32 vcc_lo, 0xffffff, v[2:3]
	v_add_nc_u32_e32 v18, 7, v63
	v_cndmask_b32_e32 v62, v73, v18, vcc_lo
	v_cndmask_b32_e64 v18, 0, 1, vcc_lo
	s_delay_alu instid0(VALU_DEP_1)
	v_lshrrev_b64 v[60:61], v18, v[2:3]
; %bb.2481:                             ;   in Loop: Header=BB2_2392 Depth=3
	s_and_not1_saveexec_b32 s14, s14
; %bb.2482:                             ;   in Loop: Header=BB2_2392 Depth=3
	v_mov_b64_e32 v[60:61], v[2:3]
	v_bfe_u32 v62, v2, 23, 1
; %bb.2483:                             ;   in Loop: Header=BB2_2392 Depth=3
	s_or_b32 exec_lo, exec_lo, s14
	s_delay_alu instid0(VALU_DEP_2) | instskip(NEXT) | instid1(VALU_DEP_2)
	v_lshrrev_b64 v[60:61], 20, v[60:61]
	v_cmp_gt_i32_e32 vcc_lo, 16, v62
	v_min_i32_e32 v2, 15, v62
	v_cmp_eq_u32_e64 s14, 0, v62
	s_delay_alu instid0(VALU_DEP_2) | instskip(SKIP_1) | instid1(VALU_DEP_2)
	v_dual_cndmask_b32 v61, 0, v61 :: v_dual_lshlrev_b32 v2, 3, v2
	v_cndmask_b32_e32 v60, 7, v60, vcc_lo
	v_and_b32_e32 v2, 0xf8, v2
	s_delay_alu instid0(VALU_DEP_2) | instskip(NEXT) | instid1(VALU_DEP_2)
	v_cmp_eq_u64_e32 vcc_lo, 0, v[60:61]
	v_and_or_b32 v2, v60, 7, v2
	s_and_b32 s14, s14, vcc_lo
	s_delay_alu instid0(VALU_DEP_1) | instid1(SALU_CYCLE_1)
	v_cndmask_b32_e64 v2, v2, 0, s14
	s_delay_alu instid0(VALU_DEP_1)
	v_or_b32_e32 v107, v2, v72
.LBB2_2484:                             ;   in Loop: Header=BB2_2392 Depth=3
	s_or_b32 exec_lo, exec_lo, s45
                                        ; implicit-def: $vgpr72
.LBB2_2485:                             ;   in Loop: Header=BB2_2392 Depth=3
	s_and_not1_saveexec_b32 s14, s44
; %bb.2486:                             ;   in Loop: Header=BB2_2392 Depth=3
	v_or_b32_e32 v107, 0x7e, v72
; %bb.2487:                             ;   in Loop: Header=BB2_2392 Depth=3
	s_or_b32 exec_lo, exec_lo, s14
                                        ; implicit-def: $vgpr61
.LBB2_2488:                             ;   in Loop: Header=BB2_2392 Depth=3
	s_and_not1_saveexec_b32 s14, s15
; %bb.2489:                             ;   in Loop: Header=BB2_2392 Depth=3
	v_or_b32_e32 v107, 0x7f, v61
; %bb.2490:                             ;   in Loop: Header=BB2_2392 Depth=3
	s_or_b32 exec_lo, exec_lo, s14
	v_mov_b32_e32 v60, 0
	s_mov_b32 s14, exec_lo
	v_cmpx_lt_u32_e32 0xffffff, v12
	s_cbranch_execz .LBB2_2498
; %bb.2491:                             ;   in Loop: Header=BB2_2392 Depth=3
	v_lshrrev_b32_e32 v61, 24, v12
	v_bfrev_b32_e32 v60, 1
	s_mov_b32 s15, exec_lo
	s_delay_alu instid0(VALU_DEP_2)
	v_cmpx_ne_u32_e32 0x80, v61
	s_cbranch_execz .LBB2_2497
; %bb.2492:                             ;   in Loop: Header=BB2_2392 Depth=3
	v_bfe_u32 v62, v12, 24, 7
	v_mov_b32_e32 v60, 0x7f800001
	s_mov_b32 s44, exec_lo
	s_delay_alu instid0(VALU_DEP_2)
	v_cmpx_ne_u32_e32 0x7f, v62
	s_cbranch_execz .LBB2_2496
; %bb.2493:                             ;   in Loop: Header=BB2_2392 Depth=3
	v_dual_lshrrev_b32 v60, 3, v62 :: v_dual_bitop2_b32 v2, 7, v61 bitop3:0x40
	s_mov_b32 s45, exec_lo
	v_cmpx_gt_u32_e32 8, v62
; %bb.2494:                             ;   in Loop: Header=BB2_2392 Depth=3
	s_delay_alu instid0(VALU_DEP_2) | instskip(NEXT) | instid1(VALU_DEP_1)
	v_clz_i32_u32_e32 v18, v2
	v_min_u32_e32 v18, 32, v18
	s_delay_alu instid0(VALU_DEP_1) | instskip(SKIP_1) | instid1(VALU_DEP_2)
	v_subrev_nc_u32_e32 v19, 28, v18
	v_sub_nc_u32_e32 v60, 29, v18
	v_lshlrev_b64_e32 v[62:63], v19, v[2:3]
	s_delay_alu instid0(VALU_DEP_1)
	v_and_b32_e32 v2, 7, v62
; %bb.2495:                             ;   in Loop: Header=BB2_2392 Depth=3
	s_or_b32 exec_lo, exec_lo, s45
	s_delay_alu instid0(VALU_DEP_1) | instskip(SKIP_1) | instid1(VALU_DEP_2)
	v_dual_lshlrev_b32 v18, 24, v61 :: v_dual_lshlrev_b32 v2, 20, v2
	v_lshl_add_u32 v19, v60, 23, 0x3c000000
	v_and_b32_e32 v18, 0x80000000, v18
	s_delay_alu instid0(VALU_DEP_1)
	v_or3_b32 v60, v2, v18, v19
.LBB2_2496:                             ;   in Loop: Header=BB2_2392 Depth=3
	s_or_b32 exec_lo, exec_lo, s44
.LBB2_2497:                             ;   in Loop: Header=BB2_2392 Depth=3
	s_delay_alu instid0(SALU_CYCLE_1)
	s_or_b32 exec_lo, exec_lo, s15
.LBB2_2498:                             ;   in Loop: Header=BB2_2392 Depth=3
	s_delay_alu instid0(SALU_CYCLE_1) | instskip(SKIP_3) | instid1(VALU_DEP_3)
	s_or_b32 exec_lo, exec_lo, s14
	v_lshrrev_b32_e32 v2, 24, v8
	v_bfe_u32 v61, v8, 24, 7
	v_cmp_gt_u32_e64 s15, 0x1000000, v8
	v_cmp_eq_u32_e32 vcc_lo, 0x80, v2
	s_delay_alu instid0(VALU_DEP_3) | instskip(SKIP_2) | instid1(VALU_DEP_1)
	v_cmp_eq_u32_e64 s14, 0x7f, v61
	v_cndmask_b32_e32 v18, 0x7f800001, v77, vcc_lo
	s_or_b32 s14, vcc_lo, s14
	v_cndmask_b32_e64 v62, v18, 0, s15
	s_nor_b32 s15, s15, s14
	s_delay_alu instid0(SALU_CYCLE_1)
	s_and_saveexec_b32 s14, s15
	s_cbranch_execz .LBB2_2500
; %bb.2499:                             ;   in Loop: Header=BB2_2392 Depth=3
	v_and_b32_e32 v18, 7, v2
	v_cmp_gt_u32_e32 vcc_lo, 8, v61
	s_delay_alu instid0(VALU_DEP_2) | instskip(NEXT) | instid1(VALU_DEP_1)
	v_clz_i32_u32_e32 v19, v18
	v_min_u32_e32 v19, 32, v19
	s_delay_alu instid0(VALU_DEP_1) | instskip(NEXT) | instid1(VALU_DEP_1)
	v_subrev_nc_u32_e32 v62, 28, v19
	v_lshlrev_b64_e32 v[62:63], v62, v[2:3]
	v_dual_lshrrev_b32 v63, 3, v61 :: v_dual_sub_nc_u32 v19, 29, v19
	s_delay_alu instid0(VALU_DEP_2) | instskip(NEXT) | instid1(VALU_DEP_2)
	v_and_b32_e32 v61, 7, v62
	v_dual_cndmask_b32 v19, v63, v19 :: v_dual_lshlrev_b32 v2, 24, v2
	s_delay_alu instid0(VALU_DEP_2) | instskip(NEXT) | instid1(VALU_DEP_2)
	v_cndmask_b32_e32 v18, v18, v61, vcc_lo
	v_and_b32_e32 v2, 0x80000000, v2
	s_delay_alu instid0(VALU_DEP_3) | instskip(NEXT) | instid1(VALU_DEP_3)
	v_lshl_add_u32 v19, v19, 23, 0x3c000000
	v_lshlrev_b32_e32 v18, 20, v18
	s_delay_alu instid0(VALU_DEP_1)
	v_or3_b32 v62, v18, v2, v19
.LBB2_2500:                             ;   in Loop: Header=BB2_2392 Depth=3
	s_or_b32 exec_lo, exec_lo, s14
	s_delay_alu instid0(VALU_DEP_1) | instskip(SKIP_1) | instid1(VALU_DEP_1)
	v_add_f32_e32 v60, v60, v62
                                        ; implicit-def: $vgpr108
	s_mov_b32 s14, exec_lo
	v_and_b32_e32 v2, 0x7f800000, v60
	v_lshrrev_b32_e32 v61, 24, v60
	s_delay_alu instid0(VALU_DEP_2)
	v_cmpx_ne_u64_e32 0x7f800000, v[2:3]
	s_xor_b32 s15, exec_lo, s14
	s_cbranch_execz .LBB2_2514
; %bb.2501:                             ;   in Loop: Header=BB2_2392 Depth=3
	v_and_b32_e32 v2, 0x7fffffff, v60
	v_and_b32_e32 v72, 0x80, v61
                                        ; implicit-def: $vgpr108
	s_mov_b32 s14, exec_lo
	s_delay_alu instid0(VALU_DEP_2)
	v_cmpx_gt_u64_e32 0x43e00001, v[2:3]
	s_xor_b32 s44, exec_lo, s14
	s_cbranch_execz .LBB2_2511
; %bb.2502:                             ;   in Loop: Header=BB2_2392 Depth=3
	v_mov_b32_e32 v108, 0
	s_mov_b32 s45, exec_lo
	v_cmpx_ne_u32_e32 0, v60
	s_cbranch_execz .LBB2_2510
; %bb.2503:                             ;   in Loop: Header=BB2_2392 Depth=3
	v_bfe_u32 v73, v60, 23, 8
	s_delay_alu instid0(VALU_DEP_1) | instskip(SKIP_1) | instid1(VALU_DEP_2)
	v_sub_nc_u32_e32 v2, 0x79, v73
	v_cmp_gt_u32_e32 vcc_lo, 0x7a, v73
	v_cndmask_b32_e32 v2, 0, v2, vcc_lo
	v_cmp_eq_u32_e32 vcc_lo, 0, v73
	s_delay_alu instid0(VALU_DEP_2) | instskip(SKIP_1) | instid1(VALU_DEP_2)
	v_cndmask_b32_e64 v108, v2, 0x78, vcc_lo
	v_and_b32_e32 v2, 0x7fffff, v60
	v_add_nc_u32_e32 v18, 20, v108
	s_delay_alu instid0(VALU_DEP_2) | instskip(NEXT) | instid1(VALU_DEP_2)
	v_or_b32_e32 v19, 0x800000, v2
	v_lshlrev_b64_e64 v[60:61], v18, -1
	s_delay_alu instid0(VALU_DEP_2) | instskip(NEXT) | instid1(VALU_DEP_1)
	v_dual_add_nc_u32 v18, 19, v108 :: v_dual_cndmask_b32 v2, v19, v2, vcc_lo
	v_lshlrev_b64_e64 v[62:63], v18, 1
	s_delay_alu instid0(VALU_DEP_3) | instskip(NEXT) | instid1(VALU_DEP_3)
	v_bfi_b32 v111, v61, 0, 0
	v_bfi_b32 v110, v60, 0, v2
	v_lshrrev_b64 v[60:61], v108, v[2:3]
	s_delay_alu instid0(VALU_DEP_2) | instskip(NEXT) | instid1(VALU_DEP_2)
	v_cmp_eq_u64_e64 s14, v[110:111], v[62:63]
	v_mov_b64_e32 v[62:63], v[60:61]
	s_and_saveexec_b32 s77, s14
; %bb.2504:                             ;   in Loop: Header=BB2_2392 Depth=3
	v_bfe_u32 v2, v60, 20, 1
	s_delay_alu instid0(VALU_DEP_1) | instskip(NEXT) | instid1(VALU_DEP_1)
	v_add_nc_u64_e32 v[62:63], v[60:61], v[2:3]
	v_add_nc_u64_e32 v[62:63], -1, v[62:63]
; %bb.2505:                             ;   in Loop: Header=BB2_2392 Depth=3
	s_or_b32 exec_lo, exec_lo, s77
	v_add_nc_u32_e32 v2, 0xffffff81, v73
	v_lshrrev_b32_e32 v18, 23, v60
	s_mov_b32 s14, exec_lo
	s_delay_alu instid0(VALU_DEP_2) | instskip(NEXT) | instid1(VALU_DEP_1)
	v_cndmask_b32_e64 v2, v2, 0xffffff82, vcc_lo
	v_add3_u32 v63, v108, v2, v18
	v_and_b32_e32 v2, 0xfffff, v62
                                        ; implicit-def: $vgpr62
	s_delay_alu instid0(VALU_DEP_1) | instskip(NEXT) | instid1(VALU_DEP_1)
	v_dual_add_nc_u32 v73, 6, v63 :: v_dual_add_nc_u32 v2, v2, v60
                                        ; implicit-def: $vgpr60_vgpr61
	v_cmpx_ne_u32_e32 0, v73
	s_xor_b32 s14, exec_lo, s14
; %bb.2506:                             ;   in Loop: Header=BB2_2392 Depth=3
	s_delay_alu instid0(VALU_DEP_2) | instskip(SKIP_1) | instid1(VALU_DEP_1)
	v_cmp_lt_u64_e32 vcc_lo, 0xffffff, v[2:3]
	v_add_nc_u32_e32 v18, 7, v63
	v_cndmask_b32_e32 v62, v73, v18, vcc_lo
	v_cndmask_b32_e64 v18, 0, 1, vcc_lo
	s_delay_alu instid0(VALU_DEP_1)
	v_lshrrev_b64 v[60:61], v18, v[2:3]
; %bb.2507:                             ;   in Loop: Header=BB2_2392 Depth=3
	s_and_not1_saveexec_b32 s14, s14
; %bb.2508:                             ;   in Loop: Header=BB2_2392 Depth=3
	v_mov_b64_e32 v[60:61], v[2:3]
	v_bfe_u32 v62, v2, 23, 1
; %bb.2509:                             ;   in Loop: Header=BB2_2392 Depth=3
	s_or_b32 exec_lo, exec_lo, s14
	s_delay_alu instid0(VALU_DEP_2) | instskip(NEXT) | instid1(VALU_DEP_2)
	v_lshrrev_b64 v[60:61], 20, v[60:61]
	v_cmp_gt_i32_e32 vcc_lo, 16, v62
	v_min_i32_e32 v2, 15, v62
	v_cmp_eq_u32_e64 s14, 0, v62
	s_delay_alu instid0(VALU_DEP_2) | instskip(SKIP_1) | instid1(VALU_DEP_2)
	v_dual_cndmask_b32 v61, 0, v61 :: v_dual_lshlrev_b32 v2, 3, v2
	v_cndmask_b32_e32 v60, 7, v60, vcc_lo
	v_and_b32_e32 v2, 0xf8, v2
	s_delay_alu instid0(VALU_DEP_2) | instskip(NEXT) | instid1(VALU_DEP_2)
	v_cmp_eq_u64_e32 vcc_lo, 0, v[60:61]
	v_and_or_b32 v2, v60, 7, v2
	s_and_b32 s14, s14, vcc_lo
	s_delay_alu instid0(VALU_DEP_1) | instid1(SALU_CYCLE_1)
	v_cndmask_b32_e64 v2, v2, 0, s14
	s_delay_alu instid0(VALU_DEP_1)
	v_or_b32_e32 v108, v2, v72
.LBB2_2510:                             ;   in Loop: Header=BB2_2392 Depth=3
	s_or_b32 exec_lo, exec_lo, s45
                                        ; implicit-def: $vgpr72
.LBB2_2511:                             ;   in Loop: Header=BB2_2392 Depth=3
	s_and_not1_saveexec_b32 s14, s44
; %bb.2512:                             ;   in Loop: Header=BB2_2392 Depth=3
	v_or_b32_e32 v108, 0x7e, v72
; %bb.2513:                             ;   in Loop: Header=BB2_2392 Depth=3
	s_or_b32 exec_lo, exec_lo, s14
                                        ; implicit-def: $vgpr61
.LBB2_2514:                             ;   in Loop: Header=BB2_2392 Depth=3
	s_and_not1_saveexec_b32 s14, s15
; %bb.2515:                             ;   in Loop: Header=BB2_2392 Depth=3
	v_or_b32_e32 v108, 0x7f, v61
; %bb.2516:                             ;   in Loop: Header=BB2_2392 Depth=3
	s_or_b32 exec_lo, exec_lo, s14
	v_and_b32_e32 v60, 0xff, v13
	v_dual_mov_b32 v2, v13 :: v_dual_mov_b32 v62, 0
	s_mov_b32 s14, exec_lo
	s_delay_alu instid0(VALU_DEP_2)
	v_cmpx_ne_u16_e32 0, v60
	s_cbranch_execz .LBB2_2522
; %bb.2517:                             ;   in Loop: Header=BB2_2392 Depth=3
	v_bfrev_b32_e32 v62, 1
	s_mov_b32 s15, exec_lo
	v_cmpx_ne_u16_e32 0x80, v60
	s_cbranch_execz .LBB2_2521
; %bb.2518:                             ;   in Loop: Header=BB2_2392 Depth=3
	v_and_b32_e32 v60, 0x7f, v13
	v_mov_b32_e32 v62, 0x7f800001
	s_mov_b32 s44, exec_lo
	s_delay_alu instid0(VALU_DEP_2)
	v_cmpx_ne_u32_e32 0x7f, v60
	s_cbranch_execz .LBB2_2520
; %bb.2519:                             ;   in Loop: Header=BB2_2392 Depth=3
	v_dual_lshrrev_b32 v19, 3, v60 :: v_dual_bitop2_b32 v18, 7, v13 bitop3:0x40
	v_cmp_gt_u32_e32 vcc_lo, 8, v60
	s_delay_alu instid0(VALU_DEP_2) | instskip(NEXT) | instid1(VALU_DEP_1)
	v_clz_i32_u32_e32 v18, v18
	v_min_u32_e32 v18, 32, v18
	s_delay_alu instid0(VALU_DEP_1) | instskip(SKIP_1) | instid1(VALU_DEP_1)
	v_subrev_nc_u32_e32 v61, 28, v18
	v_sub_nc_u32_e32 v18, 29, v18
	v_dual_cndmask_b32 v18, v19, v18 :: v_dual_cndmask_b32 v19, 0, v61
	s_delay_alu instid0(VALU_DEP_1) | instskip(SKIP_1) | instid1(VALU_DEP_1)
	v_lshlrev_b64_e32 v[60:61], v19, v[2:3]
	v_lshlrev_b32_e32 v19, 24, v2
	v_and_b32_e32 v19, 0x80000000, v19
	s_delay_alu instid0(VALU_DEP_3) | instskip(SKIP_1) | instid1(VALU_DEP_2)
	v_lshlrev_b32_e32 v60, 20, v60
	v_lshl_add_u32 v18, v18, 23, 0x3c000000
	v_and_b32_e32 v60, 0x700000, v60
	s_delay_alu instid0(VALU_DEP_1)
	v_or3_b32 v62, v60, v19, v18
.LBB2_2520:                             ;   in Loop: Header=BB2_2392 Depth=3
	s_or_b32 exec_lo, exec_lo, s44
.LBB2_2521:                             ;   in Loop: Header=BB2_2392 Depth=3
	s_delay_alu instid0(SALU_CYCLE_1)
	s_or_b32 exec_lo, exec_lo, s15
.LBB2_2522:                             ;   in Loop: Header=BB2_2392 Depth=3
	s_delay_alu instid0(SALU_CYCLE_1) | instskip(SKIP_4) | instid1(VALU_DEP_2)
	s_or_b32 exec_lo, exec_lo, s14
	v_and_b32_e32 v61, 0xff, v9
	v_mov_b32_e32 v60, v9
	s_mov_b32 s14, 0
	s_mov_b32 s15, exec_lo
	v_cmpx_lt_i16_e32 0x7f, v61
	s_xor_b32 s15, exec_lo, s15
	s_cbranch_execz .LBB2_2557
; %bb.2523:                             ;   in Loop: Header=BB2_2392 Depth=3
	s_mov_b32 s14, -1
	s_mov_b32 s44, exec_lo
	v_cmpx_eq_u16_e32 0x80, v61
; %bb.2524:                             ;   in Loop: Header=BB2_2392 Depth=3
	s_xor_b32 s14, exec_lo, -1
; %bb.2525:                             ;   in Loop: Header=BB2_2392 Depth=3
	s_or_b32 exec_lo, exec_lo, s44
	s_delay_alu instid0(SALU_CYCLE_1)
	s_and_b32 s14, s14, exec_lo
                                        ; implicit-def: $vgpr61
	s_or_saveexec_b32 s15, s15
	v_bfrev_b32_e32 v63, 1
	s_xor_b32 exec_lo, exec_lo, s15
	s_cbranch_execnz .LBB2_2558
.LBB2_2526:                             ;   in Loop: Header=BB2_2392 Depth=3
	s_or_b32 exec_lo, exec_lo, s15
	v_mov_b32_e32 v61, v3
	s_and_saveexec_b32 s15, s14
	s_cbranch_execz .LBB2_2528
.LBB2_2527:                             ;   in Loop: Header=BB2_2392 Depth=3
	v_and_b32_e32 v19, 0x7f, v9
	v_bfe_u32 v63, v9, 3, 4
	s_delay_alu instid0(VALU_DEP_2) | instskip(SKIP_1) | instid1(VALU_DEP_1)
	v_cmp_gt_u32_e32 vcc_lo, 8, v19
	v_and_b32_e32 v18, 7, v9
	v_clz_i32_u32_e32 v18, v18
	s_delay_alu instid0(VALU_DEP_1) | instskip(NEXT) | instid1(VALU_DEP_1)
	v_min_u32_e32 v18, 32, v18
	v_subrev_nc_u32_e32 v72, 28, v18
	v_sub_nc_u32_e32 v18, 29, v18
	s_delay_alu instid0(VALU_DEP_1) | instskip(SKIP_1) | instid1(VALU_DEP_2)
	v_dual_cndmask_b32 v18, v63, v18 :: v_dual_cndmask_b32 v63, 0, v72
	v_cmp_ne_u32_e32 vcc_lo, 0x7f, v19
	v_lshlrev_b64_e32 v[72:73], v63, v[60:61]
	v_lshlrev_b32_e32 v61, 24, v60
	s_delay_alu instid0(VALU_DEP_1) | instskip(NEXT) | instid1(VALU_DEP_3)
	v_and_b32_e32 v61, 0x80000000, v61
	v_lshlrev_b32_e32 v63, 20, v72
	v_lshl_add_u32 v18, v18, 23, 0x3c000000
	s_delay_alu instid0(VALU_DEP_2) | instskip(NEXT) | instid1(VALU_DEP_1)
	v_and_b32_e32 v63, 0x700000, v63
	v_or3_b32 v18, v63, v61, v18
	s_delay_alu instid0(VALU_DEP_1)
	v_cndmask_b32_e32 v63, 0x7f800001, v18, vcc_lo
.LBB2_2528:                             ;   in Loop: Header=BB2_2392 Depth=3
	s_or_b32 exec_lo, exec_lo, s15
	s_delay_alu instid0(VALU_DEP_1) | instskip(NEXT) | instid1(VALU_DEP_1)
	v_dual_add_f32 v62, v62, v63 :: v_dual_mov_b32 v73, v3
	v_and_b32_e32 v72, 0x7f800000, v62
	v_lshrrev_b32_e32 v61, 24, v62
	s_delay_alu instid0(VALU_DEP_2) | instskip(SKIP_1) | instid1(SALU_CYCLE_1)
	v_cmp_ne_u64_e32 vcc_lo, 0x7f800000, v[72:73]
                                        ; implicit-def: $vgpr72
	s_and_saveexec_b32 s14, vcc_lo
	s_xor_b32 s15, exec_lo, s14
	s_cbranch_execz .LBB2_2542
; %bb.2529:                             ;   in Loop: Header=BB2_2392 Depth=3
	v_and_b32_e32 v72, 0x7fffffff, v62
	v_mov_b32_e32 v73, v3
	v_and_b32_e32 v61, 0x80, v61
	s_delay_alu instid0(VALU_DEP_2) | instskip(SKIP_1) | instid1(SALU_CYCLE_1)
	v_cmp_gt_u64_e32 vcc_lo, 0x43e00001, v[72:73]
                                        ; implicit-def: $vgpr72
	s_and_saveexec_b32 s14, vcc_lo
	s_xor_b32 s44, exec_lo, s14
	s_cbranch_execz .LBB2_2539
; %bb.2530:                             ;   in Loop: Header=BB2_2392 Depth=3
	v_mov_b32_e32 v72, 0
	s_mov_b32 s45, exec_lo
	v_cmpx_ne_u32_e32 0, v62
	s_cbranch_execz .LBB2_2538
; %bb.2531:                             ;   in Loop: Header=BB2_2392 Depth=3
	v_bfe_u32 v109, v62, 23, 8
	s_mov_b32 s77, exec_lo
	s_delay_alu instid0(VALU_DEP_1) | instskip(SKIP_1) | instid1(VALU_DEP_2)
	v_dual_mov_b32 v73, v3 :: v_dual_sub_nc_u32 v18, 0x79, v109
	v_cmp_gt_u32_e32 vcc_lo, 0x7a, v109
	v_cndmask_b32_e32 v18, 0, v18, vcc_lo
	v_cmp_eq_u32_e32 vcc_lo, 0, v109
	s_delay_alu instid0(VALU_DEP_2) | instskip(SKIP_1) | instid1(VALU_DEP_2)
	v_cndmask_b32_e64 v110, v18, 0x78, vcc_lo
	v_and_b32_e32 v18, 0x7fffff, v62
	v_add_nc_u32_e32 v19, 20, v110
	s_delay_alu instid0(VALU_DEP_2) | instskip(NEXT) | instid1(VALU_DEP_2)
	v_or_b32_e32 v72, 0x800000, v18
	v_lshlrev_b64_e64 v[62:63], v19, -1
	s_delay_alu instid0(VALU_DEP_2) | instskip(SKIP_1) | instid1(VALU_DEP_1)
	v_cndmask_b32_e32 v72, v72, v18, vcc_lo
	v_add_nc_u32_e32 v19, 19, v110
	v_lshlrev_b64_e64 v[120:121], v19, 1
	s_delay_alu instid0(VALU_DEP_4) | instskip(NEXT) | instid1(VALU_DEP_4)
	v_bfi_b32 v123, v63, 0, 0
	v_bfi_b32 v122, v62, 0, v72
	v_lshrrev_b64 v[62:63], v110, v[72:73]
	s_delay_alu instid0(VALU_DEP_1) | instskip(NEXT) | instid1(VALU_DEP_3)
	v_mov_b64_e32 v[72:73], v[62:63]
	v_cmpx_eq_u64_e64 v[122:123], v[120:121]
; %bb.2532:                             ;   in Loop: Header=BB2_2392 Depth=3
	v_bfe_u32 v72, v62, 20, 1
	v_mov_b32_e32 v73, v3
	s_delay_alu instid0(VALU_DEP_1) | instskip(NEXT) | instid1(VALU_DEP_1)
	v_add_nc_u64_e32 v[72:73], v[62:63], v[72:73]
	v_add_nc_u64_e32 v[72:73], -1, v[72:73]
; %bb.2533:                             ;   in Loop: Header=BB2_2392 Depth=3
	s_or_b32 exec_lo, exec_lo, s77
	v_dual_mov_b32 v63, v3 :: v_dual_add_nc_u32 v18, 0xffffff81, v109
	v_lshrrev_b32_e32 v19, 23, v62
	s_mov_b32 s14, exec_lo
	s_delay_alu instid0(VALU_DEP_2) | instskip(NEXT) | instid1(VALU_DEP_1)
	v_cndmask_b32_e64 v18, v18, 0xffffff82, vcc_lo
	v_add3_u32 v73, v110, v18, v19
	v_and_b32_e32 v18, 0xfffff, v72
                                        ; implicit-def: $vgpr72
	s_delay_alu instid0(VALU_DEP_1) | instskip(NEXT) | instid1(VALU_DEP_1)
	v_dual_add_nc_u32 v109, 6, v73 :: v_dual_add_nc_u32 v62, v18, v62
	v_cmpx_ne_u32_e32 0, v109
	s_xor_b32 s14, exec_lo, s14
; %bb.2534:                             ;   in Loop: Header=BB2_2392 Depth=3
	s_delay_alu instid0(VALU_DEP_2) | instskip(SKIP_1) | instid1(VALU_DEP_1)
	v_cmp_lt_u64_e32 vcc_lo, 0xffffff, v[62:63]
	v_add_nc_u32_e32 v18, 7, v73
	v_cndmask_b32_e32 v72, v109, v18, vcc_lo
	v_cndmask_b32_e64 v18, 0, 1, vcc_lo
	s_delay_alu instid0(VALU_DEP_1)
	v_lshrrev_b64 v[62:63], v18, v[62:63]
; %bb.2535:                             ;   in Loop: Header=BB2_2392 Depth=3
	s_and_not1_saveexec_b32 s14, s14
; %bb.2536:                             ;   in Loop: Header=BB2_2392 Depth=3
	s_delay_alu instid0(VALU_DEP_1)
	v_bfe_u32 v72, v62, 23, 1
; %bb.2537:                             ;   in Loop: Header=BB2_2392 Depth=3
	s_or_b32 exec_lo, exec_lo, s14
	s_delay_alu instid0(VALU_DEP_2) | instskip(NEXT) | instid1(VALU_DEP_2)
	v_lshrrev_b64 v[62:63], 20, v[62:63]
	v_cmp_gt_i32_e32 vcc_lo, 16, v72
	v_min_i32_e32 v18, 15, v72
	v_cmp_eq_u32_e64 s14, 0, v72
	s_delay_alu instid0(VALU_DEP_2) | instskip(SKIP_1) | instid1(VALU_DEP_2)
	v_dual_cndmask_b32 v63, 0, v63 :: v_dual_lshlrev_b32 v18, 3, v18
	v_cndmask_b32_e32 v62, 7, v62, vcc_lo
	v_and_b32_e32 v18, 0xf8, v18
	s_delay_alu instid0(VALU_DEP_2) | instskip(NEXT) | instid1(VALU_DEP_2)
	v_cmp_eq_u64_e32 vcc_lo, 0, v[62:63]
	v_and_or_b32 v18, v62, 7, v18
	s_and_b32 s14, s14, vcc_lo
	s_delay_alu instid0(VALU_DEP_1) | instid1(SALU_CYCLE_1)
	v_cndmask_b32_e64 v18, v18, 0, s14
	s_delay_alu instid0(VALU_DEP_1)
	v_or_b32_e32 v72, v18, v61
.LBB2_2538:                             ;   in Loop: Header=BB2_2392 Depth=3
	s_or_b32 exec_lo, exec_lo, s45
                                        ; implicit-def: $vgpr61
.LBB2_2539:                             ;   in Loop: Header=BB2_2392 Depth=3
	s_and_not1_saveexec_b32 s14, s44
; %bb.2540:                             ;   in Loop: Header=BB2_2392 Depth=3
	v_or_b32_e32 v72, 0x7e, v61
; %bb.2541:                             ;   in Loop: Header=BB2_2392 Depth=3
	s_or_b32 exec_lo, exec_lo, s14
                                        ; implicit-def: $vgpr61
.LBB2_2542:                             ;   in Loop: Header=BB2_2392 Depth=3
	s_and_not1_saveexec_b32 s14, s15
; %bb.2543:                             ;   in Loop: Header=BB2_2392 Depth=3
	v_or_b32_e32 v72, 0x7f, v61
; %bb.2544:                             ;   in Loop: Header=BB2_2392 Depth=3
	s_or_b32 exec_lo, exec_lo, s14
	v_lshrrev_b16 v62, 8, v2
	v_mov_b32_e32 v61, 0
	s_mov_b32 s14, exec_lo
	s_delay_alu instid0(VALU_DEP_2)
	v_cmpx_ne_u16_e32 0, v62
	s_cbranch_execz .LBB2_2552
; %bb.2545:                             ;   in Loop: Header=BB2_2392 Depth=3
	v_bfrev_b32_e32 v61, 1
	s_mov_b32 s15, exec_lo
	v_cmpx_ne_u16_e32 0x80, v62
	s_cbranch_execz .LBB2_2551
; %bb.2546:                             ;   in Loop: Header=BB2_2392 Depth=3
	v_and_b32_e32 v62, 0xffff, v62
	v_mov_b32_e32 v61, 0x7f800001
	s_mov_b32 s44, exec_lo
	s_delay_alu instid0(VALU_DEP_2) | instskip(NEXT) | instid1(VALU_DEP_1)
	v_and_b32_e32 v73, 0x7f, v62
	v_cmpx_ne_u32_e32 0x7f, v73
	s_cbranch_execz .LBB2_2550
; %bb.2547:                             ;   in Loop: Header=BB2_2392 Depth=3
	v_dual_mov_b32 v63, v3 :: v_dual_bitop2_b32 v62, 7, v62 bitop3:0x40
	v_lshrrev_b32_e32 v61, 3, v73
	s_mov_b32 s45, exec_lo
	v_cmpx_gt_u32_e32 8, v73
; %bb.2548:                             ;   in Loop: Header=BB2_2392 Depth=3
	s_delay_alu instid0(VALU_DEP_3) | instskip(NEXT) | instid1(VALU_DEP_1)
	v_clz_i32_u32_e32 v18, v62
	v_min_u32_e32 v18, 32, v18
	s_delay_alu instid0(VALU_DEP_1) | instskip(SKIP_1) | instid1(VALU_DEP_2)
	v_subrev_nc_u32_e32 v19, 28, v18
	v_sub_nc_u32_e32 v61, 29, v18
	v_lshlrev_b64_e32 v[62:63], v19, v[62:63]
	s_delay_alu instid0(VALU_DEP_1)
	v_and_b32_e32 v62, 7, v62
; %bb.2549:                             ;   in Loop: Header=BB2_2392 Depth=3
	s_or_b32 exec_lo, exec_lo, s45
	v_lshlrev_b32_e32 v2, 16, v2
	s_delay_alu instid0(VALU_DEP_2) | instskip(SKIP_1) | instid1(VALU_DEP_3)
	v_lshlrev_b32_e32 v18, 20, v62
	v_lshl_add_u32 v19, v61, 23, 0x3c000000
	v_and_b32_e32 v2, 0x80000000, v2
	s_delay_alu instid0(VALU_DEP_1)
	v_or3_b32 v61, v18, v2, v19
.LBB2_2550:                             ;   in Loop: Header=BB2_2392 Depth=3
	s_or_b32 exec_lo, exec_lo, s44
.LBB2_2551:                             ;   in Loop: Header=BB2_2392 Depth=3
	s_delay_alu instid0(SALU_CYCLE_1)
	s_or_b32 exec_lo, exec_lo, s15
.LBB2_2552:                             ;   in Loop: Header=BB2_2392 Depth=3
	s_delay_alu instid0(SALU_CYCLE_1) | instskip(SKIP_3) | instid1(VALU_DEP_1)
	s_or_b32 exec_lo, exec_lo, s14
	v_lshrrev_b16 v60, 8, v60
	s_mov_b32 s15, 0
	s_mov_b32 s14, exec_lo
	v_cmpx_lt_i16_e32 0x7f, v60
	s_xor_b32 s14, exec_lo, s14
	s_cbranch_execz .LBB2_2559
; %bb.2553:                             ;   in Loop: Header=BB2_2392 Depth=3
	s_mov_b32 s15, -1
	s_mov_b32 s44, exec_lo
	v_cmpx_eq_u16_e32 0x80, v60
; %bb.2554:                             ;   in Loop: Header=BB2_2392 Depth=3
	s_xor_b32 s15, exec_lo, -1
; %bb.2555:                             ;   in Loop: Header=BB2_2392 Depth=3
	s_or_b32 exec_lo, exec_lo, s44
	s_delay_alu instid0(SALU_CYCLE_1)
	s_and_b32 s15, s15, exec_lo
	s_or_saveexec_b32 s14, s14
	v_bfrev_b32_e32 v62, 1
	s_xor_b32 exec_lo, exec_lo, s14
	s_cbranch_execnz .LBB2_2560
.LBB2_2556:                             ;   in Loop: Header=BB2_2392 Depth=3
	s_or_b32 exec_lo, exec_lo, s14
	s_and_saveexec_b32 s14, s15
	s_cbranch_execnz .LBB2_2561
	s_branch .LBB2_2564
.LBB2_2557:                             ;   in Loop: Header=BB2_2392 Depth=3
	s_or_saveexec_b32 s15, s15
	v_bfrev_b32_e32 v63, 1
	s_xor_b32 exec_lo, exec_lo, s15
	s_cbranch_execz .LBB2_2526
.LBB2_2558:                             ;   in Loop: Header=BB2_2392 Depth=3
	v_cmp_ne_u16_e32 vcc_lo, 0, v61
	v_mov_b32_e32 v63, 0
	s_and_not1_b32 s14, s14, exec_lo
	s_and_b32 s44, vcc_lo, exec_lo
	s_delay_alu instid0(SALU_CYCLE_1)
	s_or_b32 s14, s14, s44
	s_or_b32 exec_lo, exec_lo, s15
	v_mov_b32_e32 v61, v3
	s_and_saveexec_b32 s15, s14
	s_cbranch_execnz .LBB2_2527
	s_branch .LBB2_2528
.LBB2_2559:                             ;   in Loop: Header=BB2_2392 Depth=3
	s_or_saveexec_b32 s14, s14
	v_bfrev_b32_e32 v62, 1
	s_xor_b32 exec_lo, exec_lo, s14
	s_cbranch_execz .LBB2_2556
.LBB2_2560:                             ;   in Loop: Header=BB2_2392 Depth=3
	v_cmp_ne_u16_e32 vcc_lo, 0, v60
	v_mov_b32_e32 v62, 0
	s_and_not1_b32 s15, s15, exec_lo
	s_and_b32 s44, vcc_lo, exec_lo
	s_delay_alu instid0(SALU_CYCLE_1)
	s_or_b32 s15, s15, s44
	s_or_b32 exec_lo, exec_lo, s14
	s_and_saveexec_b32 s14, s15
	s_cbranch_execz .LBB2_2564
.LBB2_2561:                             ;   in Loop: Header=BB2_2392 Depth=3
	v_and_b32_e32 v2, 0xffff, v60
	v_mov_b32_e32 v62, 0x7f800001
	s_mov_b32 s15, exec_lo
	s_delay_alu instid0(VALU_DEP_2) | instskip(NEXT) | instid1(VALU_DEP_1)
	v_and_b32_e32 v63, 0x7f, v2
	v_cmpx_ne_u32_e32 0x7f, v63
	s_cbranch_execz .LBB2_2563
; %bb.2562:                             ;   in Loop: Header=BB2_2392 Depth=3
	v_and_b32_e32 v18, 7, v2
	v_cmp_gt_u32_e32 vcc_lo, 8, v63
	s_delay_alu instid0(VALU_DEP_2) | instskip(NEXT) | instid1(VALU_DEP_1)
	v_clz_i32_u32_e32 v19, v18
	v_min_u32_e32 v19, 32, v19
	s_delay_alu instid0(VALU_DEP_1) | instskip(NEXT) | instid1(VALU_DEP_1)
	v_subrev_nc_u32_e32 v62, 28, v19
	v_lshlrev_b64_e32 v[110:111], v62, v[2:3]
	v_lshrrev_b32_e32 v2, 3, v63
	s_delay_alu instid0(VALU_DEP_2) | instskip(NEXT) | instid1(VALU_DEP_1)
	v_dual_sub_nc_u32 v19, 29, v19 :: v_dual_bitop2_b32 v62, 7, v110 bitop3:0x40
	v_dual_lshlrev_b32 v60, 24, v60 :: v_dual_cndmask_b32 v2, v2, v19, vcc_lo
	s_delay_alu instid0(VALU_DEP_2) | instskip(NEXT) | instid1(VALU_DEP_2)
	v_cndmask_b32_e32 v18, v18, v62, vcc_lo
	v_and_b32_e32 v19, 0x80000000, v60
	s_delay_alu instid0(VALU_DEP_3) | instskip(NEXT) | instid1(VALU_DEP_3)
	v_lshl_add_u32 v2, v2, 23, 0x3c000000
	v_lshlrev_b32_e32 v18, 20, v18
	s_delay_alu instid0(VALU_DEP_1)
	v_or3_b32 v62, v18, v19, v2
.LBB2_2563:                             ;   in Loop: Header=BB2_2392 Depth=3
	s_or_b32 exec_lo, exec_lo, s15
.LBB2_2564:                             ;   in Loop: Header=BB2_2392 Depth=3
	s_delay_alu instid0(SALU_CYCLE_1) | instskip(NEXT) | instid1(VALU_DEP_1)
	s_or_b32 exec_lo, exec_lo, s14
	v_add_f32_e32 v60, v61, v62
                                        ; implicit-def: $vgpr73
	s_mov_b32 s14, exec_lo
	s_delay_alu instid0(VALU_DEP_1) | instskip(SKIP_1) | instid1(VALU_DEP_2)
	v_and_b32_e32 v2, 0x7f800000, v60
	v_lshrrev_b32_e32 v61, 24, v60
	v_cmpx_ne_u64_e32 0x7f800000, v[2:3]
	s_xor_b32 s15, exec_lo, s14
	s_cbranch_execz .LBB2_2578
; %bb.2565:                             ;   in Loop: Header=BB2_2392 Depth=3
	v_and_b32_e32 v2, 0x7fffffff, v60
	v_and_b32_e32 v109, 0x80, v61
                                        ; implicit-def: $vgpr73
	s_mov_b32 s14, exec_lo
	s_delay_alu instid0(VALU_DEP_2)
	v_cmpx_gt_u64_e32 0x43e00001, v[2:3]
	s_xor_b32 s44, exec_lo, s14
	s_cbranch_execz .LBB2_2575
; %bb.2566:                             ;   in Loop: Header=BB2_2392 Depth=3
	v_mov_b32_e32 v73, 0
	s_mov_b32 s45, exec_lo
	v_cmpx_ne_u32_e32 0, v60
	s_cbranch_execz .LBB2_2574
; %bb.2567:                             ;   in Loop: Header=BB2_2392 Depth=3
	v_bfe_u32 v73, v60, 23, 8
	s_delay_alu instid0(VALU_DEP_1) | instskip(SKIP_1) | instid1(VALU_DEP_2)
	v_sub_nc_u32_e32 v2, 0x79, v73
	v_cmp_gt_u32_e32 vcc_lo, 0x7a, v73
	v_cndmask_b32_e32 v2, 0, v2, vcc_lo
	v_cmp_eq_u32_e32 vcc_lo, 0, v73
	s_delay_alu instid0(VALU_DEP_2) | instskip(SKIP_1) | instid1(VALU_DEP_2)
	v_cndmask_b32_e64 v110, v2, 0x78, vcc_lo
	v_and_b32_e32 v2, 0x7fffff, v60
	v_add_nc_u32_e32 v18, 20, v110
	s_delay_alu instid0(VALU_DEP_2) | instskip(NEXT) | instid1(VALU_DEP_2)
	v_or_b32_e32 v19, 0x800000, v2
	v_lshlrev_b64_e64 v[60:61], v18, -1
	v_add_nc_u32_e32 v18, 19, v110
	s_delay_alu instid0(VALU_DEP_3) | instskip(NEXT) | instid1(VALU_DEP_2)
	v_cndmask_b32_e32 v2, v19, v2, vcc_lo
	v_lshlrev_b64_e64 v[62:63], v18, 1
	s_delay_alu instid0(VALU_DEP_4) | instskip(NEXT) | instid1(VALU_DEP_3)
	v_bfi_b32 v121, v61, 0, 0
	v_bfi_b32 v120, v60, 0, v2
	v_lshrrev_b64 v[60:61], v110, v[2:3]
	s_delay_alu instid0(VALU_DEP_2) | instskip(NEXT) | instid1(VALU_DEP_2)
	v_cmp_eq_u64_e64 s14, v[120:121], v[62:63]
	v_mov_b64_e32 v[62:63], v[60:61]
	s_and_saveexec_b32 s77, s14
; %bb.2568:                             ;   in Loop: Header=BB2_2392 Depth=3
	v_bfe_u32 v2, v60, 20, 1
	s_delay_alu instid0(VALU_DEP_1) | instskip(NEXT) | instid1(VALU_DEP_1)
	v_add_nc_u64_e32 v[62:63], v[60:61], v[2:3]
	v_add_nc_u64_e32 v[62:63], -1, v[62:63]
; %bb.2569:                             ;   in Loop: Header=BB2_2392 Depth=3
	s_or_b32 exec_lo, exec_lo, s77
	v_add_nc_u32_e32 v2, 0xffffff81, v73
	v_lshrrev_b32_e32 v18, 23, v60
	s_mov_b32 s14, exec_lo
	s_delay_alu instid0(VALU_DEP_2) | instskip(NEXT) | instid1(VALU_DEP_1)
	v_cndmask_b32_e64 v2, v2, 0xffffff82, vcc_lo
	v_add3_u32 v63, v110, v2, v18
	v_and_b32_e32 v2, 0xfffff, v62
                                        ; implicit-def: $vgpr62
	s_delay_alu instid0(VALU_DEP_1) | instskip(NEXT) | instid1(VALU_DEP_1)
	v_dual_add_nc_u32 v73, 6, v63 :: v_dual_add_nc_u32 v2, v2, v60
                                        ; implicit-def: $vgpr60_vgpr61
	v_cmpx_ne_u32_e32 0, v73
	s_xor_b32 s14, exec_lo, s14
; %bb.2570:                             ;   in Loop: Header=BB2_2392 Depth=3
	s_delay_alu instid0(VALU_DEP_2) | instskip(SKIP_1) | instid1(VALU_DEP_1)
	v_cmp_lt_u64_e32 vcc_lo, 0xffffff, v[2:3]
	v_add_nc_u32_e32 v18, 7, v63
	v_cndmask_b32_e32 v62, v73, v18, vcc_lo
	v_cndmask_b32_e64 v18, 0, 1, vcc_lo
	s_delay_alu instid0(VALU_DEP_1)
	v_lshrrev_b64 v[60:61], v18, v[2:3]
; %bb.2571:                             ;   in Loop: Header=BB2_2392 Depth=3
	s_and_not1_saveexec_b32 s14, s14
; %bb.2572:                             ;   in Loop: Header=BB2_2392 Depth=3
	v_mov_b64_e32 v[60:61], v[2:3]
	v_bfe_u32 v62, v2, 23, 1
; %bb.2573:                             ;   in Loop: Header=BB2_2392 Depth=3
	s_or_b32 exec_lo, exec_lo, s14
	s_delay_alu instid0(VALU_DEP_2) | instskip(NEXT) | instid1(VALU_DEP_2)
	v_lshrrev_b64 v[60:61], 20, v[60:61]
	v_cmp_gt_i32_e32 vcc_lo, 16, v62
	v_min_i32_e32 v2, 15, v62
	v_cmp_eq_u32_e64 s14, 0, v62
	s_delay_alu instid0(VALU_DEP_2) | instskip(SKIP_1) | instid1(VALU_DEP_2)
	v_dual_cndmask_b32 v61, 0, v61 :: v_dual_lshlrev_b32 v2, 3, v2
	v_cndmask_b32_e32 v60, 7, v60, vcc_lo
	v_and_b32_e32 v2, 0xf8, v2
	s_delay_alu instid0(VALU_DEP_2) | instskip(NEXT) | instid1(VALU_DEP_2)
	v_cmp_eq_u64_e32 vcc_lo, 0, v[60:61]
	v_and_or_b32 v2, v60, 7, v2
	s_and_b32 s14, s14, vcc_lo
	s_delay_alu instid0(VALU_DEP_1) | instid1(SALU_CYCLE_1)
	v_cndmask_b32_e64 v2, v2, 0, s14
	s_delay_alu instid0(VALU_DEP_1)
	v_or_b32_e32 v73, v2, v109
.LBB2_2574:                             ;   in Loop: Header=BB2_2392 Depth=3
	s_or_b32 exec_lo, exec_lo, s45
                                        ; implicit-def: $vgpr109
.LBB2_2575:                             ;   in Loop: Header=BB2_2392 Depth=3
	s_and_not1_saveexec_b32 s14, s44
; %bb.2576:                             ;   in Loop: Header=BB2_2392 Depth=3
	v_or_b32_e32 v73, 0x7e, v109
; %bb.2577:                             ;   in Loop: Header=BB2_2392 Depth=3
	s_or_b32 exec_lo, exec_lo, s14
                                        ; implicit-def: $vgpr61
.LBB2_2578:                             ;   in Loop: Header=BB2_2392 Depth=3
	s_and_not1_saveexec_b32 s14, s15
; %bb.2579:                             ;   in Loop: Header=BB2_2392 Depth=3
	v_or_b32_e32 v73, 0x7f, v61
; %bb.2580:                             ;   in Loop: Header=BB2_2392 Depth=3
	s_or_b32 exec_lo, exec_lo, s14
	v_dual_mov_b32 v60, 0 :: v_dual_lshrrev_b32 v61, 16, v13
	s_mov_b32 s14, exec_lo
	s_delay_alu instid0(VALU_DEP_1) | instskip(NEXT) | instid1(VALU_DEP_1)
	v_and_b32_e32 v2, 0xff, v61
	v_cmpx_ne_u16_e32 0, v2
	s_cbranch_execz .LBB2_2588
; %bb.2581:                             ;   in Loop: Header=BB2_2392 Depth=3
	v_bfrev_b32_e32 v60, 1
	s_mov_b32 s15, exec_lo
	v_cmpx_ne_u16_e32 0x80, v2
	s_cbranch_execz .LBB2_2587
; %bb.2582:                             ;   in Loop: Header=BB2_2392 Depth=3
	v_bfe_u32 v62, v13, 16, 7
	v_mov_b32_e32 v60, 0x7f800001
	s_mov_b32 s44, exec_lo
	s_delay_alu instid0(VALU_DEP_2)
	v_cmpx_ne_u32_e32 0x7f, v62
	s_cbranch_execz .LBB2_2586
; %bb.2583:                             ;   in Loop: Header=BB2_2392 Depth=3
	v_dual_lshrrev_b32 v60, 3, v62 :: v_dual_bitop2_b32 v2, 7, v61 bitop3:0x40
	s_mov_b32 s45, exec_lo
	v_cmpx_gt_u32_e32 8, v62
; %bb.2584:                             ;   in Loop: Header=BB2_2392 Depth=3
	s_delay_alu instid0(VALU_DEP_2) | instskip(NEXT) | instid1(VALU_DEP_1)
	v_clz_i32_u32_e32 v18, v2
	v_min_u32_e32 v18, 32, v18
	s_delay_alu instid0(VALU_DEP_1) | instskip(SKIP_1) | instid1(VALU_DEP_2)
	v_subrev_nc_u32_e32 v19, 28, v18
	v_sub_nc_u32_e32 v60, 29, v18
	v_lshlrev_b64_e32 v[62:63], v19, v[2:3]
	s_delay_alu instid0(VALU_DEP_1)
	v_and_b32_e32 v2, 7, v62
; %bb.2585:                             ;   in Loop: Header=BB2_2392 Depth=3
	s_or_b32 exec_lo, exec_lo, s45
	s_delay_alu instid0(VALU_DEP_1) | instskip(SKIP_1) | instid1(VALU_DEP_2)
	v_dual_lshlrev_b32 v18, 24, v61 :: v_dual_lshlrev_b32 v2, 20, v2
	v_lshl_add_u32 v19, v60, 23, 0x3c000000
	v_and_b32_e32 v18, 0x80000000, v18
	s_delay_alu instid0(VALU_DEP_1)
	v_or3_b32 v60, v2, v18, v19
.LBB2_2586:                             ;   in Loop: Header=BB2_2392 Depth=3
	s_or_b32 exec_lo, exec_lo, s44
.LBB2_2587:                             ;   in Loop: Header=BB2_2392 Depth=3
	s_delay_alu instid0(SALU_CYCLE_1)
	s_or_b32 exec_lo, exec_lo, s15
.LBB2_2588:                             ;   in Loop: Header=BB2_2392 Depth=3
	s_delay_alu instid0(SALU_CYCLE_1) | instskip(SKIP_3) | instid1(VALU_DEP_1)
	s_or_b32 exec_lo, exec_lo, s14
	v_lshrrev_b32_e32 v2, 16, v9
	s_mov_b32 s15, 0
	s_mov_b32 s14, exec_lo
	v_and_b32_e32 v62, 0xff, v2
	s_delay_alu instid0(VALU_DEP_1)
	v_cmpx_lt_i16_e32 0x7f, v62
	s_xor_b32 s14, exec_lo, s14
	s_cbranch_execz .LBB2_2593
; %bb.2589:                             ;   in Loop: Header=BB2_2392 Depth=3
	s_mov_b32 s15, -1
	s_mov_b32 s44, exec_lo
	v_cmpx_eq_u16_e32 0x80, v62
; %bb.2590:                             ;   in Loop: Header=BB2_2392 Depth=3
	s_xor_b32 s15, exec_lo, -1
; %bb.2591:                             ;   in Loop: Header=BB2_2392 Depth=3
	s_or_b32 exec_lo, exec_lo, s44
	s_delay_alu instid0(SALU_CYCLE_1)
	s_and_b32 s15, s15, exec_lo
                                        ; implicit-def: $vgpr62
	s_or_saveexec_b32 s14, s14
	v_bfrev_b32_e32 v61, 1
	s_xor_b32 exec_lo, exec_lo, s14
	s_cbranch_execnz .LBB2_2594
.LBB2_2592:                             ;   in Loop: Header=BB2_2392 Depth=3
	s_or_b32 exec_lo, exec_lo, s14
	s_and_saveexec_b32 s14, s15
	s_cbranch_execnz .LBB2_2595
	s_branch .LBB2_2598
.LBB2_2593:                             ;   in Loop: Header=BB2_2392 Depth=3
	s_or_saveexec_b32 s14, s14
	v_bfrev_b32_e32 v61, 1
	s_xor_b32 exec_lo, exec_lo, s14
	s_cbranch_execz .LBB2_2592
.LBB2_2594:                             ;   in Loop: Header=BB2_2392 Depth=3
	v_cmp_ne_u16_e32 vcc_lo, 0, v62
	v_mov_b32_e32 v61, 0
	s_and_not1_b32 s15, s15, exec_lo
	s_and_b32 s44, vcc_lo, exec_lo
	s_delay_alu instid0(SALU_CYCLE_1)
	s_or_b32 s15, s15, s44
	s_or_b32 exec_lo, exec_lo, s14
	s_and_saveexec_b32 s14, s15
	s_cbranch_execz .LBB2_2598
.LBB2_2595:                             ;   in Loop: Header=BB2_2392 Depth=3
	v_and_b32_e32 v62, 0x7f, v2
	v_mov_b32_e32 v61, 0x7f800001
	s_mov_b32 s15, exec_lo
	s_delay_alu instid0(VALU_DEP_2)
	v_cmpx_ne_u32_e32 0x7f, v62
	s_cbranch_execz .LBB2_2597
; %bb.2596:                             ;   in Loop: Header=BB2_2392 Depth=3
	v_and_b32_e32 v18, 7, v2
	v_cmp_gt_u32_e32 vcc_lo, 8, v62
	s_delay_alu instid0(VALU_DEP_2) | instskip(NEXT) | instid1(VALU_DEP_1)
	v_clz_i32_u32_e32 v19, v18
	v_min_u32_e32 v19, 32, v19
	s_delay_alu instid0(VALU_DEP_1) | instskip(SKIP_1) | instid1(VALU_DEP_2)
	v_subrev_nc_u32_e32 v61, 28, v19
	v_sub_nc_u32_e32 v19, 29, v19
	v_lshlrev_b64_e32 v[110:111], v61, v[2:3]
	v_lshrrev_b32_e32 v61, 3, v62
	v_lshlrev_b32_e32 v2, 24, v2
	s_delay_alu instid0(VALU_DEP_1) | instskip(NEXT) | instid1(VALU_DEP_4)
	v_and_b32_e32 v2, 0x80000000, v2
	v_and_b32_e32 v62, 7, v110
	s_delay_alu instid0(VALU_DEP_1) | instskip(NEXT) | instid1(VALU_DEP_1)
	v_dual_cndmask_b32 v18, v18, v62 :: v_dual_cndmask_b32 v19, v61, v19
	v_lshlrev_b32_e32 v18, 20, v18
	s_delay_alu instid0(VALU_DEP_2) | instskip(NEXT) | instid1(VALU_DEP_1)
	v_lshl_add_u32 v19, v19, 23, 0x3c000000
	v_or3_b32 v61, v18, v2, v19
.LBB2_2597:                             ;   in Loop: Header=BB2_2392 Depth=3
	s_or_b32 exec_lo, exec_lo, s15
.LBB2_2598:                             ;   in Loop: Header=BB2_2392 Depth=3
	s_delay_alu instid0(SALU_CYCLE_1) | instskip(NEXT) | instid1(VALU_DEP_1)
	s_or_b32 exec_lo, exec_lo, s14
	v_add_f32_e32 v60, v60, v61
                                        ; implicit-def: $vgpr62
	s_mov_b32 s14, exec_lo
	s_delay_alu instid0(VALU_DEP_1) | instskip(SKIP_1) | instid1(VALU_DEP_2)
	v_and_b32_e32 v2, 0x7f800000, v60
	v_lshrrev_b32_e32 v61, 24, v60
	v_cmpx_ne_u64_e32 0x7f800000, v[2:3]
	s_xor_b32 s15, exec_lo, s14
	s_cbranch_execz .LBB2_2612
; %bb.2599:                             ;   in Loop: Header=BB2_2392 Depth=3
	v_and_b32_e32 v2, 0x7fffffff, v60
	v_and_b32_e32 v109, 0x80, v61
                                        ; implicit-def: $vgpr62
	s_mov_b32 s14, exec_lo
	s_delay_alu instid0(VALU_DEP_2)
	v_cmpx_gt_u64_e32 0x43e00001, v[2:3]
	s_xor_b32 s44, exec_lo, s14
	s_cbranch_execz .LBB2_2609
; %bb.2600:                             ;   in Loop: Header=BB2_2392 Depth=3
	v_mov_b32_e32 v62, 0
	s_mov_b32 s45, exec_lo
	v_cmpx_ne_u32_e32 0, v60
	s_cbranch_execz .LBB2_2608
; %bb.2601:                             ;   in Loop: Header=BB2_2392 Depth=3
	v_bfe_u32 v110, v60, 23, 8
	s_delay_alu instid0(VALU_DEP_1) | instskip(SKIP_1) | instid1(VALU_DEP_2)
	v_sub_nc_u32_e32 v2, 0x79, v110
	v_cmp_gt_u32_e32 vcc_lo, 0x7a, v110
	v_cndmask_b32_e32 v2, 0, v2, vcc_lo
	v_cmp_eq_u32_e32 vcc_lo, 0, v110
	s_delay_alu instid0(VALU_DEP_2) | instskip(SKIP_1) | instid1(VALU_DEP_2)
	v_cndmask_b32_e64 v111, v2, 0x78, vcc_lo
	v_and_b32_e32 v2, 0x7fffff, v60
	v_add_nc_u32_e32 v18, 20, v111
	s_delay_alu instid0(VALU_DEP_2) | instskip(NEXT) | instid1(VALU_DEP_2)
	v_or_b32_e32 v19, 0x800000, v2
	v_lshlrev_b64_e64 v[60:61], v18, -1
	s_delay_alu instid0(VALU_DEP_2) | instskip(NEXT) | instid1(VALU_DEP_1)
	v_dual_add_nc_u32 v18, 19, v111 :: v_dual_cndmask_b32 v2, v19, v2, vcc_lo
	v_lshlrev_b64_e64 v[62:63], v18, 1
	s_delay_alu instid0(VALU_DEP_3) | instskip(NEXT) | instid1(VALU_DEP_3)
	v_bfi_b32 v121, v61, 0, 0
	v_bfi_b32 v120, v60, 0, v2
	v_lshrrev_b64 v[60:61], v111, v[2:3]
	s_delay_alu instid0(VALU_DEP_2) | instskip(NEXT) | instid1(VALU_DEP_2)
	v_cmp_eq_u64_e64 s14, v[120:121], v[62:63]
	v_mov_b64_e32 v[62:63], v[60:61]
	s_and_saveexec_b32 s77, s14
; %bb.2602:                             ;   in Loop: Header=BB2_2392 Depth=3
	v_bfe_u32 v2, v60, 20, 1
	s_delay_alu instid0(VALU_DEP_1) | instskip(NEXT) | instid1(VALU_DEP_1)
	v_add_nc_u64_e32 v[62:63], v[60:61], v[2:3]
	v_add_nc_u64_e32 v[62:63], -1, v[62:63]
; %bb.2603:                             ;   in Loop: Header=BB2_2392 Depth=3
	s_or_b32 exec_lo, exec_lo, s77
	v_add_nc_u32_e32 v2, 0xffffff81, v110
	v_lshrrev_b32_e32 v18, 23, v60
	s_mov_b32 s14, exec_lo
	s_delay_alu instid0(VALU_DEP_2) | instskip(NEXT) | instid1(VALU_DEP_1)
	v_cndmask_b32_e64 v2, v2, 0xffffff82, vcc_lo
	v_add3_u32 v63, v111, v2, v18
	v_and_b32_e32 v2, 0xfffff, v62
                                        ; implicit-def: $vgpr62
	s_delay_alu instid0(VALU_DEP_1) | instskip(NEXT) | instid1(VALU_DEP_1)
	v_dual_add_nc_u32 v110, 6, v63 :: v_dual_add_nc_u32 v2, v2, v60
                                        ; implicit-def: $vgpr60_vgpr61
	v_cmpx_ne_u32_e32 0, v110
	s_xor_b32 s14, exec_lo, s14
; %bb.2604:                             ;   in Loop: Header=BB2_2392 Depth=3
	s_delay_alu instid0(VALU_DEP_2) | instskip(SKIP_1) | instid1(VALU_DEP_1)
	v_cmp_lt_u64_e32 vcc_lo, 0xffffff, v[2:3]
	v_add_nc_u32_e32 v18, 7, v63
	v_cndmask_b32_e32 v62, v110, v18, vcc_lo
	v_cndmask_b32_e64 v18, 0, 1, vcc_lo
	s_delay_alu instid0(VALU_DEP_1)
	v_lshrrev_b64 v[60:61], v18, v[2:3]
; %bb.2605:                             ;   in Loop: Header=BB2_2392 Depth=3
	s_and_not1_saveexec_b32 s14, s14
; %bb.2606:                             ;   in Loop: Header=BB2_2392 Depth=3
	v_mov_b64_e32 v[60:61], v[2:3]
	v_bfe_u32 v62, v2, 23, 1
; %bb.2607:                             ;   in Loop: Header=BB2_2392 Depth=3
	s_or_b32 exec_lo, exec_lo, s14
	s_delay_alu instid0(VALU_DEP_2) | instskip(NEXT) | instid1(VALU_DEP_2)
	v_lshrrev_b64 v[60:61], 20, v[60:61]
	v_cmp_gt_i32_e32 vcc_lo, 16, v62
	v_min_i32_e32 v2, 15, v62
	v_cmp_eq_u32_e64 s14, 0, v62
	s_delay_alu instid0(VALU_DEP_2) | instskip(SKIP_1) | instid1(VALU_DEP_2)
	v_dual_cndmask_b32 v61, 0, v61 :: v_dual_lshlrev_b32 v2, 3, v2
	v_cndmask_b32_e32 v60, 7, v60, vcc_lo
	v_and_b32_e32 v2, 0xf8, v2
	s_delay_alu instid0(VALU_DEP_2) | instskip(NEXT) | instid1(VALU_DEP_2)
	v_cmp_eq_u64_e32 vcc_lo, 0, v[60:61]
	v_and_or_b32 v2, v60, 7, v2
	s_and_b32 s14, s14, vcc_lo
	s_delay_alu instid0(VALU_DEP_1) | instid1(SALU_CYCLE_1)
	v_cndmask_b32_e64 v2, v2, 0, s14
	s_delay_alu instid0(VALU_DEP_1)
	v_or_b32_e32 v62, v2, v109
.LBB2_2608:                             ;   in Loop: Header=BB2_2392 Depth=3
	s_or_b32 exec_lo, exec_lo, s45
                                        ; implicit-def: $vgpr109
.LBB2_2609:                             ;   in Loop: Header=BB2_2392 Depth=3
	s_and_not1_saveexec_b32 s14, s44
; %bb.2610:                             ;   in Loop: Header=BB2_2392 Depth=3
	v_or_b32_e32 v62, 0x7e, v109
; %bb.2611:                             ;   in Loop: Header=BB2_2392 Depth=3
	s_or_b32 exec_lo, exec_lo, s14
                                        ; implicit-def: $vgpr61
.LBB2_2612:                             ;   in Loop: Header=BB2_2392 Depth=3
	s_and_not1_saveexec_b32 s14, s15
; %bb.2613:                             ;   in Loop: Header=BB2_2392 Depth=3
	v_or_b32_e32 v62, 0x7f, v61
; %bb.2614:                             ;   in Loop: Header=BB2_2392 Depth=3
	s_or_b32 exec_lo, exec_lo, s14
	v_cmp_lt_u64_e32 vcc_lo, s[22:23], v[12:13]
	v_mov_b32_e32 v12, 0
	s_and_saveexec_b32 s14, vcc_lo
	s_cbranch_execz .LBB2_2622
; %bb.2615:                             ;   in Loop: Header=BB2_2392 Depth=3
	v_lshrrev_b32_e32 v60, 24, v13
	v_bfrev_b32_e32 v12, 1
	s_mov_b32 s15, exec_lo
	s_delay_alu instid0(VALU_DEP_2)
	v_cmpx_ne_u32_e32 0x80, v60
	s_cbranch_execz .LBB2_2621
; %bb.2616:                             ;   in Loop: Header=BB2_2392 Depth=3
	v_bfe_u32 v13, v13, 24, 7
	v_mov_b32_e32 v12, 0x7f800001
	s_mov_b32 s44, exec_lo
	s_delay_alu instid0(VALU_DEP_2)
	v_cmpx_ne_u32_e32 0x7f, v13
	s_cbranch_execz .LBB2_2620
; %bb.2617:                             ;   in Loop: Header=BB2_2392 Depth=3
	v_dual_lshrrev_b32 v12, 3, v13 :: v_dual_bitop2_b32 v2, 7, v60 bitop3:0x40
	s_mov_b32 s45, exec_lo
	v_cmpx_gt_u32_e32 8, v13
; %bb.2618:                             ;   in Loop: Header=BB2_2392 Depth=3
	s_delay_alu instid0(VALU_DEP_2) | instskip(NEXT) | instid1(VALU_DEP_1)
	v_clz_i32_u32_e32 v12, v2
	v_min_u32_e32 v12, 32, v12
	s_delay_alu instid0(VALU_DEP_1) | instskip(NEXT) | instid1(VALU_DEP_1)
	v_subrev_nc_u32_e32 v13, 28, v12
	v_lshlrev_b64_e32 v[110:111], v13, v[2:3]
	s_delay_alu instid0(VALU_DEP_1)
	v_dual_sub_nc_u32 v12, 29, v12 :: v_dual_bitop2_b32 v2, 7, v110 bitop3:0x40
; %bb.2619:                             ;   in Loop: Header=BB2_2392 Depth=3
	s_or_b32 exec_lo, exec_lo, s45
	s_delay_alu instid0(VALU_DEP_1) | instskip(NEXT) | instid1(VALU_DEP_2)
	v_dual_lshlrev_b32 v13, 24, v60 :: v_dual_lshlrev_b32 v2, 20, v2
	v_lshl_add_u32 v12, v12, 23, 0x3c000000
	s_delay_alu instid0(VALU_DEP_2) | instskip(NEXT) | instid1(VALU_DEP_1)
	v_and_b32_e32 v13, 0x80000000, v13
	v_or3_b32 v12, v2, v13, v12
.LBB2_2620:                             ;   in Loop: Header=BB2_2392 Depth=3
	s_or_b32 exec_lo, exec_lo, s44
.LBB2_2621:                             ;   in Loop: Header=BB2_2392 Depth=3
	s_delay_alu instid0(SALU_CYCLE_1)
	s_or_b32 exec_lo, exec_lo, s15
.LBB2_2622:                             ;   in Loop: Header=BB2_2392 Depth=3
	s_delay_alu instid0(SALU_CYCLE_1) | instskip(SKIP_3) | instid1(VALU_DEP_3)
	s_or_b32 exec_lo, exec_lo, s14
	v_lshrrev_b32_e32 v2, 24, v9
	v_bfe_u32 v13, v9, 24, 7
	v_cmp_gt_u64_e64 s15, s[24:25], v[8:9]
	v_cmp_eq_u32_e64 s14, 0x80, v2
	s_delay_alu instid0(VALU_DEP_3) | instskip(NEXT) | instid1(VALU_DEP_2)
	v_cmp_eq_u32_e32 vcc_lo, 0x7f, v13
	v_cndmask_b32_e64 v18, 0x7f800001, v77, s14
	s_or_b32 s14, s14, vcc_lo
	s_delay_alu instid0(VALU_DEP_1) | instskip(SKIP_1) | instid1(SALU_CYCLE_1)
	v_cndmask_b32_e64 v8, v18, 0, s15
	s_nor_b32 s15, s15, s14
	s_and_saveexec_b32 s14, s15
	s_cbranch_execz .LBB2_2624
; %bb.2623:                             ;   in Loop: Header=BB2_2392 Depth=3
	v_and_b32_e32 v18, 7, v2
	v_cmp_gt_u32_e32 vcc_lo, 8, v13
	s_delay_alu instid0(VALU_DEP_2) | instskip(NEXT) | instid1(VALU_DEP_1)
	v_clz_i32_u32_e32 v8, v18
	v_min_u32_e32 v19, 32, v8
	s_delay_alu instid0(VALU_DEP_1) | instskip(NEXT) | instid1(VALU_DEP_1)
	v_subrev_nc_u32_e32 v8, 28, v19
	v_lshlrev_b64_e32 v[8:9], v8, v[2:3]
	v_dual_lshrrev_b32 v9, 3, v13 :: v_dual_sub_nc_u32 v19, 29, v19
	s_delay_alu instid0(VALU_DEP_2) | instskip(NEXT) | instid1(VALU_DEP_1)
	v_dual_lshlrev_b32 v2, 24, v2 :: v_dual_bitop2_b32 v8, 7, v8 bitop3:0x40
	v_dual_cndmask_b32 v9, v9, v19 :: v_dual_cndmask_b32 v8, v18, v8
	s_delay_alu instid0(VALU_DEP_2) | instskip(NEXT) | instid1(VALU_DEP_2)
	v_and_b32_e32 v2, 0x80000000, v2
	v_lshl_add_u32 v9, v9, 23, 0x3c000000
	s_delay_alu instid0(VALU_DEP_3) | instskip(NEXT) | instid1(VALU_DEP_1)
	v_lshlrev_b32_e32 v8, 20, v8
	v_or3_b32 v8, v8, v2, v9
.LBB2_2624:                             ;   in Loop: Header=BB2_2392 Depth=3
	s_or_b32 exec_lo, exec_lo, s14
	s_delay_alu instid0(VALU_DEP_1) | instskip(SKIP_1) | instid1(VALU_DEP_1)
	v_add_f32_e32 v8, v12, v8
                                        ; implicit-def: $vgpr63
	s_mov_b32 s14, exec_lo
	v_and_b32_e32 v2, 0x7f800000, v8
	v_lshrrev_b32_e32 v9, 24, v8
	s_delay_alu instid0(VALU_DEP_2)
	v_cmpx_ne_u64_e32 0x7f800000, v[2:3]
	s_xor_b32 s15, exec_lo, s14
	s_cbranch_execz .LBB2_2638
; %bb.2625:                             ;   in Loop: Header=BB2_2392 Depth=3
	v_and_b32_e32 v2, 0x7fffffff, v8
	v_and_b32_e32 v60, 0x80, v9
                                        ; implicit-def: $vgpr63
	s_mov_b32 s14, exec_lo
	s_delay_alu instid0(VALU_DEP_2)
	v_cmpx_gt_u64_e32 0x43e00001, v[2:3]
	s_xor_b32 s44, exec_lo, s14
	s_cbranch_execz .LBB2_2635
; %bb.2626:                             ;   in Loop: Header=BB2_2392 Depth=3
	v_mov_b32_e32 v63, 0
	s_mov_b32 s45, exec_lo
	v_cmpx_ne_u32_e32 0, v8
	s_cbranch_execz .LBB2_2634
; %bb.2627:                             ;   in Loop: Header=BB2_2392 Depth=3
	v_bfe_u32 v61, v8, 23, 8
	s_delay_alu instid0(VALU_DEP_1) | instskip(SKIP_1) | instid1(VALU_DEP_2)
	v_sub_nc_u32_e32 v2, 0x79, v61
	v_cmp_gt_u32_e32 vcc_lo, 0x7a, v61
	v_cndmask_b32_e32 v2, 0, v2, vcc_lo
	v_cmp_eq_u32_e32 vcc_lo, 0, v61
	s_delay_alu instid0(VALU_DEP_2) | instskip(SKIP_1) | instid1(VALU_DEP_2)
	v_cndmask_b32_e64 v63, v2, 0x78, vcc_lo
	v_and_b32_e32 v2, 0x7fffff, v8
	v_add_nc_u32_e32 v8, 20, v63
	s_delay_alu instid0(VALU_DEP_2) | instskip(SKIP_1) | instid1(VALU_DEP_3)
	v_or_b32_e32 v12, 0x800000, v2
	v_add_nc_u32_e32 v13, 19, v63
	v_lshlrev_b64_e64 v[8:9], v8, -1
	s_delay_alu instid0(VALU_DEP_3) | instskip(NEXT) | instid1(VALU_DEP_3)
	v_cndmask_b32_e32 v2, v12, v2, vcc_lo
	v_lshlrev_b64_e64 v[12:13], v13, 1
	s_delay_alu instid0(VALU_DEP_3) | instskip(NEXT) | instid1(VALU_DEP_3)
	v_bfi_b32 v111, v9, 0, 0
	v_bfi_b32 v110, v8, 0, v2
	v_lshrrev_b64 v[8:9], v63, v[2:3]
	s_delay_alu instid0(VALU_DEP_2) | instskip(NEXT) | instid1(VALU_DEP_2)
	v_cmp_eq_u64_e64 s14, v[110:111], v[12:13]
	v_mov_b64_e32 v[12:13], v[8:9]
	s_and_saveexec_b32 s77, s14
; %bb.2628:                             ;   in Loop: Header=BB2_2392 Depth=3
	v_bfe_u32 v2, v8, 20, 1
	s_delay_alu instid0(VALU_DEP_1) | instskip(NEXT) | instid1(VALU_DEP_1)
	v_add_nc_u64_e32 v[12:13], v[8:9], v[2:3]
	v_add_nc_u64_e32 v[12:13], -1, v[12:13]
; %bb.2629:                             ;   in Loop: Header=BB2_2392 Depth=3
	s_or_b32 exec_lo, exec_lo, s77
	v_add_nc_u32_e32 v2, 0xffffff81, v61
	v_lshrrev_b32_e32 v9, 23, v8
	s_mov_b32 s14, exec_lo
	s_delay_alu instid0(VALU_DEP_2) | instskip(NEXT) | instid1(VALU_DEP_1)
	v_cndmask_b32_e64 v2, v2, 0xffffff82, vcc_lo
	v_add3_u32 v13, v63, v2, v9
	v_and_b32_e32 v2, 0xfffff, v12
                                        ; implicit-def: $vgpr12
	s_delay_alu instid0(VALU_DEP_1) | instskip(NEXT) | instid1(VALU_DEP_1)
	v_dual_add_nc_u32 v61, 6, v13 :: v_dual_add_nc_u32 v2, v2, v8
                                        ; implicit-def: $vgpr8_vgpr9
	v_cmpx_ne_u32_e32 0, v61
	s_xor_b32 s14, exec_lo, s14
; %bb.2630:                             ;   in Loop: Header=BB2_2392 Depth=3
	s_delay_alu instid0(VALU_DEP_2) | instskip(SKIP_1) | instid1(VALU_DEP_1)
	v_cmp_lt_u64_e32 vcc_lo, 0xffffff, v[2:3]
	v_add_nc_u32_e32 v8, 7, v13
	v_cndmask_b32_e32 v12, v61, v8, vcc_lo
	v_cndmask_b32_e64 v8, 0, 1, vcc_lo
	s_delay_alu instid0(VALU_DEP_1)
	v_lshrrev_b64 v[8:9], v8, v[2:3]
; %bb.2631:                             ;   in Loop: Header=BB2_2392 Depth=3
	s_and_not1_saveexec_b32 s14, s14
; %bb.2632:                             ;   in Loop: Header=BB2_2392 Depth=3
	v_mov_b64_e32 v[8:9], v[2:3]
	v_bfe_u32 v12, v2, 23, 1
; %bb.2633:                             ;   in Loop: Header=BB2_2392 Depth=3
	s_or_b32 exec_lo, exec_lo, s14
	s_delay_alu instid0(VALU_DEP_2) | instskip(NEXT) | instid1(VALU_DEP_2)
	v_lshrrev_b64 v[8:9], 20, v[8:9]
	v_cmp_gt_i32_e32 vcc_lo, 16, v12
	v_min_i32_e32 v2, 15, v12
	v_cmp_eq_u32_e64 s14, 0, v12
	s_delay_alu instid0(VALU_DEP_2) | instskip(SKIP_1) | instid1(VALU_DEP_2)
	v_dual_cndmask_b32 v9, 0, v9 :: v_dual_lshlrev_b32 v2, 3, v2
	v_cndmask_b32_e32 v8, 7, v8, vcc_lo
	v_and_b32_e32 v2, 0xf8, v2
	s_delay_alu instid0(VALU_DEP_2) | instskip(NEXT) | instid1(VALU_DEP_2)
	v_cmp_eq_u64_e32 vcc_lo, 0, v[8:9]
	v_and_or_b32 v2, v8, 7, v2
	s_and_b32 s14, s14, vcc_lo
	s_delay_alu instid0(VALU_DEP_1) | instid1(SALU_CYCLE_1)
	v_cndmask_b32_e64 v2, v2, 0, s14
	s_delay_alu instid0(VALU_DEP_1)
	v_or_b32_e32 v63, v2, v60
.LBB2_2634:                             ;   in Loop: Header=BB2_2392 Depth=3
	s_or_b32 exec_lo, exec_lo, s45
                                        ; implicit-def: $vgpr60
.LBB2_2635:                             ;   in Loop: Header=BB2_2392 Depth=3
	s_and_not1_saveexec_b32 s14, s44
; %bb.2636:                             ;   in Loop: Header=BB2_2392 Depth=3
	v_or_b32_e32 v63, 0x7e, v60
; %bb.2637:                             ;   in Loop: Header=BB2_2392 Depth=3
	s_or_b32 exec_lo, exec_lo, s14
                                        ; implicit-def: $vgpr9
.LBB2_2638:                             ;   in Loop: Header=BB2_2392 Depth=3
	s_and_not1_saveexec_b32 s14, s15
; %bb.2639:                             ;   in Loop: Header=BB2_2392 Depth=3
	v_or_b32_e32 v63, 0x7f, v9
; %bb.2640:                             ;   in Loop: Header=BB2_2392 Depth=3
	s_or_b32 exec_lo, exec_lo, s14
	v_and_b32_e32 v8, 0xff, v14
	v_mov_b32_e32 v2, 0
	s_mov_b32 s14, exec_lo
	s_delay_alu instid0(VALU_DEP_2)
	v_cmpx_ne_u16_e32 0, v8
	s_cbranch_execz .LBB2_2646
; %bb.2641:                             ;   in Loop: Header=BB2_2392 Depth=3
	v_bfrev_b32_e32 v2, 1
	s_mov_b32 s15, exec_lo
	v_cmpx_ne_u16_e32 0x80, v8
	s_cbranch_execz .LBB2_2645
; %bb.2642:                             ;   in Loop: Header=BB2_2392 Depth=3
	v_and_b32_e32 v8, 0x7f, v14
	v_mov_b32_e32 v2, 0x7f800001
	s_mov_b32 s44, exec_lo
	s_delay_alu instid0(VALU_DEP_2)
	v_cmpx_ne_u32_e32 0x7f, v8
	s_cbranch_execz .LBB2_2644
; %bb.2643:                             ;   in Loop: Header=BB2_2392 Depth=3
	v_dual_lshrrev_b32 v9, 3, v8 :: v_dual_bitop2_b32 v2, 7, v14 bitop3:0x40
	v_cmp_gt_u32_e32 vcc_lo, 8, v8
	s_delay_alu instid0(VALU_DEP_2) | instskip(NEXT) | instid1(VALU_DEP_1)
	v_clz_i32_u32_e32 v2, v2
	v_min_u32_e32 v2, 32, v2
	s_delay_alu instid0(VALU_DEP_1) | instskip(NEXT) | instid1(VALU_DEP_1)
	v_subrev_nc_u32_e32 v12, 28, v2
	v_dual_sub_nc_u32 v2, 29, v2 :: v_dual_cndmask_b32 v8, 0, v12, vcc_lo
	s_delay_alu instid0(VALU_DEP_1) | instskip(NEXT) | instid1(VALU_DEP_2)
	v_cndmask_b32_e32 v2, v9, v2, vcc_lo
	v_lshlrev_b64_e32 v[8:9], v8, v[14:15]
	v_lshlrev_b32_e32 v9, 24, v14
	s_delay_alu instid0(VALU_DEP_1) | instskip(NEXT) | instid1(VALU_DEP_3)
	v_and_b32_e32 v9, 0x80000000, v9
	v_lshlrev_b32_e32 v8, 20, v8
	v_lshl_add_u32 v2, v2, 23, 0x3c000000
	s_delay_alu instid0(VALU_DEP_2) | instskip(NEXT) | instid1(VALU_DEP_1)
	v_and_b32_e32 v8, 0x700000, v8
	v_or3_b32 v2, v8, v9, v2
.LBB2_2644:                             ;   in Loop: Header=BB2_2392 Depth=3
	s_or_b32 exec_lo, exec_lo, s44
.LBB2_2645:                             ;   in Loop: Header=BB2_2392 Depth=3
	s_delay_alu instid0(SALU_CYCLE_1)
	s_or_b32 exec_lo, exec_lo, s15
.LBB2_2646:                             ;   in Loop: Header=BB2_2392 Depth=3
	s_delay_alu instid0(SALU_CYCLE_1) | instskip(SKIP_3) | instid1(VALU_DEP_1)
	s_or_b32 exec_lo, exec_lo, s14
	v_and_b32_e32 v9, 0xff, v10
	s_mov_b32 s14, 0
	s_mov_b32 s15, exec_lo
	v_cmpx_lt_i16_e32 0x7f, v9
	s_xor_b32 s15, exec_lo, s15
	s_cbranch_execz .LBB2_2681
; %bb.2647:                             ;   in Loop: Header=BB2_2392 Depth=3
	s_mov_b32 s14, -1
	s_mov_b32 s44, exec_lo
	v_cmpx_eq_u16_e32 0x80, v9
; %bb.2648:                             ;   in Loop: Header=BB2_2392 Depth=3
	s_xor_b32 s14, exec_lo, -1
; %bb.2649:                             ;   in Loop: Header=BB2_2392 Depth=3
	s_or_b32 exec_lo, exec_lo, s44
	s_delay_alu instid0(SALU_CYCLE_1)
	s_and_b32 s14, s14, exec_lo
                                        ; implicit-def: $vgpr9
	s_or_saveexec_b32 s15, s15
	v_bfrev_b32_e32 v8, 1
	s_xor_b32 exec_lo, exec_lo, s15
	s_cbranch_execnz .LBB2_2682
.LBB2_2650:                             ;   in Loop: Header=BB2_2392 Depth=3
	s_or_b32 exec_lo, exec_lo, s15
	s_and_saveexec_b32 s15, s14
	s_cbranch_execz .LBB2_2652
.LBB2_2651:                             ;   in Loop: Header=BB2_2392 Depth=3
	v_and_b32_e32 v8, 7, v10
	v_and_b32_e32 v12, 0x7f, v10
	v_bfe_u32 v9, v10, 3, 4
	s_delay_alu instid0(VALU_DEP_3) | instskip(NEXT) | instid1(VALU_DEP_3)
	v_clz_i32_u32_e32 v8, v8
	v_cmp_gt_u32_e32 vcc_lo, 8, v12
	s_delay_alu instid0(VALU_DEP_2) | instskip(NEXT) | instid1(VALU_DEP_1)
	v_min_u32_e32 v8, 32, v8
	v_subrev_nc_u32_e32 v13, 28, v8
	v_sub_nc_u32_e32 v8, 29, v8
	s_delay_alu instid0(VALU_DEP_1) | instskip(SKIP_1) | instid1(VALU_DEP_2)
	v_dual_cndmask_b32 v18, v9, v8, vcc_lo :: v_dual_cndmask_b32 v8, 0, v13, vcc_lo
	v_cmp_ne_u32_e32 vcc_lo, 0x7f, v12
	v_lshl_add_u32 v13, v18, 23, 0x3c000000
	s_delay_alu instid0(VALU_DEP_3) | instskip(SKIP_1) | instid1(VALU_DEP_1)
	v_lshlrev_b64_e32 v[8:9], v8, v[10:11]
	v_lshlrev_b32_e32 v9, 24, v10
	v_and_b32_e32 v9, 0x80000000, v9
	s_delay_alu instid0(VALU_DEP_3) | instskip(NEXT) | instid1(VALU_DEP_1)
	v_lshlrev_b32_e32 v8, 20, v8
	v_and_b32_e32 v8, 0x700000, v8
	s_delay_alu instid0(VALU_DEP_1) | instskip(NEXT) | instid1(VALU_DEP_1)
	v_or3_b32 v8, v8, v9, v13
	v_cndmask_b32_e32 v8, 0x7f800001, v8, vcc_lo
.LBB2_2652:                             ;   in Loop: Header=BB2_2392 Depth=3
	s_or_b32 exec_lo, exec_lo, s15
	s_delay_alu instid0(VALU_DEP_1) | instskip(SKIP_1) | instid1(VALU_DEP_1)
	v_add_f32_e32 v8, v2, v8
                                        ; implicit-def: $vgpr109
	s_mov_b32 s14, exec_lo
	v_and_b32_e32 v2, 0x7f800000, v8
	v_lshrrev_b32_e32 v9, 24, v8
	s_delay_alu instid0(VALU_DEP_2)
	v_cmpx_ne_u64_e32 0x7f800000, v[2:3]
	s_xor_b32 s15, exec_lo, s14
	s_cbranch_execz .LBB2_2666
; %bb.2653:                             ;   in Loop: Header=BB2_2392 Depth=3
	v_and_b32_e32 v2, 0x7fffffff, v8
	v_and_b32_e32 v60, 0x80, v9
                                        ; implicit-def: $vgpr109
	s_mov_b32 s14, exec_lo
	s_delay_alu instid0(VALU_DEP_2)
	v_cmpx_gt_u64_e32 0x43e00001, v[2:3]
	s_xor_b32 s44, exec_lo, s14
	s_cbranch_execz .LBB2_2663
; %bb.2654:                             ;   in Loop: Header=BB2_2392 Depth=3
	v_mov_b32_e32 v109, 0
	s_mov_b32 s45, exec_lo
	v_cmpx_ne_u32_e32 0, v8
	s_cbranch_execz .LBB2_2662
; %bb.2655:                             ;   in Loop: Header=BB2_2392 Depth=3
	v_bfe_u32 v61, v8, 23, 8
	s_delay_alu instid0(VALU_DEP_1) | instskip(SKIP_1) | instid1(VALU_DEP_2)
	v_sub_nc_u32_e32 v2, 0x79, v61
	v_cmp_gt_u32_e32 vcc_lo, 0x7a, v61
	v_cndmask_b32_e32 v2, 0, v2, vcc_lo
	v_cmp_eq_u32_e32 vcc_lo, 0, v61
	s_delay_alu instid0(VALU_DEP_2) | instskip(SKIP_1) | instid1(VALU_DEP_2)
	v_cndmask_b32_e64 v109, v2, 0x78, vcc_lo
	v_and_b32_e32 v2, 0x7fffff, v8
	v_add_nc_u32_e32 v8, 20, v109
	s_delay_alu instid0(VALU_DEP_2) | instskip(SKIP_1) | instid1(VALU_DEP_3)
	v_or_b32_e32 v12, 0x800000, v2
	v_add_nc_u32_e32 v13, 19, v109
	v_lshlrev_b64_e64 v[8:9], v8, -1
	s_delay_alu instid0(VALU_DEP_3) | instskip(NEXT) | instid1(VALU_DEP_3)
	v_cndmask_b32_e32 v2, v12, v2, vcc_lo
	v_lshlrev_b64_e64 v[12:13], v13, 1
	s_delay_alu instid0(VALU_DEP_3) | instskip(NEXT) | instid1(VALU_DEP_3)
	v_bfi_b32 v111, v9, 0, 0
	v_bfi_b32 v110, v8, 0, v2
	v_lshrrev_b64 v[8:9], v109, v[2:3]
	s_delay_alu instid0(VALU_DEP_2) | instskip(NEXT) | instid1(VALU_DEP_2)
	v_cmp_eq_u64_e64 s14, v[110:111], v[12:13]
	v_mov_b64_e32 v[12:13], v[8:9]
	s_and_saveexec_b32 s77, s14
; %bb.2656:                             ;   in Loop: Header=BB2_2392 Depth=3
	v_bfe_u32 v2, v8, 20, 1
	s_delay_alu instid0(VALU_DEP_1) | instskip(NEXT) | instid1(VALU_DEP_1)
	v_add_nc_u64_e32 v[12:13], v[8:9], v[2:3]
	v_add_nc_u64_e32 v[12:13], -1, v[12:13]
; %bb.2657:                             ;   in Loop: Header=BB2_2392 Depth=3
	s_or_b32 exec_lo, exec_lo, s77
	v_add_nc_u32_e32 v2, 0xffffff81, v61
	v_lshrrev_b32_e32 v9, 23, v8
	s_mov_b32 s14, exec_lo
	s_delay_alu instid0(VALU_DEP_2) | instskip(NEXT) | instid1(VALU_DEP_1)
	v_cndmask_b32_e64 v2, v2, 0xffffff82, vcc_lo
	v_add3_u32 v13, v109, v2, v9
	v_and_b32_e32 v2, 0xfffff, v12
                                        ; implicit-def: $vgpr12
	s_delay_alu instid0(VALU_DEP_1) | instskip(NEXT) | instid1(VALU_DEP_1)
	v_dual_add_nc_u32 v61, 6, v13 :: v_dual_add_nc_u32 v2, v2, v8
                                        ; implicit-def: $vgpr8_vgpr9
	v_cmpx_ne_u32_e32 0, v61
	s_xor_b32 s14, exec_lo, s14
; %bb.2658:                             ;   in Loop: Header=BB2_2392 Depth=3
	s_delay_alu instid0(VALU_DEP_2) | instskip(SKIP_1) | instid1(VALU_DEP_1)
	v_cmp_lt_u64_e32 vcc_lo, 0xffffff, v[2:3]
	v_add_nc_u32_e32 v8, 7, v13
	v_cndmask_b32_e32 v12, v61, v8, vcc_lo
	v_cndmask_b32_e64 v8, 0, 1, vcc_lo
	s_delay_alu instid0(VALU_DEP_1)
	v_lshrrev_b64 v[8:9], v8, v[2:3]
; %bb.2659:                             ;   in Loop: Header=BB2_2392 Depth=3
	s_and_not1_saveexec_b32 s14, s14
; %bb.2660:                             ;   in Loop: Header=BB2_2392 Depth=3
	v_mov_b64_e32 v[8:9], v[2:3]
	v_bfe_u32 v12, v2, 23, 1
; %bb.2661:                             ;   in Loop: Header=BB2_2392 Depth=3
	s_or_b32 exec_lo, exec_lo, s14
	s_delay_alu instid0(VALU_DEP_2) | instskip(NEXT) | instid1(VALU_DEP_2)
	v_lshrrev_b64 v[8:9], 20, v[8:9]
	v_cmp_gt_i32_e32 vcc_lo, 16, v12
	v_min_i32_e32 v2, 15, v12
	v_cmp_eq_u32_e64 s14, 0, v12
	s_delay_alu instid0(VALU_DEP_2) | instskip(SKIP_1) | instid1(VALU_DEP_2)
	v_dual_cndmask_b32 v9, 0, v9 :: v_dual_lshlrev_b32 v2, 3, v2
	v_cndmask_b32_e32 v8, 7, v8, vcc_lo
	v_and_b32_e32 v2, 0xf8, v2
	s_delay_alu instid0(VALU_DEP_2) | instskip(NEXT) | instid1(VALU_DEP_2)
	v_cmp_eq_u64_e32 vcc_lo, 0, v[8:9]
	v_and_or_b32 v2, v8, 7, v2
	s_and_b32 s14, s14, vcc_lo
	s_delay_alu instid0(VALU_DEP_1) | instid1(SALU_CYCLE_1)
	v_cndmask_b32_e64 v2, v2, 0, s14
	s_delay_alu instid0(VALU_DEP_1)
	v_or_b32_e32 v109, v2, v60
.LBB2_2662:                             ;   in Loop: Header=BB2_2392 Depth=3
	s_or_b32 exec_lo, exec_lo, s45
                                        ; implicit-def: $vgpr60
.LBB2_2663:                             ;   in Loop: Header=BB2_2392 Depth=3
	s_and_not1_saveexec_b32 s14, s44
; %bb.2664:                             ;   in Loop: Header=BB2_2392 Depth=3
	v_or_b32_e32 v109, 0x7e, v60
; %bb.2665:                             ;   in Loop: Header=BB2_2392 Depth=3
	s_or_b32 exec_lo, exec_lo, s14
                                        ; implicit-def: $vgpr9
.LBB2_2666:                             ;   in Loop: Header=BB2_2392 Depth=3
	s_and_not1_saveexec_b32 s14, s15
; %bb.2667:                             ;   in Loop: Header=BB2_2392 Depth=3
	v_or_b32_e32 v109, 0x7f, v9
; %bb.2668:                             ;   in Loop: Header=BB2_2392 Depth=3
	s_or_b32 exec_lo, exec_lo, s14
	v_lshrrev_b16 v2, 8, v14
	v_mov_b32_e32 v8, 0
	s_mov_b32 s14, exec_lo
	s_delay_alu instid0(VALU_DEP_2)
	v_cmpx_ne_u16_e32 0, v2
	s_cbranch_execz .LBB2_2676
; %bb.2669:                             ;   in Loop: Header=BB2_2392 Depth=3
	v_bfrev_b32_e32 v8, 1
	s_mov_b32 s15, exec_lo
	v_cmpx_ne_u16_e32 0x80, v2
	s_cbranch_execz .LBB2_2675
; %bb.2670:                             ;   in Loop: Header=BB2_2392 Depth=3
	v_and_b32_e32 v2, 0xffff, v2
	v_mov_b32_e32 v8, 0x7f800001
	s_mov_b32 s44, exec_lo
	s_delay_alu instid0(VALU_DEP_2) | instskip(NEXT) | instid1(VALU_DEP_1)
	v_and_b32_e32 v9, 0x7f, v2
	v_cmpx_ne_u32_e32 0x7f, v9
	s_cbranch_execz .LBB2_2674
; %bb.2671:                             ;   in Loop: Header=BB2_2392 Depth=3
	v_dual_lshrrev_b32 v8, 3, v9 :: v_dual_bitop2_b32 v2, 7, v2 bitop3:0x40
	s_mov_b32 s45, exec_lo
	v_cmpx_gt_u32_e32 8, v9
; %bb.2672:                             ;   in Loop: Header=BB2_2392 Depth=3
	s_delay_alu instid0(VALU_DEP_2) | instskip(NEXT) | instid1(VALU_DEP_1)
	v_clz_i32_u32_e32 v8, v2
	v_min_u32_e32 v8, 32, v8
	s_delay_alu instid0(VALU_DEP_1) | instskip(SKIP_1) | instid1(VALU_DEP_2)
	v_subrev_nc_u32_e32 v9, 28, v8
	v_sub_nc_u32_e32 v8, 29, v8
	v_lshlrev_b64_e32 v[12:13], v9, v[2:3]
	s_delay_alu instid0(VALU_DEP_1)
	v_and_b32_e32 v2, 7, v12
; %bb.2673:                             ;   in Loop: Header=BB2_2392 Depth=3
	s_or_b32 exec_lo, exec_lo, s45
	v_lshlrev_b32_e32 v9, 16, v14
	s_delay_alu instid0(VALU_DEP_2) | instskip(SKIP_1) | instid1(VALU_DEP_3)
	v_lshlrev_b32_e32 v2, 20, v2
	v_lshl_add_u32 v8, v8, 23, 0x3c000000
	v_and_b32_e32 v9, 0x80000000, v9
	s_delay_alu instid0(VALU_DEP_1)
	v_or3_b32 v8, v2, v9, v8
.LBB2_2674:                             ;   in Loop: Header=BB2_2392 Depth=3
	s_or_b32 exec_lo, exec_lo, s44
.LBB2_2675:                             ;   in Loop: Header=BB2_2392 Depth=3
	s_delay_alu instid0(SALU_CYCLE_1)
	s_or_b32 exec_lo, exec_lo, s15
.LBB2_2676:                             ;   in Loop: Header=BB2_2392 Depth=3
	s_delay_alu instid0(SALU_CYCLE_1) | instskip(SKIP_3) | instid1(VALU_DEP_1)
	s_or_b32 exec_lo, exec_lo, s14
	v_lshrrev_b16 v9, 8, v10
	s_mov_b32 s15, 0
	s_mov_b32 s14, exec_lo
	v_cmpx_lt_i16_e32 0x7f, v9
	s_xor_b32 s14, exec_lo, s14
	s_cbranch_execz .LBB2_2683
; %bb.2677:                             ;   in Loop: Header=BB2_2392 Depth=3
	s_mov_b32 s15, -1
	s_mov_b32 s44, exec_lo
	v_cmpx_eq_u16_e32 0x80, v9
; %bb.2678:                             ;   in Loop: Header=BB2_2392 Depth=3
	s_xor_b32 s15, exec_lo, -1
; %bb.2679:                             ;   in Loop: Header=BB2_2392 Depth=3
	s_or_b32 exec_lo, exec_lo, s44
	s_delay_alu instid0(SALU_CYCLE_1)
	s_and_b32 s15, s15, exec_lo
	s_or_saveexec_b32 s14, s14
	v_bfrev_b32_e32 v12, 1
	s_xor_b32 exec_lo, exec_lo, s14
	s_cbranch_execnz .LBB2_2684
.LBB2_2680:                             ;   in Loop: Header=BB2_2392 Depth=3
	s_or_b32 exec_lo, exec_lo, s14
	s_and_saveexec_b32 s14, s15
	s_cbranch_execnz .LBB2_2685
	s_branch .LBB2_2688
.LBB2_2681:                             ;   in Loop: Header=BB2_2392 Depth=3
	s_or_saveexec_b32 s15, s15
	v_bfrev_b32_e32 v8, 1
	s_xor_b32 exec_lo, exec_lo, s15
	s_cbranch_execz .LBB2_2650
.LBB2_2682:                             ;   in Loop: Header=BB2_2392 Depth=3
	v_cmp_ne_u16_e32 vcc_lo, 0, v9
	v_mov_b32_e32 v8, 0
	s_and_not1_b32 s14, s14, exec_lo
	s_and_b32 s44, vcc_lo, exec_lo
	s_delay_alu instid0(SALU_CYCLE_1)
	s_or_b32 s14, s14, s44
	s_or_b32 exec_lo, exec_lo, s15
	s_and_saveexec_b32 s15, s14
	s_cbranch_execnz .LBB2_2651
	s_branch .LBB2_2652
.LBB2_2683:                             ;   in Loop: Header=BB2_2392 Depth=3
	s_or_saveexec_b32 s14, s14
	v_bfrev_b32_e32 v12, 1
	s_xor_b32 exec_lo, exec_lo, s14
	s_cbranch_execz .LBB2_2680
.LBB2_2684:                             ;   in Loop: Header=BB2_2392 Depth=3
	v_cmp_ne_u16_e32 vcc_lo, 0, v9
	v_mov_b32_e32 v12, 0
	s_and_not1_b32 s15, s15, exec_lo
	s_and_b32 s44, vcc_lo, exec_lo
	s_delay_alu instid0(SALU_CYCLE_1)
	s_or_b32 s15, s15, s44
	s_or_b32 exec_lo, exec_lo, s14
	s_and_saveexec_b32 s14, s15
	s_cbranch_execz .LBB2_2688
.LBB2_2685:                             ;   in Loop: Header=BB2_2392 Depth=3
	v_and_b32_e32 v2, 0xffff, v9
	v_mov_b32_e32 v12, 0x7f800001
	s_mov_b32 s15, exec_lo
	s_delay_alu instid0(VALU_DEP_2) | instskip(NEXT) | instid1(VALU_DEP_1)
	v_and_b32_e32 v13, 0x7f, v2
	v_cmpx_ne_u32_e32 0x7f, v13
	s_cbranch_execz .LBB2_2687
; %bb.2686:                             ;   in Loop: Header=BB2_2392 Depth=3
	v_and_b32_e32 v12, 7, v2
	v_cmp_gt_u32_e32 vcc_lo, 8, v13
	s_delay_alu instid0(VALU_DEP_2) | instskip(NEXT) | instid1(VALU_DEP_1)
	v_clz_i32_u32_e32 v18, v12
	v_min_u32_e32 v18, 32, v18
	s_delay_alu instid0(VALU_DEP_1) | instskip(NEXT) | instid1(VALU_DEP_1)
	v_subrev_nc_u32_e32 v19, 28, v18
	v_lshlrev_b64_e32 v[60:61], v19, v[2:3]
	v_dual_lshrrev_b32 v2, 3, v13 :: v_dual_sub_nc_u32 v18, 29, v18
	s_delay_alu instid0(VALU_DEP_2) | instskip(NEXT) | instid1(VALU_DEP_1)
	v_dual_lshlrev_b32 v9, 24, v9 :: v_dual_bitop2_b32 v13, 7, v60 bitop3:0x40
	v_dual_cndmask_b32 v2, v2, v18, vcc_lo :: v_dual_cndmask_b32 v12, v12, v13, vcc_lo
	s_delay_alu instid0(VALU_DEP_2) | instskip(NEXT) | instid1(VALU_DEP_2)
	v_and_b32_e32 v9, 0x80000000, v9
	v_lshl_add_u32 v2, v2, 23, 0x3c000000
	s_delay_alu instid0(VALU_DEP_3) | instskip(NEXT) | instid1(VALU_DEP_1)
	v_lshlrev_b32_e32 v12, 20, v12
	v_or3_b32 v12, v12, v9, v2
.LBB2_2687:                             ;   in Loop: Header=BB2_2392 Depth=3
	s_or_b32 exec_lo, exec_lo, s15
.LBB2_2688:                             ;   in Loop: Header=BB2_2392 Depth=3
	s_delay_alu instid0(SALU_CYCLE_1) | instskip(NEXT) | instid1(VALU_DEP_1)
	s_or_b32 exec_lo, exec_lo, s14
	v_add_f32_e32 v8, v8, v12
                                        ; implicit-def: $vgpr110
	s_mov_b32 s14, exec_lo
	s_delay_alu instid0(VALU_DEP_1) | instskip(SKIP_1) | instid1(VALU_DEP_2)
	v_and_b32_e32 v2, 0x7f800000, v8
	v_lshrrev_b32_e32 v9, 24, v8
	v_cmpx_ne_u64_e32 0x7f800000, v[2:3]
	s_xor_b32 s15, exec_lo, s14
	s_cbranch_execz .LBB2_2702
; %bb.2689:                             ;   in Loop: Header=BB2_2392 Depth=3
	v_and_b32_e32 v2, 0x7fffffff, v8
	v_and_b32_e32 v60, 0x80, v9
                                        ; implicit-def: $vgpr110
	s_mov_b32 s14, exec_lo
	s_delay_alu instid0(VALU_DEP_2)
	v_cmpx_gt_u64_e32 0x43e00001, v[2:3]
	s_xor_b32 s44, exec_lo, s14
	s_cbranch_execz .LBB2_2699
; %bb.2690:                             ;   in Loop: Header=BB2_2392 Depth=3
	v_mov_b32_e32 v110, 0
	s_mov_b32 s45, exec_lo
	v_cmpx_ne_u32_e32 0, v8
	s_cbranch_execz .LBB2_2698
; %bb.2691:                             ;   in Loop: Header=BB2_2392 Depth=3
	v_bfe_u32 v61, v8, 23, 8
	s_delay_alu instid0(VALU_DEP_1) | instskip(SKIP_1) | instid1(VALU_DEP_2)
	v_sub_nc_u32_e32 v2, 0x79, v61
	v_cmp_gt_u32_e32 vcc_lo, 0x7a, v61
	v_cndmask_b32_e32 v2, 0, v2, vcc_lo
	v_cmp_eq_u32_e32 vcc_lo, 0, v61
	s_delay_alu instid0(VALU_DEP_2) | instskip(SKIP_1) | instid1(VALU_DEP_2)
	v_cndmask_b32_e64 v110, v2, 0x78, vcc_lo
	v_and_b32_e32 v2, 0x7fffff, v8
	v_dual_add_nc_u32 v8, 20, v110 :: v_dual_add_nc_u32 v13, 19, v110
	s_delay_alu instid0(VALU_DEP_2) | instskip(NEXT) | instid1(VALU_DEP_2)
	v_or_b32_e32 v12, 0x800000, v2
	v_lshlrev_b64_e64 v[8:9], v8, -1
	s_delay_alu instid0(VALU_DEP_2) | instskip(NEXT) | instid1(VALU_DEP_4)
	v_cndmask_b32_e32 v2, v12, v2, vcc_lo
	v_lshlrev_b64_e64 v[12:13], v13, 1
	s_delay_alu instid0(VALU_DEP_3) | instskip(NEXT) | instid1(VALU_DEP_3)
	v_bfi_b32 v121, v9, 0, 0
	v_bfi_b32 v120, v8, 0, v2
	v_lshrrev_b64 v[8:9], v110, v[2:3]
	s_delay_alu instid0(VALU_DEP_2) | instskip(NEXT) | instid1(VALU_DEP_2)
	v_cmp_eq_u64_e64 s14, v[120:121], v[12:13]
	v_mov_b64_e32 v[12:13], v[8:9]
	s_and_saveexec_b32 s77, s14
; %bb.2692:                             ;   in Loop: Header=BB2_2392 Depth=3
	v_bfe_u32 v2, v8, 20, 1
	s_delay_alu instid0(VALU_DEP_1) | instskip(NEXT) | instid1(VALU_DEP_1)
	v_add_nc_u64_e32 v[12:13], v[8:9], v[2:3]
	v_add_nc_u64_e32 v[12:13], -1, v[12:13]
; %bb.2693:                             ;   in Loop: Header=BB2_2392 Depth=3
	s_or_b32 exec_lo, exec_lo, s77
	v_add_nc_u32_e32 v2, 0xffffff81, v61
	v_lshrrev_b32_e32 v9, 23, v8
	s_mov_b32 s14, exec_lo
	s_delay_alu instid0(VALU_DEP_2) | instskip(NEXT) | instid1(VALU_DEP_1)
	v_cndmask_b32_e64 v2, v2, 0xffffff82, vcc_lo
	v_add3_u32 v13, v110, v2, v9
	v_and_b32_e32 v2, 0xfffff, v12
                                        ; implicit-def: $vgpr12
	s_delay_alu instid0(VALU_DEP_1) | instskip(NEXT) | instid1(VALU_DEP_1)
	v_dual_add_nc_u32 v61, 6, v13 :: v_dual_add_nc_u32 v2, v2, v8
                                        ; implicit-def: $vgpr8_vgpr9
	v_cmpx_ne_u32_e32 0, v61
	s_xor_b32 s14, exec_lo, s14
; %bb.2694:                             ;   in Loop: Header=BB2_2392 Depth=3
	s_delay_alu instid0(VALU_DEP_2) | instskip(SKIP_1) | instid1(VALU_DEP_1)
	v_cmp_lt_u64_e32 vcc_lo, 0xffffff, v[2:3]
	v_add_nc_u32_e32 v8, 7, v13
	v_cndmask_b32_e32 v12, v61, v8, vcc_lo
	v_cndmask_b32_e64 v8, 0, 1, vcc_lo
	s_delay_alu instid0(VALU_DEP_1)
	v_lshrrev_b64 v[8:9], v8, v[2:3]
; %bb.2695:                             ;   in Loop: Header=BB2_2392 Depth=3
	s_and_not1_saveexec_b32 s14, s14
; %bb.2696:                             ;   in Loop: Header=BB2_2392 Depth=3
	v_mov_b64_e32 v[8:9], v[2:3]
	v_bfe_u32 v12, v2, 23, 1
; %bb.2697:                             ;   in Loop: Header=BB2_2392 Depth=3
	s_or_b32 exec_lo, exec_lo, s14
	s_delay_alu instid0(VALU_DEP_2) | instskip(NEXT) | instid1(VALU_DEP_2)
	v_lshrrev_b64 v[8:9], 20, v[8:9]
	v_cmp_gt_i32_e32 vcc_lo, 16, v12
	v_min_i32_e32 v2, 15, v12
	v_cmp_eq_u32_e64 s14, 0, v12
	s_delay_alu instid0(VALU_DEP_2) | instskip(SKIP_1) | instid1(VALU_DEP_2)
	v_dual_cndmask_b32 v9, 0, v9 :: v_dual_lshlrev_b32 v2, 3, v2
	v_cndmask_b32_e32 v8, 7, v8, vcc_lo
	v_and_b32_e32 v2, 0xf8, v2
	s_delay_alu instid0(VALU_DEP_2) | instskip(NEXT) | instid1(VALU_DEP_2)
	v_cmp_eq_u64_e32 vcc_lo, 0, v[8:9]
	v_and_or_b32 v2, v8, 7, v2
	s_and_b32 s14, s14, vcc_lo
	s_delay_alu instid0(VALU_DEP_1) | instid1(SALU_CYCLE_1)
	v_cndmask_b32_e64 v2, v2, 0, s14
	s_delay_alu instid0(VALU_DEP_1)
	v_or_b32_e32 v110, v2, v60
.LBB2_2698:                             ;   in Loop: Header=BB2_2392 Depth=3
	s_or_b32 exec_lo, exec_lo, s45
                                        ; implicit-def: $vgpr60
.LBB2_2699:                             ;   in Loop: Header=BB2_2392 Depth=3
	s_and_not1_saveexec_b32 s14, s44
; %bb.2700:                             ;   in Loop: Header=BB2_2392 Depth=3
	v_or_b32_e32 v110, 0x7e, v60
; %bb.2701:                             ;   in Loop: Header=BB2_2392 Depth=3
	s_or_b32 exec_lo, exec_lo, s14
                                        ; implicit-def: $vgpr9
.LBB2_2702:                             ;   in Loop: Header=BB2_2392 Depth=3
	s_and_not1_saveexec_b32 s14, s15
; %bb.2703:                             ;   in Loop: Header=BB2_2392 Depth=3
	v_or_b32_e32 v110, 0x7f, v9
; %bb.2704:                             ;   in Loop: Header=BB2_2392 Depth=3
	s_or_b32 exec_lo, exec_lo, s14
	v_dual_mov_b32 v8, 0 :: v_dual_lshrrev_b32 v9, 16, v14
	s_mov_b32 s14, exec_lo
	s_delay_alu instid0(VALU_DEP_1) | instskip(NEXT) | instid1(VALU_DEP_1)
	v_and_b32_e32 v2, 0xff, v9
	v_cmpx_ne_u16_e32 0, v2
	s_cbranch_execz .LBB2_2712
; %bb.2705:                             ;   in Loop: Header=BB2_2392 Depth=3
	v_bfrev_b32_e32 v8, 1
	s_mov_b32 s15, exec_lo
	v_cmpx_ne_u16_e32 0x80, v2
	s_cbranch_execz .LBB2_2711
; %bb.2706:                             ;   in Loop: Header=BB2_2392 Depth=3
	v_bfe_u32 v12, v14, 16, 7
	v_mov_b32_e32 v8, 0x7f800001
	s_mov_b32 s44, exec_lo
	s_delay_alu instid0(VALU_DEP_2)
	v_cmpx_ne_u32_e32 0x7f, v12
	s_cbranch_execz .LBB2_2710
; %bb.2707:                             ;   in Loop: Header=BB2_2392 Depth=3
	v_dual_lshrrev_b32 v8, 3, v12 :: v_dual_bitop2_b32 v2, 7, v9 bitop3:0x40
	s_mov_b32 s45, exec_lo
	v_cmpx_gt_u32_e32 8, v12
; %bb.2708:                             ;   in Loop: Header=BB2_2392 Depth=3
	s_delay_alu instid0(VALU_DEP_2) | instskip(NEXT) | instid1(VALU_DEP_1)
	v_clz_i32_u32_e32 v8, v2
	v_min_u32_e32 v8, 32, v8
	s_delay_alu instid0(VALU_DEP_1) | instskip(SKIP_1) | instid1(VALU_DEP_2)
	v_subrev_nc_u32_e32 v12, 28, v8
	v_sub_nc_u32_e32 v8, 29, v8
	v_lshlrev_b64_e32 v[12:13], v12, v[2:3]
	s_delay_alu instid0(VALU_DEP_1)
	v_and_b32_e32 v2, 7, v12
; %bb.2709:                             ;   in Loop: Header=BB2_2392 Depth=3
	s_or_b32 exec_lo, exec_lo, s45
	s_delay_alu instid0(VALU_DEP_1) | instskip(SKIP_1) | instid1(VALU_DEP_2)
	v_dual_lshlrev_b32 v9, 24, v9 :: v_dual_lshlrev_b32 v2, 20, v2
	v_lshl_add_u32 v8, v8, 23, 0x3c000000
	v_and_b32_e32 v9, 0x80000000, v9
	s_delay_alu instid0(VALU_DEP_1)
	v_or3_b32 v8, v2, v9, v8
.LBB2_2710:                             ;   in Loop: Header=BB2_2392 Depth=3
	s_or_b32 exec_lo, exec_lo, s44
.LBB2_2711:                             ;   in Loop: Header=BB2_2392 Depth=3
	s_delay_alu instid0(SALU_CYCLE_1)
	s_or_b32 exec_lo, exec_lo, s15
.LBB2_2712:                             ;   in Loop: Header=BB2_2392 Depth=3
	s_delay_alu instid0(SALU_CYCLE_1) | instskip(SKIP_3) | instid1(VALU_DEP_1)
	s_or_b32 exec_lo, exec_lo, s14
	v_lshrrev_b32_e32 v2, 16, v10
	s_mov_b32 s15, 0
	s_mov_b32 s14, exec_lo
	v_and_b32_e32 v12, 0xff, v2
	s_delay_alu instid0(VALU_DEP_1)
	v_cmpx_lt_i16_e32 0x7f, v12
	s_xor_b32 s14, exec_lo, s14
	s_cbranch_execz .LBB2_2717
; %bb.2713:                             ;   in Loop: Header=BB2_2392 Depth=3
	s_mov_b32 s15, -1
	s_mov_b32 s44, exec_lo
	v_cmpx_eq_u16_e32 0x80, v12
; %bb.2714:                             ;   in Loop: Header=BB2_2392 Depth=3
	s_xor_b32 s15, exec_lo, -1
; %bb.2715:                             ;   in Loop: Header=BB2_2392 Depth=3
	s_or_b32 exec_lo, exec_lo, s44
	s_delay_alu instid0(SALU_CYCLE_1)
	s_and_b32 s15, s15, exec_lo
                                        ; implicit-def: $vgpr12
	s_or_saveexec_b32 s14, s14
	v_bfrev_b32_e32 v9, 1
	s_xor_b32 exec_lo, exec_lo, s14
	s_cbranch_execnz .LBB2_2718
.LBB2_2716:                             ;   in Loop: Header=BB2_2392 Depth=3
	s_or_b32 exec_lo, exec_lo, s14
	s_and_saveexec_b32 s14, s15
	s_cbranch_execnz .LBB2_2719
	s_branch .LBB2_2722
.LBB2_2717:                             ;   in Loop: Header=BB2_2392 Depth=3
	s_or_saveexec_b32 s14, s14
	v_bfrev_b32_e32 v9, 1
	s_xor_b32 exec_lo, exec_lo, s14
	s_cbranch_execz .LBB2_2716
.LBB2_2718:                             ;   in Loop: Header=BB2_2392 Depth=3
	v_cmp_ne_u16_e32 vcc_lo, 0, v12
	v_mov_b32_e32 v9, 0
	s_and_not1_b32 s15, s15, exec_lo
	s_and_b32 s44, vcc_lo, exec_lo
	s_delay_alu instid0(SALU_CYCLE_1)
	s_or_b32 s15, s15, s44
	s_or_b32 exec_lo, exec_lo, s14
	s_and_saveexec_b32 s14, s15
	s_cbranch_execz .LBB2_2722
.LBB2_2719:                             ;   in Loop: Header=BB2_2392 Depth=3
	v_and_b32_e32 v12, 0x7f, v2
	v_mov_b32_e32 v9, 0x7f800001
	s_mov_b32 s15, exec_lo
	s_delay_alu instid0(VALU_DEP_2)
	v_cmpx_ne_u32_e32 0x7f, v12
	s_cbranch_execz .LBB2_2721
; %bb.2720:                             ;   in Loop: Header=BB2_2392 Depth=3
	v_and_b32_e32 v9, 7, v2
	v_cmp_gt_u32_e32 vcc_lo, 8, v12
	s_delay_alu instid0(VALU_DEP_2) | instskip(NEXT) | instid1(VALU_DEP_1)
	v_clz_i32_u32_e32 v13, v9
	v_min_u32_e32 v13, 32, v13
	s_delay_alu instid0(VALU_DEP_1) | instskip(NEXT) | instid1(VALU_DEP_1)
	v_subrev_nc_u32_e32 v18, 28, v13
	v_lshlrev_b64_e32 v[60:61], v18, v[2:3]
	v_dual_lshrrev_b32 v18, 3, v12 :: v_dual_sub_nc_u32 v13, 29, v13
	s_delay_alu instid0(VALU_DEP_2) | instskip(NEXT) | instid1(VALU_DEP_1)
	v_dual_lshlrev_b32 v2, 24, v2 :: v_dual_bitop2_b32 v12, 7, v60 bitop3:0x40
	v_dual_cndmask_b32 v13, v18, v13, vcc_lo :: v_dual_cndmask_b32 v9, v9, v12, vcc_lo
	s_delay_alu instid0(VALU_DEP_2) | instskip(NEXT) | instid1(VALU_DEP_2)
	v_and_b32_e32 v2, 0x80000000, v2
	v_lshl_add_u32 v12, v13, 23, 0x3c000000
	s_delay_alu instid0(VALU_DEP_3) | instskip(NEXT) | instid1(VALU_DEP_1)
	v_lshlrev_b32_e32 v9, 20, v9
	v_or3_b32 v9, v9, v2, v12
.LBB2_2721:                             ;   in Loop: Header=BB2_2392 Depth=3
	s_or_b32 exec_lo, exec_lo, s15
.LBB2_2722:                             ;   in Loop: Header=BB2_2392 Depth=3
	s_delay_alu instid0(SALU_CYCLE_1) | instskip(NEXT) | instid1(VALU_DEP_1)
	s_or_b32 exec_lo, exec_lo, s14
	v_add_f32_e32 v8, v8, v9
                                        ; implicit-def: $vgpr111
	s_mov_b32 s14, exec_lo
	s_delay_alu instid0(VALU_DEP_1) | instskip(SKIP_1) | instid1(VALU_DEP_2)
	v_and_b32_e32 v2, 0x7f800000, v8
	v_lshrrev_b32_e32 v9, 24, v8
	v_cmpx_ne_u64_e32 0x7f800000, v[2:3]
	s_xor_b32 s15, exec_lo, s14
	s_cbranch_execz .LBB2_2736
; %bb.2723:                             ;   in Loop: Header=BB2_2392 Depth=3
	v_and_b32_e32 v2, 0x7fffffff, v8
	v_and_b32_e32 v60, 0x80, v9
                                        ; implicit-def: $vgpr111
	s_mov_b32 s14, exec_lo
	s_delay_alu instid0(VALU_DEP_2)
	v_cmpx_gt_u64_e32 0x43e00001, v[2:3]
	s_xor_b32 s44, exec_lo, s14
	s_cbranch_execz .LBB2_2733
; %bb.2724:                             ;   in Loop: Header=BB2_2392 Depth=3
	v_mov_b32_e32 v111, 0
	s_mov_b32 s45, exec_lo
	v_cmpx_ne_u32_e32 0, v8
	s_cbranch_execz .LBB2_2732
; %bb.2725:                             ;   in Loop: Header=BB2_2392 Depth=3
	v_bfe_u32 v61, v8, 23, 8
	s_delay_alu instid0(VALU_DEP_1) | instskip(SKIP_1) | instid1(VALU_DEP_2)
	v_sub_nc_u32_e32 v2, 0x79, v61
	v_cmp_gt_u32_e32 vcc_lo, 0x7a, v61
	v_cndmask_b32_e32 v2, 0, v2, vcc_lo
	v_cmp_eq_u32_e32 vcc_lo, 0, v61
	s_delay_alu instid0(VALU_DEP_2) | instskip(SKIP_1) | instid1(VALU_DEP_2)
	v_cndmask_b32_e64 v111, v2, 0x78, vcc_lo
	v_and_b32_e32 v2, 0x7fffff, v8
	v_add_nc_u32_e32 v8, 20, v111
	s_delay_alu instid0(VALU_DEP_2) | instskip(SKIP_1) | instid1(VALU_DEP_3)
	v_or_b32_e32 v12, 0x800000, v2
	v_add_nc_u32_e32 v13, 19, v111
	v_lshlrev_b64_e64 v[8:9], v8, -1
	s_delay_alu instid0(VALU_DEP_3) | instskip(NEXT) | instid1(VALU_DEP_3)
	v_cndmask_b32_e32 v2, v12, v2, vcc_lo
	v_lshlrev_b64_e64 v[12:13], v13, 1
	s_delay_alu instid0(VALU_DEP_3) | instskip(NEXT) | instid1(VALU_DEP_3)
	v_bfi_b32 v121, v9, 0, 0
	v_bfi_b32 v120, v8, 0, v2
	v_lshrrev_b64 v[8:9], v111, v[2:3]
	s_delay_alu instid0(VALU_DEP_2) | instskip(NEXT) | instid1(VALU_DEP_2)
	v_cmp_eq_u64_e64 s14, v[120:121], v[12:13]
	v_mov_b64_e32 v[12:13], v[8:9]
	s_and_saveexec_b32 s77, s14
; %bb.2726:                             ;   in Loop: Header=BB2_2392 Depth=3
	v_bfe_u32 v2, v8, 20, 1
	s_delay_alu instid0(VALU_DEP_1) | instskip(NEXT) | instid1(VALU_DEP_1)
	v_add_nc_u64_e32 v[12:13], v[8:9], v[2:3]
	v_add_nc_u64_e32 v[12:13], -1, v[12:13]
; %bb.2727:                             ;   in Loop: Header=BB2_2392 Depth=3
	s_or_b32 exec_lo, exec_lo, s77
	v_add_nc_u32_e32 v2, 0xffffff81, v61
	v_lshrrev_b32_e32 v9, 23, v8
	s_mov_b32 s14, exec_lo
	s_delay_alu instid0(VALU_DEP_2) | instskip(NEXT) | instid1(VALU_DEP_1)
	v_cndmask_b32_e64 v2, v2, 0xffffff82, vcc_lo
	v_add3_u32 v13, v111, v2, v9
	v_and_b32_e32 v2, 0xfffff, v12
                                        ; implicit-def: $vgpr12
	s_delay_alu instid0(VALU_DEP_1) | instskip(NEXT) | instid1(VALU_DEP_1)
	v_dual_add_nc_u32 v61, 6, v13 :: v_dual_add_nc_u32 v2, v2, v8
                                        ; implicit-def: $vgpr8_vgpr9
	v_cmpx_ne_u32_e32 0, v61
	s_xor_b32 s14, exec_lo, s14
; %bb.2728:                             ;   in Loop: Header=BB2_2392 Depth=3
	s_delay_alu instid0(VALU_DEP_2) | instskip(SKIP_1) | instid1(VALU_DEP_1)
	v_cmp_lt_u64_e32 vcc_lo, 0xffffff, v[2:3]
	v_add_nc_u32_e32 v8, 7, v13
	v_cndmask_b32_e32 v12, v61, v8, vcc_lo
	v_cndmask_b32_e64 v8, 0, 1, vcc_lo
	s_delay_alu instid0(VALU_DEP_1)
	v_lshrrev_b64 v[8:9], v8, v[2:3]
; %bb.2729:                             ;   in Loop: Header=BB2_2392 Depth=3
	s_and_not1_saveexec_b32 s14, s14
; %bb.2730:                             ;   in Loop: Header=BB2_2392 Depth=3
	v_mov_b64_e32 v[8:9], v[2:3]
	v_bfe_u32 v12, v2, 23, 1
; %bb.2731:                             ;   in Loop: Header=BB2_2392 Depth=3
	s_or_b32 exec_lo, exec_lo, s14
	s_delay_alu instid0(VALU_DEP_2) | instskip(NEXT) | instid1(VALU_DEP_2)
	v_lshrrev_b64 v[8:9], 20, v[8:9]
	v_cmp_gt_i32_e32 vcc_lo, 16, v12
	v_min_i32_e32 v2, 15, v12
	v_cmp_eq_u32_e64 s14, 0, v12
	s_delay_alu instid0(VALU_DEP_2) | instskip(SKIP_1) | instid1(VALU_DEP_2)
	v_dual_cndmask_b32 v9, 0, v9 :: v_dual_lshlrev_b32 v2, 3, v2
	v_cndmask_b32_e32 v8, 7, v8, vcc_lo
	v_and_b32_e32 v2, 0xf8, v2
	s_delay_alu instid0(VALU_DEP_2) | instskip(NEXT) | instid1(VALU_DEP_2)
	v_cmp_eq_u64_e32 vcc_lo, 0, v[8:9]
	v_and_or_b32 v2, v8, 7, v2
	s_and_b32 s14, s14, vcc_lo
	s_delay_alu instid0(VALU_DEP_1) | instid1(SALU_CYCLE_1)
	v_cndmask_b32_e64 v2, v2, 0, s14
	s_delay_alu instid0(VALU_DEP_1)
	v_or_b32_e32 v111, v2, v60
.LBB2_2732:                             ;   in Loop: Header=BB2_2392 Depth=3
	s_or_b32 exec_lo, exec_lo, s45
                                        ; implicit-def: $vgpr60
.LBB2_2733:                             ;   in Loop: Header=BB2_2392 Depth=3
	s_and_not1_saveexec_b32 s14, s44
; %bb.2734:                             ;   in Loop: Header=BB2_2392 Depth=3
	v_or_b32_e32 v111, 0x7e, v60
; %bb.2735:                             ;   in Loop: Header=BB2_2392 Depth=3
	s_or_b32 exec_lo, exec_lo, s14
                                        ; implicit-def: $vgpr9
.LBB2_2736:                             ;   in Loop: Header=BB2_2392 Depth=3
	s_and_not1_saveexec_b32 s14, s15
; %bb.2737:                             ;   in Loop: Header=BB2_2392 Depth=3
	v_or_b32_e32 v111, 0x7f, v9
; %bb.2738:                             ;   in Loop: Header=BB2_2392 Depth=3
	s_or_b32 exec_lo, exec_lo, s14
	v_mov_b32_e32 v8, 0
	s_mov_b32 s14, exec_lo
	v_cmpx_lt_u32_e32 0xffffff, v14
	s_cbranch_execz .LBB2_2746
; %bb.2739:                             ;   in Loop: Header=BB2_2392 Depth=3
	v_lshrrev_b32_e32 v9, 24, v14
	v_bfrev_b32_e32 v8, 1
	s_mov_b32 s15, exec_lo
	s_delay_alu instid0(VALU_DEP_2)
	v_cmpx_ne_u32_e32 0x80, v9
	s_cbranch_execz .LBB2_2745
; %bb.2740:                             ;   in Loop: Header=BB2_2392 Depth=3
	v_bfe_u32 v12, v14, 24, 7
	v_mov_b32_e32 v8, 0x7f800001
	s_mov_b32 s44, exec_lo
	s_delay_alu instid0(VALU_DEP_2)
	v_cmpx_ne_u32_e32 0x7f, v12
	s_cbranch_execz .LBB2_2744
; %bb.2741:                             ;   in Loop: Header=BB2_2392 Depth=3
	v_dual_lshrrev_b32 v8, 3, v12 :: v_dual_bitop2_b32 v2, 7, v9 bitop3:0x40
	s_mov_b32 s45, exec_lo
	v_cmpx_gt_u32_e32 8, v12
; %bb.2742:                             ;   in Loop: Header=BB2_2392 Depth=3
	s_delay_alu instid0(VALU_DEP_2) | instskip(NEXT) | instid1(VALU_DEP_1)
	v_clz_i32_u32_e32 v8, v2
	v_min_u32_e32 v8, 32, v8
	s_delay_alu instid0(VALU_DEP_1) | instskip(SKIP_1) | instid1(VALU_DEP_2)
	v_subrev_nc_u32_e32 v12, 28, v8
	v_sub_nc_u32_e32 v8, 29, v8
	v_lshlrev_b64_e32 v[12:13], v12, v[2:3]
	s_delay_alu instid0(VALU_DEP_1)
	v_and_b32_e32 v2, 7, v12
; %bb.2743:                             ;   in Loop: Header=BB2_2392 Depth=3
	s_or_b32 exec_lo, exec_lo, s45
	s_delay_alu instid0(VALU_DEP_1) | instskip(SKIP_1) | instid1(VALU_DEP_2)
	v_dual_lshlrev_b32 v9, 24, v9 :: v_dual_lshlrev_b32 v2, 20, v2
	v_lshl_add_u32 v8, v8, 23, 0x3c000000
	v_and_b32_e32 v9, 0x80000000, v9
	s_delay_alu instid0(VALU_DEP_1)
	v_or3_b32 v8, v2, v9, v8
.LBB2_2744:                             ;   in Loop: Header=BB2_2392 Depth=3
	s_or_b32 exec_lo, exec_lo, s44
.LBB2_2745:                             ;   in Loop: Header=BB2_2392 Depth=3
	s_delay_alu instid0(SALU_CYCLE_1)
	s_or_b32 exec_lo, exec_lo, s15
.LBB2_2746:                             ;   in Loop: Header=BB2_2392 Depth=3
	s_delay_alu instid0(SALU_CYCLE_1) | instskip(SKIP_3) | instid1(VALU_DEP_3)
	s_or_b32 exec_lo, exec_lo, s14
	v_lshrrev_b32_e32 v2, 24, v10
	v_bfe_u32 v9, v10, 24, 7
	v_cmp_gt_u32_e64 s15, 0x1000000, v10
	v_cmp_eq_u32_e32 vcc_lo, 0x80, v2
	s_delay_alu instid0(VALU_DEP_3) | instskip(SKIP_2) | instid1(VALU_DEP_1)
	v_cmp_eq_u32_e64 s14, 0x7f, v9
	v_cndmask_b32_e32 v12, 0x7f800001, v77, vcc_lo
	s_or_b32 s14, vcc_lo, s14
	v_cndmask_b32_e64 v12, v12, 0, s15
	s_nor_b32 s15, s15, s14
	s_delay_alu instid0(SALU_CYCLE_1)
	s_and_saveexec_b32 s14, s15
	s_cbranch_execz .LBB2_2748
; %bb.2747:                             ;   in Loop: Header=BB2_2392 Depth=3
	v_and_b32_e32 v18, 7, v2
	v_cmp_gt_u32_e32 vcc_lo, 8, v9
	s_delay_alu instid0(VALU_DEP_2) | instskip(NEXT) | instid1(VALU_DEP_1)
	v_clz_i32_u32_e32 v12, v18
	v_min_u32_e32 v19, 32, v12
	s_delay_alu instid0(VALU_DEP_1) | instskip(NEXT) | instid1(VALU_DEP_1)
	v_subrev_nc_u32_e32 v12, 28, v19
	v_lshlrev_b64_e32 v[12:13], v12, v[2:3]
	v_dual_lshrrev_b32 v13, 3, v9 :: v_dual_sub_nc_u32 v19, 29, v19
	s_delay_alu instid0(VALU_DEP_2) | instskip(NEXT) | instid1(VALU_DEP_2)
	v_dual_lshlrev_b32 v2, 24, v2 :: v_dual_bitop2_b32 v9, 7, v12 bitop3:0x40
	v_cndmask_b32_e32 v12, v13, v19, vcc_lo
	s_delay_alu instid0(VALU_DEP_2) | instskip(NEXT) | instid1(VALU_DEP_3)
	v_and_b32_e32 v2, 0x80000000, v2
	v_cndmask_b32_e32 v9, v18, v9, vcc_lo
	s_delay_alu instid0(VALU_DEP_3) | instskip(NEXT) | instid1(VALU_DEP_2)
	v_lshl_add_u32 v12, v12, 23, 0x3c000000
	v_lshlrev_b32_e32 v9, 20, v9
	s_delay_alu instid0(VALU_DEP_1)
	v_or3_b32 v12, v9, v2, v12
.LBB2_2748:                             ;   in Loop: Header=BB2_2392 Depth=3
	s_or_b32 exec_lo, exec_lo, s14
	s_delay_alu instid0(VALU_DEP_1) | instskip(SKIP_1) | instid1(VALU_DEP_1)
	v_add_f32_e32 v8, v8, v12
                                        ; implicit-def: $vgpr120
	s_mov_b32 s14, exec_lo
	v_and_b32_e32 v2, 0x7f800000, v8
	v_lshrrev_b32_e32 v9, 24, v8
	s_delay_alu instid0(VALU_DEP_2)
	v_cmpx_ne_u64_e32 0x7f800000, v[2:3]
	s_xor_b32 s15, exec_lo, s14
	s_cbranch_execz .LBB2_2762
; %bb.2749:                             ;   in Loop: Header=BB2_2392 Depth=3
	v_and_b32_e32 v2, 0x7fffffff, v8
	v_and_b32_e32 v60, 0x80, v9
                                        ; implicit-def: $vgpr120
	s_mov_b32 s14, exec_lo
	s_delay_alu instid0(VALU_DEP_2)
	v_cmpx_gt_u64_e32 0x43e00001, v[2:3]
	s_xor_b32 s44, exec_lo, s14
	s_cbranch_execz .LBB2_2759
; %bb.2750:                             ;   in Loop: Header=BB2_2392 Depth=3
	v_mov_b32_e32 v120, 0
	s_mov_b32 s45, exec_lo
	v_cmpx_ne_u32_e32 0, v8
	s_cbranch_execz .LBB2_2758
; %bb.2751:                             ;   in Loop: Header=BB2_2392 Depth=3
	v_bfe_u32 v61, v8, 23, 8
	s_delay_alu instid0(VALU_DEP_1) | instskip(SKIP_1) | instid1(VALU_DEP_2)
	v_sub_nc_u32_e32 v2, 0x79, v61
	v_cmp_gt_u32_e32 vcc_lo, 0x7a, v61
	v_cndmask_b32_e32 v2, 0, v2, vcc_lo
	v_cmp_eq_u32_e32 vcc_lo, 0, v61
	s_delay_alu instid0(VALU_DEP_2) | instskip(SKIP_1) | instid1(VALU_DEP_2)
	v_cndmask_b32_e64 v120, v2, 0x78, vcc_lo
	v_and_b32_e32 v2, 0x7fffff, v8
	v_add_nc_u32_e32 v8, 20, v120
	s_delay_alu instid0(VALU_DEP_2) | instskip(SKIP_1) | instid1(VALU_DEP_3)
	v_or_b32_e32 v12, 0x800000, v2
	v_add_nc_u32_e32 v13, 19, v120
	v_lshlrev_b64_e64 v[8:9], v8, -1
	s_delay_alu instid0(VALU_DEP_3) | instskip(NEXT) | instid1(VALU_DEP_3)
	v_cndmask_b32_e32 v2, v12, v2, vcc_lo
	v_lshlrev_b64_e64 v[12:13], v13, 1
	s_delay_alu instid0(VALU_DEP_3) | instskip(NEXT) | instid1(VALU_DEP_3)
	v_bfi_b32 v123, v9, 0, 0
	v_bfi_b32 v122, v8, 0, v2
	v_lshrrev_b64 v[8:9], v120, v[2:3]
	s_delay_alu instid0(VALU_DEP_2) | instskip(NEXT) | instid1(VALU_DEP_2)
	v_cmp_eq_u64_e64 s14, v[122:123], v[12:13]
	v_mov_b64_e32 v[12:13], v[8:9]
	s_and_saveexec_b32 s77, s14
; %bb.2752:                             ;   in Loop: Header=BB2_2392 Depth=3
	v_bfe_u32 v2, v8, 20, 1
	s_delay_alu instid0(VALU_DEP_1) | instskip(NEXT) | instid1(VALU_DEP_1)
	v_add_nc_u64_e32 v[12:13], v[8:9], v[2:3]
	v_add_nc_u64_e32 v[12:13], -1, v[12:13]
; %bb.2753:                             ;   in Loop: Header=BB2_2392 Depth=3
	s_or_b32 exec_lo, exec_lo, s77
	v_add_nc_u32_e32 v2, 0xffffff81, v61
	v_lshrrev_b32_e32 v9, 23, v8
	s_mov_b32 s14, exec_lo
	s_delay_alu instid0(VALU_DEP_2) | instskip(NEXT) | instid1(VALU_DEP_1)
	v_cndmask_b32_e64 v2, v2, 0xffffff82, vcc_lo
	v_add3_u32 v13, v120, v2, v9
	v_and_b32_e32 v2, 0xfffff, v12
                                        ; implicit-def: $vgpr12
	s_delay_alu instid0(VALU_DEP_1) | instskip(NEXT) | instid1(VALU_DEP_1)
	v_dual_add_nc_u32 v61, 6, v13 :: v_dual_add_nc_u32 v2, v2, v8
                                        ; implicit-def: $vgpr8_vgpr9
	v_cmpx_ne_u32_e32 0, v61
	s_xor_b32 s14, exec_lo, s14
; %bb.2754:                             ;   in Loop: Header=BB2_2392 Depth=3
	s_delay_alu instid0(VALU_DEP_2) | instskip(SKIP_1) | instid1(VALU_DEP_1)
	v_cmp_lt_u64_e32 vcc_lo, 0xffffff, v[2:3]
	v_add_nc_u32_e32 v8, 7, v13
	v_cndmask_b32_e32 v12, v61, v8, vcc_lo
	v_cndmask_b32_e64 v8, 0, 1, vcc_lo
	s_delay_alu instid0(VALU_DEP_1)
	v_lshrrev_b64 v[8:9], v8, v[2:3]
; %bb.2755:                             ;   in Loop: Header=BB2_2392 Depth=3
	s_and_not1_saveexec_b32 s14, s14
; %bb.2756:                             ;   in Loop: Header=BB2_2392 Depth=3
	v_mov_b64_e32 v[8:9], v[2:3]
	v_bfe_u32 v12, v2, 23, 1
; %bb.2757:                             ;   in Loop: Header=BB2_2392 Depth=3
	s_or_b32 exec_lo, exec_lo, s14
	s_delay_alu instid0(VALU_DEP_2) | instskip(NEXT) | instid1(VALU_DEP_2)
	v_lshrrev_b64 v[8:9], 20, v[8:9]
	v_cmp_gt_i32_e32 vcc_lo, 16, v12
	v_min_i32_e32 v2, 15, v12
	v_cmp_eq_u32_e64 s14, 0, v12
	s_delay_alu instid0(VALU_DEP_2) | instskip(SKIP_1) | instid1(VALU_DEP_2)
	v_dual_cndmask_b32 v9, 0, v9 :: v_dual_lshlrev_b32 v2, 3, v2
	v_cndmask_b32_e32 v8, 7, v8, vcc_lo
	v_and_b32_e32 v2, 0xf8, v2
	s_delay_alu instid0(VALU_DEP_2) | instskip(NEXT) | instid1(VALU_DEP_2)
	v_cmp_eq_u64_e32 vcc_lo, 0, v[8:9]
	v_and_or_b32 v2, v8, 7, v2
	s_and_b32 s14, s14, vcc_lo
	s_delay_alu instid0(VALU_DEP_1) | instid1(SALU_CYCLE_1)
	v_cndmask_b32_e64 v2, v2, 0, s14
	s_delay_alu instid0(VALU_DEP_1)
	v_or_b32_e32 v120, v2, v60
.LBB2_2758:                             ;   in Loop: Header=BB2_2392 Depth=3
	s_or_b32 exec_lo, exec_lo, s45
                                        ; implicit-def: $vgpr60
.LBB2_2759:                             ;   in Loop: Header=BB2_2392 Depth=3
	s_and_not1_saveexec_b32 s14, s44
; %bb.2760:                             ;   in Loop: Header=BB2_2392 Depth=3
	v_or_b32_e32 v120, 0x7e, v60
; %bb.2761:                             ;   in Loop: Header=BB2_2392 Depth=3
	s_or_b32 exec_lo, exec_lo, s14
                                        ; implicit-def: $vgpr9
.LBB2_2762:                             ;   in Loop: Header=BB2_2392 Depth=3
	s_and_not1_saveexec_b32 s14, s15
; %bb.2763:                             ;   in Loop: Header=BB2_2392 Depth=3
	v_or_b32_e32 v120, 0x7f, v9
; %bb.2764:                             ;   in Loop: Header=BB2_2392 Depth=3
	s_or_b32 exec_lo, exec_lo, s14
	v_and_b32_e32 v8, 0xff, v15
	v_dual_mov_b32 v2, v15 :: v_dual_mov_b32 v12, 0
	s_mov_b32 s14, exec_lo
	s_delay_alu instid0(VALU_DEP_2)
	v_cmpx_ne_u16_e32 0, v8
	s_cbranch_execz .LBB2_2770
; %bb.2765:                             ;   in Loop: Header=BB2_2392 Depth=3
	v_bfrev_b32_e32 v12, 1
	s_mov_b32 s15, exec_lo
	v_cmpx_ne_u16_e32 0x80, v8
	s_cbranch_execz .LBB2_2769
; %bb.2766:                             ;   in Loop: Header=BB2_2392 Depth=3
	v_and_b32_e32 v8, 0x7f, v15
	v_mov_b32_e32 v12, 0x7f800001
	s_mov_b32 s44, exec_lo
	s_delay_alu instid0(VALU_DEP_2)
	v_cmpx_ne_u32_e32 0x7f, v8
	s_cbranch_execz .LBB2_2768
; %bb.2767:                             ;   in Loop: Header=BB2_2392 Depth=3
	v_dual_lshrrev_b32 v12, 3, v8 :: v_dual_bitop2_b32 v9, 7, v15 bitop3:0x40
	v_cmp_gt_u32_e32 vcc_lo, 8, v8
	s_delay_alu instid0(VALU_DEP_2) | instskip(NEXT) | instid1(VALU_DEP_1)
	v_clz_i32_u32_e32 v9, v9
	v_min_u32_e32 v9, 32, v9
	s_delay_alu instid0(VALU_DEP_1) | instskip(SKIP_1) | instid1(VALU_DEP_2)
	v_subrev_nc_u32_e32 v13, 28, v9
	v_sub_nc_u32_e32 v9, 29, v9
	v_cndmask_b32_e32 v8, 0, v13, vcc_lo
	s_delay_alu instid0(VALU_DEP_2) | instskip(NEXT) | instid1(VALU_DEP_2)
	v_cndmask_b32_e32 v12, v12, v9, vcc_lo
	v_lshlrev_b64_e32 v[8:9], v8, v[2:3]
	v_lshlrev_b32_e32 v9, 24, v2
	s_delay_alu instid0(VALU_DEP_3) | instskip(NEXT) | instid1(VALU_DEP_2)
	v_lshl_add_u32 v12, v12, 23, 0x3c000000
	v_and_b32_e32 v9, 0x80000000, v9
	s_delay_alu instid0(VALU_DEP_4) | instskip(NEXT) | instid1(VALU_DEP_1)
	v_lshlrev_b32_e32 v8, 20, v8
	v_and_b32_e32 v8, 0x700000, v8
	s_delay_alu instid0(VALU_DEP_1)
	v_or3_b32 v12, v8, v9, v12
.LBB2_2768:                             ;   in Loop: Header=BB2_2392 Depth=3
	s_or_b32 exec_lo, exec_lo, s44
.LBB2_2769:                             ;   in Loop: Header=BB2_2392 Depth=3
	s_delay_alu instid0(SALU_CYCLE_1)
	s_or_b32 exec_lo, exec_lo, s15
.LBB2_2770:                             ;   in Loop: Header=BB2_2392 Depth=3
	s_delay_alu instid0(SALU_CYCLE_1) | instskip(SKIP_4) | instid1(VALU_DEP_2)
	s_or_b32 exec_lo, exec_lo, s14
	v_and_b32_e32 v9, 0xff, v11
	v_mov_b32_e32 v8, v11
	s_mov_b32 s14, 0
	s_mov_b32 s15, exec_lo
	v_cmpx_lt_i16_e32 0x7f, v9
	s_xor_b32 s15, exec_lo, s15
	s_cbranch_execz .LBB2_2805
; %bb.2771:                             ;   in Loop: Header=BB2_2392 Depth=3
	s_mov_b32 s14, -1
	s_mov_b32 s44, exec_lo
	v_cmpx_eq_u16_e32 0x80, v9
; %bb.2772:                             ;   in Loop: Header=BB2_2392 Depth=3
	s_xor_b32 s14, exec_lo, -1
; %bb.2773:                             ;   in Loop: Header=BB2_2392 Depth=3
	s_or_b32 exec_lo, exec_lo, s44
	s_delay_alu instid0(SALU_CYCLE_1)
	s_and_b32 s14, s14, exec_lo
                                        ; implicit-def: $vgpr9
	s_or_saveexec_b32 s15, s15
	v_bfrev_b32_e32 v13, 1
	s_xor_b32 exec_lo, exec_lo, s15
	s_cbranch_execnz .LBB2_2806
.LBB2_2774:                             ;   in Loop: Header=BB2_2392 Depth=3
	s_or_b32 exec_lo, exec_lo, s15
	v_mov_b32_e32 v9, v3
	s_and_saveexec_b32 s15, s14
	s_cbranch_execz .LBB2_2776
.LBB2_2775:                             ;   in Loop: Header=BB2_2392 Depth=3
	v_and_b32_e32 v18, 0x7f, v11
	v_bfe_u32 v19, v11, 3, 4
	s_delay_alu instid0(VALU_DEP_2) | instskip(SKIP_1) | instid1(VALU_DEP_1)
	v_cmp_gt_u32_e32 vcc_lo, 8, v18
	v_and_b32_e32 v13, 7, v11
	v_clz_i32_u32_e32 v13, v13
	s_delay_alu instid0(VALU_DEP_1) | instskip(NEXT) | instid1(VALU_DEP_1)
	v_min_u32_e32 v13, 32, v13
	v_subrev_nc_u32_e32 v60, 28, v13
	v_sub_nc_u32_e32 v13, 29, v13
	s_delay_alu instid0(VALU_DEP_1) | instskip(SKIP_1) | instid1(VALU_DEP_2)
	v_dual_cndmask_b32 v13, v19, v13, vcc_lo :: v_dual_cndmask_b32 v19, 0, v60, vcc_lo
	v_cmp_ne_u32_e32 vcc_lo, 0x7f, v18
	v_lshlrev_b64_e32 v[60:61], v19, v[8:9]
	v_lshlrev_b32_e32 v9, 24, v8
	s_delay_alu instid0(VALU_DEP_1) | instskip(NEXT) | instid1(VALU_DEP_3)
	v_and_b32_e32 v9, 0x80000000, v9
	v_lshlrev_b32_e32 v19, 20, v60
	v_lshl_add_u32 v13, v13, 23, 0x3c000000
	s_delay_alu instid0(VALU_DEP_2) | instskip(NEXT) | instid1(VALU_DEP_1)
	v_and_b32_e32 v19, 0x700000, v19
	v_or3_b32 v9, v19, v9, v13
	s_delay_alu instid0(VALU_DEP_1)
	v_cndmask_b32_e32 v13, 0x7f800001, v9, vcc_lo
.LBB2_2776:                             ;   in Loop: Header=BB2_2392 Depth=3
	s_or_b32 exec_lo, exec_lo, s15
	s_delay_alu instid0(VALU_DEP_1) | instskip(NEXT) | instid1(VALU_DEP_1)
	v_dual_add_f32 v12, v12, v13 :: v_dual_mov_b32 v61, v3
	v_and_b32_e32 v60, 0x7f800000, v12
	v_lshrrev_b32_e32 v9, 24, v12
	s_delay_alu instid0(VALU_DEP_2) | instskip(SKIP_1) | instid1(SALU_CYCLE_1)
	v_cmp_ne_u64_e32 vcc_lo, 0x7f800000, v[60:61]
                                        ; implicit-def: $vgpr60
	s_and_saveexec_b32 s14, vcc_lo
	s_xor_b32 s15, exec_lo, s14
	s_cbranch_execz .LBB2_2790
; %bb.2777:                             ;   in Loop: Header=BB2_2392 Depth=3
	v_and_b32_e32 v60, 0x7fffffff, v12
	v_mov_b32_e32 v61, v3
	v_and_b32_e32 v9, 0x80, v9
	s_delay_alu instid0(VALU_DEP_2) | instskip(SKIP_1) | instid1(SALU_CYCLE_1)
	v_cmp_gt_u64_e32 vcc_lo, 0x43e00001, v[60:61]
                                        ; implicit-def: $vgpr60
	s_and_saveexec_b32 s14, vcc_lo
	s_xor_b32 s44, exec_lo, s14
	s_cbranch_execz .LBB2_2787
; %bb.2778:                             ;   in Loop: Header=BB2_2392 Depth=3
	v_mov_b32_e32 v60, 0
	s_mov_b32 s45, exec_lo
	v_cmpx_ne_u32_e32 0, v12
	s_cbranch_execz .LBB2_2786
; %bb.2779:                             ;   in Loop: Header=BB2_2392 Depth=3
	v_bfe_u32 v121, v12, 23, 8
	v_and_b32_e32 v18, 0x7fffff, v12
	s_mov_b32 s77, exec_lo
	v_mov_b32_e32 v61, v3
	s_delay_alu instid0(VALU_DEP_3) | instskip(NEXT) | instid1(VALU_DEP_3)
	v_cmp_gt_u32_e32 vcc_lo, 0x7a, v121
	v_or_b32_e32 v19, 0x800000, v18
	v_sub_nc_u32_e32 v13, 0x79, v121
	s_delay_alu instid0(VALU_DEP_1) | instskip(SKIP_1) | instid1(VALU_DEP_2)
	v_cndmask_b32_e32 v13, 0, v13, vcc_lo
	v_cmp_eq_u32_e32 vcc_lo, 0, v121
	v_cndmask_b32_e64 v122, v13, 0x78, vcc_lo
	v_cndmask_b32_e32 v60, v19, v18, vcc_lo
	s_delay_alu instid0(VALU_DEP_2) | instskip(NEXT) | instid1(VALU_DEP_1)
	v_dual_add_nc_u32 v12, 20, v122 :: v_dual_add_nc_u32 v123, 19, v122
	v_lshlrev_b64_e64 v[12:13], v12, -1
	s_delay_alu instid0(VALU_DEP_2) | instskip(NEXT) | instid1(VALU_DEP_2)
	v_lshlrev_b64_e64 v[124:125], v123, 1
	v_bfi_b32 v19, v13, 0, 0
	s_delay_alu instid0(VALU_DEP_3) | instskip(SKIP_1) | instid1(VALU_DEP_1)
	v_bfi_b32 v18, v12, 0, v60
	v_lshrrev_b64 v[12:13], v122, v[60:61]
	v_mov_b64_e32 v[60:61], v[12:13]
	s_delay_alu instid0(VALU_DEP_3)
	v_cmpx_eq_u64_e64 v[18:19], v[124:125]
; %bb.2780:                             ;   in Loop: Header=BB2_2392 Depth=3
	v_bfe_u32 v18, v12, 20, 1
	v_mov_b32_e32 v19, v3
	s_delay_alu instid0(VALU_DEP_1) | instskip(NEXT) | instid1(VALU_DEP_1)
	v_add_nc_u64_e32 v[18:19], v[12:13], v[18:19]
	v_add_nc_u64_e32 v[60:61], -1, v[18:19]
; %bb.2781:                             ;   in Loop: Header=BB2_2392 Depth=3
	s_or_b32 exec_lo, exec_lo, s77
	v_add_nc_u32_e32 v13, 0xffffff81, v121
	v_lshrrev_b32_e32 v18, 23, v12
	s_mov_b32 s14, exec_lo
	s_delay_alu instid0(VALU_DEP_2) | instskip(NEXT) | instid1(VALU_DEP_1)
	v_cndmask_b32_e64 v13, v13, 0xffffff82, vcc_lo
	v_add3_u32 v61, v122, v13, v18
	v_and_b32_e32 v13, 0xfffff, v60
                                        ; implicit-def: $vgpr60
	s_delay_alu instid0(VALU_DEP_1) | instskip(SKIP_1) | instid1(VALU_DEP_2)
	v_dual_add_nc_u32 v121, 6, v61 :: v_dual_add_nc_u32 v12, v13, v12
	v_mov_b32_e32 v13, v3
	v_cmpx_ne_u32_e32 0, v121
	s_xor_b32 s14, exec_lo, s14
; %bb.2782:                             ;   in Loop: Header=BB2_2392 Depth=3
	s_delay_alu instid0(VALU_DEP_2) | instskip(SKIP_1) | instid1(VALU_DEP_1)
	v_cmp_lt_u64_e32 vcc_lo, 0xffffff, v[12:13]
	v_add_nc_u32_e32 v18, 7, v61
	v_cndmask_b32_e32 v60, v121, v18, vcc_lo
	v_cndmask_b32_e64 v18, 0, 1, vcc_lo
	s_delay_alu instid0(VALU_DEP_1)
	v_lshrrev_b64 v[12:13], v18, v[12:13]
; %bb.2783:                             ;   in Loop: Header=BB2_2392 Depth=3
	s_and_not1_saveexec_b32 s14, s14
; %bb.2784:                             ;   in Loop: Header=BB2_2392 Depth=3
	s_delay_alu instid0(VALU_DEP_1)
	v_bfe_u32 v60, v12, 23, 1
; %bb.2785:                             ;   in Loop: Header=BB2_2392 Depth=3
	s_or_b32 exec_lo, exec_lo, s14
	s_delay_alu instid0(VALU_DEP_2) | instskip(NEXT) | instid1(VALU_DEP_2)
	v_lshrrev_b64 v[12:13], 20, v[12:13]
	v_cmp_gt_i32_e32 vcc_lo, 16, v60
	v_min_i32_e32 v18, 15, v60
	v_cmp_eq_u32_e64 s14, 0, v60
	s_delay_alu instid0(VALU_DEP_2) | instskip(SKIP_1) | instid1(VALU_DEP_2)
	v_dual_cndmask_b32 v13, 0, v13 :: v_dual_lshlrev_b32 v18, 3, v18
	v_cndmask_b32_e32 v12, 7, v12, vcc_lo
	v_and_b32_e32 v18, 0xf8, v18
	s_delay_alu instid0(VALU_DEP_2) | instskip(NEXT) | instid1(VALU_DEP_2)
	v_cmp_eq_u64_e32 vcc_lo, 0, v[12:13]
	v_and_or_b32 v12, v12, 7, v18
	s_and_b32 s14, s14, vcc_lo
	s_delay_alu instid0(VALU_DEP_1) | instid1(SALU_CYCLE_1)
	v_cndmask_b32_e64 v12, v12, 0, s14
	s_delay_alu instid0(VALU_DEP_1)
	v_or_b32_e32 v60, v12, v9
.LBB2_2786:                             ;   in Loop: Header=BB2_2392 Depth=3
	s_or_b32 exec_lo, exec_lo, s45
                                        ; implicit-def: $vgpr9
.LBB2_2787:                             ;   in Loop: Header=BB2_2392 Depth=3
	s_and_not1_saveexec_b32 s14, s44
; %bb.2788:                             ;   in Loop: Header=BB2_2392 Depth=3
	v_or_b32_e32 v60, 0x7e, v9
; %bb.2789:                             ;   in Loop: Header=BB2_2392 Depth=3
	s_or_b32 exec_lo, exec_lo, s14
                                        ; implicit-def: $vgpr9
.LBB2_2790:                             ;   in Loop: Header=BB2_2392 Depth=3
	s_and_not1_saveexec_b32 s14, s15
; %bb.2791:                             ;   in Loop: Header=BB2_2392 Depth=3
	v_or_b32_e32 v60, 0x7f, v9
; %bb.2792:                             ;   in Loop: Header=BB2_2392 Depth=3
	s_or_b32 exec_lo, exec_lo, s14
	v_lshrrev_b16 v12, 8, v2
	v_mov_b32_e32 v9, 0
	s_mov_b32 s14, exec_lo
	s_delay_alu instid0(VALU_DEP_2)
	v_cmpx_ne_u16_e32 0, v12
	s_cbranch_execz .LBB2_2800
; %bb.2793:                             ;   in Loop: Header=BB2_2392 Depth=3
	v_bfrev_b32_e32 v9, 1
	s_mov_b32 s15, exec_lo
	v_cmpx_ne_u16_e32 0x80, v12
	s_cbranch_execz .LBB2_2799
; %bb.2794:                             ;   in Loop: Header=BB2_2392 Depth=3
	v_and_b32_e32 v12, 0xffff, v12
	v_mov_b32_e32 v9, 0x7f800001
	s_mov_b32 s44, exec_lo
	s_delay_alu instid0(VALU_DEP_2) | instskip(NEXT) | instid1(VALU_DEP_1)
	v_and_b32_e32 v61, 0x7f, v12
	v_cmpx_ne_u32_e32 0x7f, v61
	s_cbranch_execz .LBB2_2798
; %bb.2795:                             ;   in Loop: Header=BB2_2392 Depth=3
	v_dual_mov_b32 v13, v3 :: v_dual_bitop2_b32 v12, 7, v12 bitop3:0x40
	v_lshrrev_b32_e32 v9, 3, v61
	s_mov_b32 s45, exec_lo
	v_cmpx_gt_u32_e32 8, v61
; %bb.2796:                             ;   in Loop: Header=BB2_2392 Depth=3
	s_delay_alu instid0(VALU_DEP_3) | instskip(NEXT) | instid1(VALU_DEP_1)
	v_clz_i32_u32_e32 v9, v12
	v_min_u32_e32 v9, 32, v9
	s_delay_alu instid0(VALU_DEP_1) | instskip(NEXT) | instid1(VALU_DEP_1)
	v_subrev_nc_u32_e32 v18, 28, v9
	v_lshlrev_b64_e32 v[12:13], v18, v[12:13]
	s_delay_alu instid0(VALU_DEP_1)
	v_dual_sub_nc_u32 v9, 29, v9 :: v_dual_bitop2_b32 v12, 7, v12 bitop3:0x40
; %bb.2797:                             ;   in Loop: Header=BB2_2392 Depth=3
	s_or_b32 exec_lo, exec_lo, s45
	s_delay_alu instid0(VALU_DEP_1) | instskip(NEXT) | instid1(VALU_DEP_2)
	v_dual_lshlrev_b32 v2, 16, v2 :: v_dual_lshlrev_b32 v12, 20, v12
	v_lshl_add_u32 v9, v9, 23, 0x3c000000
	s_delay_alu instid0(VALU_DEP_2) | instskip(NEXT) | instid1(VALU_DEP_1)
	v_and_b32_e32 v2, 0x80000000, v2
	v_or3_b32 v9, v12, v2, v9
.LBB2_2798:                             ;   in Loop: Header=BB2_2392 Depth=3
	s_or_b32 exec_lo, exec_lo, s44
.LBB2_2799:                             ;   in Loop: Header=BB2_2392 Depth=3
	s_delay_alu instid0(SALU_CYCLE_1)
	s_or_b32 exec_lo, exec_lo, s15
.LBB2_2800:                             ;   in Loop: Header=BB2_2392 Depth=3
	s_delay_alu instid0(SALU_CYCLE_1) | instskip(SKIP_3) | instid1(VALU_DEP_1)
	s_or_b32 exec_lo, exec_lo, s14
	v_lshrrev_b16 v8, 8, v8
	s_mov_b32 s15, 0
	s_mov_b32 s14, exec_lo
	v_cmpx_lt_i16_e32 0x7f, v8
	s_xor_b32 s14, exec_lo, s14
	s_cbranch_execz .LBB2_2807
; %bb.2801:                             ;   in Loop: Header=BB2_2392 Depth=3
	s_mov_b32 s15, -1
	s_mov_b32 s44, exec_lo
	v_cmpx_eq_u16_e32 0x80, v8
; %bb.2802:                             ;   in Loop: Header=BB2_2392 Depth=3
	s_xor_b32 s15, exec_lo, -1
; %bb.2803:                             ;   in Loop: Header=BB2_2392 Depth=3
	s_or_b32 exec_lo, exec_lo, s44
	s_delay_alu instid0(SALU_CYCLE_1)
	s_and_b32 s15, s15, exec_lo
	s_or_saveexec_b32 s14, s14
	v_bfrev_b32_e32 v12, 1
	s_xor_b32 exec_lo, exec_lo, s14
	s_cbranch_execnz .LBB2_2808
.LBB2_2804:                             ;   in Loop: Header=BB2_2392 Depth=3
	s_or_b32 exec_lo, exec_lo, s14
	s_and_saveexec_b32 s14, s15
	s_cbranch_execnz .LBB2_2809
	s_branch .LBB2_2812
.LBB2_2805:                             ;   in Loop: Header=BB2_2392 Depth=3
	s_or_saveexec_b32 s15, s15
	v_bfrev_b32_e32 v13, 1
	s_xor_b32 exec_lo, exec_lo, s15
	s_cbranch_execz .LBB2_2774
.LBB2_2806:                             ;   in Loop: Header=BB2_2392 Depth=3
	v_cmp_ne_u16_e32 vcc_lo, 0, v9
	v_mov_b32_e32 v13, 0
	s_and_not1_b32 s14, s14, exec_lo
	s_and_b32 s44, vcc_lo, exec_lo
	s_delay_alu instid0(SALU_CYCLE_1)
	s_or_b32 s14, s14, s44
	s_or_b32 exec_lo, exec_lo, s15
	v_mov_b32_e32 v9, v3
	s_and_saveexec_b32 s15, s14
	s_cbranch_execnz .LBB2_2775
	s_branch .LBB2_2776
.LBB2_2807:                             ;   in Loop: Header=BB2_2392 Depth=3
	s_or_saveexec_b32 s14, s14
	v_bfrev_b32_e32 v12, 1
	s_xor_b32 exec_lo, exec_lo, s14
	s_cbranch_execz .LBB2_2804
.LBB2_2808:                             ;   in Loop: Header=BB2_2392 Depth=3
	v_cmp_ne_u16_e32 vcc_lo, 0, v8
	v_mov_b32_e32 v12, 0
	s_and_not1_b32 s15, s15, exec_lo
	s_and_b32 s44, vcc_lo, exec_lo
	s_delay_alu instid0(SALU_CYCLE_1)
	s_or_b32 s15, s15, s44
	s_or_b32 exec_lo, exec_lo, s14
	s_and_saveexec_b32 s14, s15
	s_cbranch_execz .LBB2_2812
.LBB2_2809:                             ;   in Loop: Header=BB2_2392 Depth=3
	v_and_b32_e32 v2, 0xffff, v8
	v_mov_b32_e32 v12, 0x7f800001
	s_mov_b32 s15, exec_lo
	s_delay_alu instid0(VALU_DEP_2) | instskip(NEXT) | instid1(VALU_DEP_1)
	v_and_b32_e32 v13, 0x7f, v2
	v_cmpx_ne_u32_e32 0x7f, v13
	s_cbranch_execz .LBB2_2811
; %bb.2810:                             ;   in Loop: Header=BB2_2392 Depth=3
	v_and_b32_e32 v12, 7, v2
	v_cmp_gt_u32_e32 vcc_lo, 8, v13
	s_delay_alu instid0(VALU_DEP_2) | instskip(NEXT) | instid1(VALU_DEP_1)
	v_clz_i32_u32_e32 v18, v12
	v_min_u32_e32 v61, 32, v18
	s_delay_alu instid0(VALU_DEP_1) | instskip(NEXT) | instid1(VALU_DEP_1)
	v_subrev_nc_u32_e32 v18, 28, v61
	v_lshlrev_b64_e32 v[18:19], v18, v[2:3]
	v_lshrrev_b32_e32 v2, 3, v13
	s_delay_alu instid0(VALU_DEP_2) | instskip(NEXT) | instid1(VALU_DEP_1)
	v_dual_sub_nc_u32 v19, 29, v61 :: v_dual_bitop2_b32 v13, 7, v18 bitop3:0x40
	v_dual_lshlrev_b32 v8, 24, v8 :: v_dual_cndmask_b32 v2, v2, v19, vcc_lo
	s_delay_alu instid0(VALU_DEP_2) | instskip(NEXT) | instid1(VALU_DEP_2)
	v_cndmask_b32_e32 v12, v12, v13, vcc_lo
	v_and_b32_e32 v8, 0x80000000, v8
	s_delay_alu instid0(VALU_DEP_3) | instskip(NEXT) | instid1(VALU_DEP_3)
	v_lshl_add_u32 v2, v2, 23, 0x3c000000
	v_lshlrev_b32_e32 v12, 20, v12
	s_delay_alu instid0(VALU_DEP_1)
	v_or3_b32 v12, v12, v8, v2
.LBB2_2811:                             ;   in Loop: Header=BB2_2392 Depth=3
	s_or_b32 exec_lo, exec_lo, s15
.LBB2_2812:                             ;   in Loop: Header=BB2_2392 Depth=3
	s_delay_alu instid0(SALU_CYCLE_1) | instskip(NEXT) | instid1(VALU_DEP_1)
	s_or_b32 exec_lo, exec_lo, s14
	v_add_f32_e32 v8, v9, v12
                                        ; implicit-def: $vgpr61
	s_mov_b32 s14, exec_lo
	s_delay_alu instid0(VALU_DEP_1) | instskip(SKIP_1) | instid1(VALU_DEP_2)
	v_and_b32_e32 v2, 0x7f800000, v8
	v_lshrrev_b32_e32 v9, 24, v8
	v_cmpx_ne_u64_e32 0x7f800000, v[2:3]
	s_xor_b32 s15, exec_lo, s14
	s_cbranch_execz .LBB2_2826
; %bb.2813:                             ;   in Loop: Header=BB2_2392 Depth=3
	v_and_b32_e32 v2, 0x7fffffff, v8
	v_and_b32_e32 v121, 0x80, v9
                                        ; implicit-def: $vgpr61
	s_mov_b32 s14, exec_lo
	s_delay_alu instid0(VALU_DEP_2)
	v_cmpx_gt_u64_e32 0x43e00001, v[2:3]
	s_xor_b32 s44, exec_lo, s14
	s_cbranch_execz .LBB2_2823
; %bb.2814:                             ;   in Loop: Header=BB2_2392 Depth=3
	v_mov_b32_e32 v61, 0
	s_mov_b32 s45, exec_lo
	v_cmpx_ne_u32_e32 0, v8
	s_cbranch_execz .LBB2_2822
; %bb.2815:                             ;   in Loop: Header=BB2_2392 Depth=3
	v_bfe_u32 v61, v8, 23, 8
	s_delay_alu instid0(VALU_DEP_1) | instskip(SKIP_1) | instid1(VALU_DEP_2)
	v_sub_nc_u32_e32 v2, 0x79, v61
	v_cmp_gt_u32_e32 vcc_lo, 0x7a, v61
	v_cndmask_b32_e32 v2, 0, v2, vcc_lo
	v_cmp_eq_u32_e32 vcc_lo, 0, v61
	s_delay_alu instid0(VALU_DEP_2) | instskip(SKIP_1) | instid1(VALU_DEP_2)
	v_cndmask_b32_e64 v122, v2, 0x78, vcc_lo
	v_and_b32_e32 v2, 0x7fffff, v8
	v_dual_add_nc_u32 v8, 20, v122 :: v_dual_add_nc_u32 v13, 19, v122
	s_delay_alu instid0(VALU_DEP_2) | instskip(NEXT) | instid1(VALU_DEP_2)
	v_or_b32_e32 v12, 0x800000, v2
	v_lshlrev_b64_e64 v[8:9], v8, -1
	s_delay_alu instid0(VALU_DEP_2) | instskip(NEXT) | instid1(VALU_DEP_4)
	v_cndmask_b32_e32 v2, v12, v2, vcc_lo
	v_lshlrev_b64_e64 v[12:13], v13, 1
	s_delay_alu instid0(VALU_DEP_3) | instskip(NEXT) | instid1(VALU_DEP_3)
	v_bfi_b32 v19, v9, 0, 0
	v_bfi_b32 v18, v8, 0, v2
	v_lshrrev_b64 v[8:9], v122, v[2:3]
	s_delay_alu instid0(VALU_DEP_2) | instskip(NEXT) | instid1(VALU_DEP_2)
	v_cmp_eq_u64_e64 s14, v[18:19], v[12:13]
	v_mov_b64_e32 v[12:13], v[8:9]
	s_and_saveexec_b32 s77, s14
; %bb.2816:                             ;   in Loop: Header=BB2_2392 Depth=3
	v_bfe_u32 v2, v8, 20, 1
	s_delay_alu instid0(VALU_DEP_1) | instskip(NEXT) | instid1(VALU_DEP_1)
	v_add_nc_u64_e32 v[12:13], v[8:9], v[2:3]
	v_add_nc_u64_e32 v[12:13], -1, v[12:13]
; %bb.2817:                             ;   in Loop: Header=BB2_2392 Depth=3
	s_or_b32 exec_lo, exec_lo, s77
	v_add_nc_u32_e32 v2, 0xffffff81, v61
	v_lshrrev_b32_e32 v9, 23, v8
	s_mov_b32 s14, exec_lo
	s_delay_alu instid0(VALU_DEP_2) | instskip(NEXT) | instid1(VALU_DEP_1)
	v_cndmask_b32_e64 v2, v2, 0xffffff82, vcc_lo
	v_add3_u32 v13, v122, v2, v9
	v_and_b32_e32 v2, 0xfffff, v12
                                        ; implicit-def: $vgpr12
	s_delay_alu instid0(VALU_DEP_1) | instskip(NEXT) | instid1(VALU_DEP_1)
	v_dual_add_nc_u32 v61, 6, v13 :: v_dual_add_nc_u32 v2, v2, v8
                                        ; implicit-def: $vgpr8_vgpr9
	v_cmpx_ne_u32_e32 0, v61
	s_xor_b32 s14, exec_lo, s14
; %bb.2818:                             ;   in Loop: Header=BB2_2392 Depth=3
	s_delay_alu instid0(VALU_DEP_2) | instskip(SKIP_1) | instid1(VALU_DEP_1)
	v_cmp_lt_u64_e32 vcc_lo, 0xffffff, v[2:3]
	v_add_nc_u32_e32 v8, 7, v13
	v_cndmask_b32_e32 v12, v61, v8, vcc_lo
	v_cndmask_b32_e64 v8, 0, 1, vcc_lo
	s_delay_alu instid0(VALU_DEP_1)
	v_lshrrev_b64 v[8:9], v8, v[2:3]
; %bb.2819:                             ;   in Loop: Header=BB2_2392 Depth=3
	s_and_not1_saveexec_b32 s14, s14
; %bb.2820:                             ;   in Loop: Header=BB2_2392 Depth=3
	v_mov_b64_e32 v[8:9], v[2:3]
	v_bfe_u32 v12, v2, 23, 1
; %bb.2821:                             ;   in Loop: Header=BB2_2392 Depth=3
	s_or_b32 exec_lo, exec_lo, s14
	s_delay_alu instid0(VALU_DEP_2) | instskip(NEXT) | instid1(VALU_DEP_2)
	v_lshrrev_b64 v[8:9], 20, v[8:9]
	v_cmp_gt_i32_e32 vcc_lo, 16, v12
	v_min_i32_e32 v2, 15, v12
	v_cmp_eq_u32_e64 s14, 0, v12
	s_delay_alu instid0(VALU_DEP_2) | instskip(SKIP_1) | instid1(VALU_DEP_2)
	v_dual_cndmask_b32 v9, 0, v9 :: v_dual_lshlrev_b32 v2, 3, v2
	v_cndmask_b32_e32 v8, 7, v8, vcc_lo
	v_and_b32_e32 v2, 0xf8, v2
	s_delay_alu instid0(VALU_DEP_2) | instskip(NEXT) | instid1(VALU_DEP_2)
	v_cmp_eq_u64_e32 vcc_lo, 0, v[8:9]
	v_and_or_b32 v2, v8, 7, v2
	s_and_b32 s14, s14, vcc_lo
	s_delay_alu instid0(VALU_DEP_1) | instid1(SALU_CYCLE_1)
	v_cndmask_b32_e64 v2, v2, 0, s14
	s_delay_alu instid0(VALU_DEP_1)
	v_or_b32_e32 v61, v2, v121
.LBB2_2822:                             ;   in Loop: Header=BB2_2392 Depth=3
	s_or_b32 exec_lo, exec_lo, s45
                                        ; implicit-def: $vgpr121
.LBB2_2823:                             ;   in Loop: Header=BB2_2392 Depth=3
	s_and_not1_saveexec_b32 s14, s44
; %bb.2824:                             ;   in Loop: Header=BB2_2392 Depth=3
	v_or_b32_e32 v61, 0x7e, v121
; %bb.2825:                             ;   in Loop: Header=BB2_2392 Depth=3
	s_or_b32 exec_lo, exec_lo, s14
                                        ; implicit-def: $vgpr9
.LBB2_2826:                             ;   in Loop: Header=BB2_2392 Depth=3
	s_and_not1_saveexec_b32 s14, s15
; %bb.2827:                             ;   in Loop: Header=BB2_2392 Depth=3
	v_or_b32_e32 v61, 0x7f, v9
; %bb.2828:                             ;   in Loop: Header=BB2_2392 Depth=3
	s_or_b32 exec_lo, exec_lo, s14
	v_dual_mov_b32 v8, 0 :: v_dual_lshrrev_b32 v9, 16, v15
	s_mov_b32 s14, exec_lo
	s_delay_alu instid0(VALU_DEP_1) | instskip(NEXT) | instid1(VALU_DEP_1)
	v_and_b32_e32 v2, 0xff, v9
	v_cmpx_ne_u16_e32 0, v2
	s_cbranch_execz .LBB2_2836
; %bb.2829:                             ;   in Loop: Header=BB2_2392 Depth=3
	v_bfrev_b32_e32 v8, 1
	s_mov_b32 s15, exec_lo
	v_cmpx_ne_u16_e32 0x80, v2
	s_cbranch_execz .LBB2_2835
; %bb.2830:                             ;   in Loop: Header=BB2_2392 Depth=3
	v_bfe_u32 v12, v15, 16, 7
	v_mov_b32_e32 v8, 0x7f800001
	s_mov_b32 s44, exec_lo
	s_delay_alu instid0(VALU_DEP_2)
	v_cmpx_ne_u32_e32 0x7f, v12
	s_cbranch_execz .LBB2_2834
; %bb.2831:                             ;   in Loop: Header=BB2_2392 Depth=3
	v_dual_lshrrev_b32 v8, 3, v12 :: v_dual_bitop2_b32 v2, 7, v9 bitop3:0x40
	s_mov_b32 s45, exec_lo
	v_cmpx_gt_u32_e32 8, v12
; %bb.2832:                             ;   in Loop: Header=BB2_2392 Depth=3
	s_delay_alu instid0(VALU_DEP_2) | instskip(NEXT) | instid1(VALU_DEP_1)
	v_clz_i32_u32_e32 v8, v2
	v_min_u32_e32 v8, 32, v8
	s_delay_alu instid0(VALU_DEP_1) | instskip(SKIP_1) | instid1(VALU_DEP_2)
	v_subrev_nc_u32_e32 v12, 28, v8
	v_sub_nc_u32_e32 v8, 29, v8
	v_lshlrev_b64_e32 v[12:13], v12, v[2:3]
	s_delay_alu instid0(VALU_DEP_1)
	v_and_b32_e32 v2, 7, v12
; %bb.2833:                             ;   in Loop: Header=BB2_2392 Depth=3
	s_or_b32 exec_lo, exec_lo, s45
	s_delay_alu instid0(VALU_DEP_1) | instskip(SKIP_1) | instid1(VALU_DEP_2)
	v_dual_lshlrev_b32 v9, 24, v9 :: v_dual_lshlrev_b32 v2, 20, v2
	v_lshl_add_u32 v8, v8, 23, 0x3c000000
	v_and_b32_e32 v9, 0x80000000, v9
	s_delay_alu instid0(VALU_DEP_1)
	v_or3_b32 v8, v2, v9, v8
.LBB2_2834:                             ;   in Loop: Header=BB2_2392 Depth=3
	s_or_b32 exec_lo, exec_lo, s44
.LBB2_2835:                             ;   in Loop: Header=BB2_2392 Depth=3
	s_delay_alu instid0(SALU_CYCLE_1)
	s_or_b32 exec_lo, exec_lo, s15
.LBB2_2836:                             ;   in Loop: Header=BB2_2392 Depth=3
	s_delay_alu instid0(SALU_CYCLE_1) | instskip(SKIP_3) | instid1(VALU_DEP_1)
	s_or_b32 exec_lo, exec_lo, s14
	v_lshrrev_b32_e32 v2, 16, v11
	s_mov_b32 s15, 0
	s_mov_b32 s14, exec_lo
	v_and_b32_e32 v12, 0xff, v2
	s_delay_alu instid0(VALU_DEP_1)
	v_cmpx_lt_i16_e32 0x7f, v12
	s_xor_b32 s14, exec_lo, s14
	s_cbranch_execz .LBB2_2841
; %bb.2837:                             ;   in Loop: Header=BB2_2392 Depth=3
	s_mov_b32 s15, -1
	s_mov_b32 s44, exec_lo
	v_cmpx_eq_u16_e32 0x80, v12
; %bb.2838:                             ;   in Loop: Header=BB2_2392 Depth=3
	s_xor_b32 s15, exec_lo, -1
; %bb.2839:                             ;   in Loop: Header=BB2_2392 Depth=3
	s_or_b32 exec_lo, exec_lo, s44
	s_delay_alu instid0(SALU_CYCLE_1)
	s_and_b32 s15, s15, exec_lo
                                        ; implicit-def: $vgpr12
	s_or_saveexec_b32 s14, s14
	v_bfrev_b32_e32 v9, 1
	s_xor_b32 exec_lo, exec_lo, s14
	s_cbranch_execnz .LBB2_2842
.LBB2_2840:                             ;   in Loop: Header=BB2_2392 Depth=3
	s_or_b32 exec_lo, exec_lo, s14
	s_and_saveexec_b32 s14, s15
	s_cbranch_execnz .LBB2_2843
	s_branch .LBB2_2846
.LBB2_2841:                             ;   in Loop: Header=BB2_2392 Depth=3
	s_or_saveexec_b32 s14, s14
	v_bfrev_b32_e32 v9, 1
	s_xor_b32 exec_lo, exec_lo, s14
	s_cbranch_execz .LBB2_2840
.LBB2_2842:                             ;   in Loop: Header=BB2_2392 Depth=3
	v_cmp_ne_u16_e32 vcc_lo, 0, v12
	v_mov_b32_e32 v9, 0
	s_and_not1_b32 s15, s15, exec_lo
	s_and_b32 s44, vcc_lo, exec_lo
	s_delay_alu instid0(SALU_CYCLE_1)
	s_or_b32 s15, s15, s44
	s_or_b32 exec_lo, exec_lo, s14
	s_and_saveexec_b32 s14, s15
	s_cbranch_execz .LBB2_2846
.LBB2_2843:                             ;   in Loop: Header=BB2_2392 Depth=3
	v_and_b32_e32 v12, 0x7f, v2
	v_mov_b32_e32 v9, 0x7f800001
	s_mov_b32 s15, exec_lo
	s_delay_alu instid0(VALU_DEP_2)
	v_cmpx_ne_u32_e32 0x7f, v12
	s_cbranch_execz .LBB2_2845
; %bb.2844:                             ;   in Loop: Header=BB2_2392 Depth=3
	v_and_b32_e32 v9, 7, v2
	v_cmp_gt_u32_e32 vcc_lo, 8, v12
	s_delay_alu instid0(VALU_DEP_2) | instskip(NEXT) | instid1(VALU_DEP_1)
	v_clz_i32_u32_e32 v13, v9
	v_min_u32_e32 v13, 32, v13
	s_delay_alu instid0(VALU_DEP_1) | instskip(NEXT) | instid1(VALU_DEP_1)
	v_subrev_nc_u32_e32 v18, 28, v13
	v_lshlrev_b64_e32 v[18:19], v18, v[2:3]
	v_dual_lshrrev_b32 v19, 3, v12 :: v_dual_sub_nc_u32 v13, 29, v13
	s_delay_alu instid0(VALU_DEP_2) | instskip(NEXT) | instid1(VALU_DEP_2)
	v_and_b32_e32 v12, 7, v18
	v_dual_cndmask_b32 v13, v19, v13 :: v_dual_lshlrev_b32 v2, 24, v2
	s_delay_alu instid0(VALU_DEP_2) | instskip(NEXT) | instid1(VALU_DEP_2)
	v_cndmask_b32_e32 v9, v9, v12, vcc_lo
	v_and_b32_e32 v2, 0x80000000, v2
	s_delay_alu instid0(VALU_DEP_3) | instskip(NEXT) | instid1(VALU_DEP_3)
	v_lshl_add_u32 v12, v13, 23, 0x3c000000
	v_lshlrev_b32_e32 v9, 20, v9
	s_delay_alu instid0(VALU_DEP_1)
	v_or3_b32 v9, v9, v2, v12
.LBB2_2845:                             ;   in Loop: Header=BB2_2392 Depth=3
	s_or_b32 exec_lo, exec_lo, s15
.LBB2_2846:                             ;   in Loop: Header=BB2_2392 Depth=3
	s_delay_alu instid0(SALU_CYCLE_1) | instskip(NEXT) | instid1(VALU_DEP_1)
	s_or_b32 exec_lo, exec_lo, s14
	v_add_f32_e32 v8, v8, v9
                                        ; implicit-def: $vgpr12
	s_mov_b32 s14, exec_lo
	s_delay_alu instid0(VALU_DEP_1) | instskip(SKIP_1) | instid1(VALU_DEP_2)
	v_and_b32_e32 v2, 0x7f800000, v8
	v_lshrrev_b32_e32 v9, 24, v8
	v_cmpx_ne_u64_e32 0x7f800000, v[2:3]
	s_xor_b32 s15, exec_lo, s14
	s_cbranch_execz .LBB2_2860
; %bb.2847:                             ;   in Loop: Header=BB2_2392 Depth=3
	v_and_b32_e32 v2, 0x7fffffff, v8
	v_and_b32_e32 v121, 0x80, v9
                                        ; implicit-def: $vgpr12
	s_mov_b32 s14, exec_lo
	s_delay_alu instid0(VALU_DEP_2)
	v_cmpx_gt_u64_e32 0x43e00001, v[2:3]
	s_xor_b32 s44, exec_lo, s14
	s_cbranch_execz .LBB2_2857
; %bb.2848:                             ;   in Loop: Header=BB2_2392 Depth=3
	v_mov_b32_e32 v12, 0
	s_mov_b32 s45, exec_lo
	v_cmpx_ne_u32_e32 0, v8
	s_cbranch_execz .LBB2_2856
; %bb.2849:                             ;   in Loop: Header=BB2_2392 Depth=3
	v_bfe_u32 v122, v8, 23, 8
	s_delay_alu instid0(VALU_DEP_1) | instskip(SKIP_1) | instid1(VALU_DEP_2)
	v_sub_nc_u32_e32 v2, 0x79, v122
	v_cmp_gt_u32_e32 vcc_lo, 0x7a, v122
	v_cndmask_b32_e32 v2, 0, v2, vcc_lo
	v_cmp_eq_u32_e32 vcc_lo, 0, v122
	s_delay_alu instid0(VALU_DEP_2) | instskip(SKIP_1) | instid1(VALU_DEP_2)
	v_cndmask_b32_e64 v123, v2, 0x78, vcc_lo
	v_and_b32_e32 v2, 0x7fffff, v8
	v_add_nc_u32_e32 v8, 20, v123
	s_delay_alu instid0(VALU_DEP_2) | instskip(SKIP_1) | instid1(VALU_DEP_3)
	v_or_b32_e32 v12, 0x800000, v2
	v_add_nc_u32_e32 v13, 19, v123
	v_lshlrev_b64_e64 v[8:9], v8, -1
	s_delay_alu instid0(VALU_DEP_3) | instskip(NEXT) | instid1(VALU_DEP_3)
	v_cndmask_b32_e32 v2, v12, v2, vcc_lo
	v_lshlrev_b64_e64 v[12:13], v13, 1
	s_delay_alu instid0(VALU_DEP_3) | instskip(NEXT) | instid1(VALU_DEP_3)
	v_bfi_b32 v19, v9, 0, 0
	v_bfi_b32 v18, v8, 0, v2
	v_lshrrev_b64 v[8:9], v123, v[2:3]
	s_delay_alu instid0(VALU_DEP_2) | instskip(NEXT) | instid1(VALU_DEP_2)
	v_cmp_eq_u64_e64 s14, v[18:19], v[12:13]
	v_mov_b64_e32 v[12:13], v[8:9]
	s_and_saveexec_b32 s77, s14
; %bb.2850:                             ;   in Loop: Header=BB2_2392 Depth=3
	v_bfe_u32 v2, v8, 20, 1
	s_delay_alu instid0(VALU_DEP_1) | instskip(NEXT) | instid1(VALU_DEP_1)
	v_add_nc_u64_e32 v[12:13], v[8:9], v[2:3]
	v_add_nc_u64_e32 v[12:13], -1, v[12:13]
; %bb.2851:                             ;   in Loop: Header=BB2_2392 Depth=3
	s_or_b32 exec_lo, exec_lo, s77
	v_add_nc_u32_e32 v2, 0xffffff81, v122
	v_lshrrev_b32_e32 v9, 23, v8
	s_mov_b32 s14, exec_lo
	s_delay_alu instid0(VALU_DEP_2) | instskip(NEXT) | instid1(VALU_DEP_1)
	v_cndmask_b32_e64 v2, v2, 0xffffff82, vcc_lo
	v_add3_u32 v13, v123, v2, v9
	v_and_b32_e32 v2, 0xfffff, v12
                                        ; implicit-def: $vgpr12
	s_delay_alu instid0(VALU_DEP_1) | instskip(NEXT) | instid1(VALU_DEP_1)
	v_dual_add_nc_u32 v122, 6, v13 :: v_dual_add_nc_u32 v2, v2, v8
                                        ; implicit-def: $vgpr8_vgpr9
	v_cmpx_ne_u32_e32 0, v122
	s_xor_b32 s14, exec_lo, s14
; %bb.2852:                             ;   in Loop: Header=BB2_2392 Depth=3
	s_delay_alu instid0(VALU_DEP_2) | instskip(SKIP_1) | instid1(VALU_DEP_1)
	v_cmp_lt_u64_e32 vcc_lo, 0xffffff, v[2:3]
	v_add_nc_u32_e32 v8, 7, v13
	v_cndmask_b32_e32 v12, v122, v8, vcc_lo
	v_cndmask_b32_e64 v8, 0, 1, vcc_lo
	s_delay_alu instid0(VALU_DEP_1)
	v_lshrrev_b64 v[8:9], v8, v[2:3]
; %bb.2853:                             ;   in Loop: Header=BB2_2392 Depth=3
	s_and_not1_saveexec_b32 s14, s14
; %bb.2854:                             ;   in Loop: Header=BB2_2392 Depth=3
	v_mov_b64_e32 v[8:9], v[2:3]
	v_bfe_u32 v12, v2, 23, 1
; %bb.2855:                             ;   in Loop: Header=BB2_2392 Depth=3
	s_or_b32 exec_lo, exec_lo, s14
	s_delay_alu instid0(VALU_DEP_2) | instskip(NEXT) | instid1(VALU_DEP_2)
	v_lshrrev_b64 v[8:9], 20, v[8:9]
	v_cmp_gt_i32_e32 vcc_lo, 16, v12
	v_min_i32_e32 v2, 15, v12
	v_cmp_eq_u32_e64 s14, 0, v12
	s_delay_alu instid0(VALU_DEP_2) | instskip(SKIP_1) | instid1(VALU_DEP_2)
	v_dual_cndmask_b32 v9, 0, v9 :: v_dual_lshlrev_b32 v2, 3, v2
	v_cndmask_b32_e32 v8, 7, v8, vcc_lo
	v_and_b32_e32 v2, 0xf8, v2
	s_delay_alu instid0(VALU_DEP_2) | instskip(NEXT) | instid1(VALU_DEP_2)
	v_cmp_eq_u64_e32 vcc_lo, 0, v[8:9]
	v_and_or_b32 v2, v8, 7, v2
	s_and_b32 s14, s14, vcc_lo
	s_delay_alu instid0(VALU_DEP_1) | instid1(SALU_CYCLE_1)
	v_cndmask_b32_e64 v2, v2, 0, s14
	s_delay_alu instid0(VALU_DEP_1)
	v_or_b32_e32 v12, v2, v121
.LBB2_2856:                             ;   in Loop: Header=BB2_2392 Depth=3
	s_or_b32 exec_lo, exec_lo, s45
                                        ; implicit-def: $vgpr121
.LBB2_2857:                             ;   in Loop: Header=BB2_2392 Depth=3
	s_and_not1_saveexec_b32 s14, s44
; %bb.2858:                             ;   in Loop: Header=BB2_2392 Depth=3
	v_or_b32_e32 v12, 0x7e, v121
; %bb.2859:                             ;   in Loop: Header=BB2_2392 Depth=3
	s_or_b32 exec_lo, exec_lo, s14
                                        ; implicit-def: $vgpr9
.LBB2_2860:                             ;   in Loop: Header=BB2_2392 Depth=3
	s_and_not1_saveexec_b32 s14, s15
; %bb.2861:                             ;   in Loop: Header=BB2_2392 Depth=3
	v_or_b32_e32 v12, 0x7f, v9
; %bb.2862:                             ;   in Loop: Header=BB2_2392 Depth=3
	s_or_b32 exec_lo, exec_lo, s14
	v_mov_b32_e32 v8, 0
	s_mov_b32 s14, exec_lo
	v_cmpx_lt_u64_e64 s[22:23], v[14:15]
	s_cbranch_execz .LBB2_2870
; %bb.2863:                             ;   in Loop: Header=BB2_2392 Depth=3
	v_lshrrev_b32_e32 v9, 24, v15
	v_bfrev_b32_e32 v8, 1
	s_mov_b32 s15, exec_lo
	s_delay_alu instid0(VALU_DEP_2)
	v_cmpx_ne_u32_e32 0x80, v9
	s_cbranch_execz .LBB2_2869
; %bb.2864:                             ;   in Loop: Header=BB2_2392 Depth=3
	v_bfe_u32 v13, v15, 24, 7
	v_mov_b32_e32 v8, 0x7f800001
	s_mov_b32 s44, exec_lo
	s_delay_alu instid0(VALU_DEP_2)
	v_cmpx_ne_u32_e32 0x7f, v13
	s_cbranch_execz .LBB2_2868
; %bb.2865:                             ;   in Loop: Header=BB2_2392 Depth=3
	v_and_b32_e32 v2, 7, v9
	v_lshrrev_b32_e32 v8, 3, v13
	s_mov_b32 s45, exec_lo
	v_cmpx_gt_u32_e32 8, v13
; %bb.2866:                             ;   in Loop: Header=BB2_2392 Depth=3
	s_delay_alu instid0(VALU_DEP_3) | instskip(NEXT) | instid1(VALU_DEP_1)
	v_clz_i32_u32_e32 v8, v2
	v_min_u32_e32 v8, 32, v8
	s_delay_alu instid0(VALU_DEP_1) | instskip(NEXT) | instid1(VALU_DEP_1)
	v_subrev_nc_u32_e32 v13, 28, v8
	v_lshlrev_b64_e32 v[14:15], v13, v[2:3]
	s_delay_alu instid0(VALU_DEP_1)
	v_dual_sub_nc_u32 v8, 29, v8 :: v_dual_bitop2_b32 v2, 7, v14 bitop3:0x40
; %bb.2867:                             ;   in Loop: Header=BB2_2392 Depth=3
	s_or_b32 exec_lo, exec_lo, s45
	s_delay_alu instid0(VALU_DEP_1) | instskip(NEXT) | instid1(VALU_DEP_2)
	v_dual_lshlrev_b32 v9, 24, v9 :: v_dual_lshlrev_b32 v2, 20, v2
	v_lshl_add_u32 v8, v8, 23, 0x3c000000
	s_delay_alu instid0(VALU_DEP_2) | instskip(NEXT) | instid1(VALU_DEP_1)
	v_and_b32_e32 v9, 0x80000000, v9
	v_or3_b32 v8, v2, v9, v8
.LBB2_2868:                             ;   in Loop: Header=BB2_2392 Depth=3
	s_or_b32 exec_lo, exec_lo, s44
.LBB2_2869:                             ;   in Loop: Header=BB2_2392 Depth=3
	s_delay_alu instid0(SALU_CYCLE_1)
	s_or_b32 exec_lo, exec_lo, s15
.LBB2_2870:                             ;   in Loop: Header=BB2_2392 Depth=3
	s_delay_alu instid0(SALU_CYCLE_1) | instskip(SKIP_3) | instid1(VALU_DEP_3)
	s_or_b32 exec_lo, exec_lo, s14
	v_lshrrev_b32_e32 v2, 24, v11
	v_bfe_u32 v9, v11, 24, 7
	v_cmp_gt_u64_e64 s15, s[24:25], v[10:11]
	v_cmp_eq_u32_e64 s14, 0x80, v2
	s_delay_alu instid0(VALU_DEP_3) | instskip(NEXT) | instid1(VALU_DEP_2)
	v_cmp_eq_u32_e32 vcc_lo, 0x7f, v9
	v_cndmask_b32_e64 v13, 0x7f800001, v77, s14
	s_or_b32 s14, s14, vcc_lo
	s_delay_alu instid0(VALU_DEP_1) | instskip(SKIP_1) | instid1(SALU_CYCLE_1)
	v_cndmask_b32_e64 v10, v13, 0, s15
	s_nor_b32 s15, s15, s14
	s_and_saveexec_b32 s14, s15
	s_cbranch_execz .LBB2_2872
; %bb.2871:                             ;   in Loop: Header=BB2_2392 Depth=3
	v_and_b32_e32 v13, 7, v2
	v_cmp_gt_u32_e32 vcc_lo, 8, v9
	s_delay_alu instid0(VALU_DEP_2) | instskip(NEXT) | instid1(VALU_DEP_1)
	v_clz_i32_u32_e32 v10, v13
	v_min_u32_e32 v14, 32, v10
	s_delay_alu instid0(VALU_DEP_1) | instskip(NEXT) | instid1(VALU_DEP_1)
	v_subrev_nc_u32_e32 v10, 28, v14
	v_lshlrev_b64_e32 v[10:11], v10, v[2:3]
	s_delay_alu instid0(VALU_DEP_1) | instskip(NEXT) | instid1(VALU_DEP_1)
	v_dual_lshrrev_b32 v11, 3, v9 :: v_dual_bitop2_b32 v9, 7, v10 bitop3:0x40
	v_dual_cndmask_b32 v9, v13, v9 :: v_dual_sub_nc_u32 v14, 29, v14
	v_lshlrev_b32_e32 v2, 24, v2
	s_delay_alu instid0(VALU_DEP_2) | instskip(NEXT) | instid1(VALU_DEP_2)
	v_dual_cndmask_b32 v10, v11, v14 :: v_dual_lshlrev_b32 v9, 20, v9
	v_and_b32_e32 v2, 0x80000000, v2
	s_delay_alu instid0(VALU_DEP_2) | instskip(NEXT) | instid1(VALU_DEP_1)
	v_lshl_add_u32 v10, v10, 23, 0x3c000000
	v_or3_b32 v10, v9, v2, v10
.LBB2_2872:                             ;   in Loop: Header=BB2_2392 Depth=3
	s_or_b32 exec_lo, exec_lo, s14
	s_delay_alu instid0(VALU_DEP_1) | instskip(NEXT) | instid1(VALU_DEP_1)
	v_add_f32_e32 v8, v8, v10
	v_and_b32_e32 v2, 0x7f800000, v8
	v_lshrrev_b32_e32 v9, 24, v8
	s_delay_alu instid0(VALU_DEP_2) | instskip(SKIP_1) | instid1(SALU_CYCLE_1)
	v_cmp_ne_u64_e32 vcc_lo, 0x7f800000, v[2:3]
                                        ; implicit-def: $vgpr2
	s_and_saveexec_b32 s14, vcc_lo
	s_xor_b32 s15, exec_lo, s14
	s_cbranch_execz .LBB2_2886
; %bb.2873:                             ;   in Loop: Header=BB2_2392 Depth=3
	v_and_b32_e32 v2, 0x7fffffff, v8
	v_and_b32_e32 v13, 0x80, v9
	s_delay_alu instid0(VALU_DEP_2) | instskip(SKIP_1) | instid1(SALU_CYCLE_1)
	v_cmp_gt_u64_e32 vcc_lo, 0x43e00001, v[2:3]
                                        ; implicit-def: $vgpr2
	s_and_saveexec_b32 s14, vcc_lo
	s_xor_b32 s44, exec_lo, s14
	s_cbranch_execz .LBB2_2883
; %bb.2874:                             ;   in Loop: Header=BB2_2392 Depth=3
	v_mov_b32_e32 v2, 0
	s_mov_b32 s45, exec_lo
	v_cmpx_ne_u32_e32 0, v8
	s_cbranch_execz .LBB2_2882
; %bb.2875:                             ;   in Loop: Header=BB2_2392 Depth=3
	v_bfe_u32 v14, v8, 23, 8
	s_delay_alu instid0(VALU_DEP_1) | instskip(SKIP_1) | instid1(VALU_DEP_2)
	v_sub_nc_u32_e32 v2, 0x79, v14
	v_cmp_gt_u32_e32 vcc_lo, 0x7a, v14
	v_cndmask_b32_e32 v2, 0, v2, vcc_lo
	v_cmp_eq_u32_e32 vcc_lo, 0, v14
	s_delay_alu instid0(VALU_DEP_2) | instskip(SKIP_1) | instid1(VALU_DEP_2)
	v_cndmask_b32_e64 v15, v2, 0x78, vcc_lo
	v_and_b32_e32 v2, 0x7fffff, v8
	v_add_nc_u32_e32 v8, 20, v15
	s_delay_alu instid0(VALU_DEP_2) | instskip(SKIP_1) | instid1(VALU_DEP_3)
	v_or_b32_e32 v10, 0x800000, v2
	v_add_nc_u32_e32 v11, 19, v15
	v_lshlrev_b64_e64 v[8:9], v8, -1
	s_delay_alu instid0(VALU_DEP_3) | instskip(NEXT) | instid1(VALU_DEP_3)
	v_cndmask_b32_e32 v2, v10, v2, vcc_lo
	v_lshlrev_b64_e64 v[10:11], v11, 1
	s_delay_alu instid0(VALU_DEP_3) | instskip(NEXT) | instid1(VALU_DEP_3)
	v_bfi_b32 v19, v9, 0, 0
	v_bfi_b32 v18, v8, 0, v2
	v_lshrrev_b64 v[8:9], v15, v[2:3]
	s_delay_alu instid0(VALU_DEP_2) | instskip(NEXT) | instid1(VALU_DEP_2)
	v_cmp_eq_u64_e64 s14, v[18:19], v[10:11]
	v_mov_b64_e32 v[10:11], v[8:9]
	s_and_saveexec_b32 s77, s14
; %bb.2876:                             ;   in Loop: Header=BB2_2392 Depth=3
	v_bfe_u32 v2, v8, 20, 1
	s_delay_alu instid0(VALU_DEP_1) | instskip(NEXT) | instid1(VALU_DEP_1)
	v_add_nc_u64_e32 v[10:11], v[8:9], v[2:3]
	v_add_nc_u64_e32 v[10:11], -1, v[10:11]
; %bb.2877:                             ;   in Loop: Header=BB2_2392 Depth=3
	s_or_b32 exec_lo, exec_lo, s77
	v_add_nc_u32_e32 v2, 0xffffff81, v14
	v_lshrrev_b32_e32 v9, 23, v8
	s_mov_b32 s14, exec_lo
	s_delay_alu instid0(VALU_DEP_2) | instskip(NEXT) | instid1(VALU_DEP_1)
	v_cndmask_b32_e64 v2, v2, 0xffffff82, vcc_lo
	v_add3_u32 v11, v15, v2, v9
	v_and_b32_e32 v2, 0xfffff, v10
                                        ; implicit-def: $vgpr10
	s_delay_alu instid0(VALU_DEP_1) | instskip(NEXT) | instid1(VALU_DEP_1)
	v_dual_add_nc_u32 v14, 6, v11 :: v_dual_add_nc_u32 v2, v2, v8
                                        ; implicit-def: $vgpr8_vgpr9
	v_cmpx_ne_u32_e32 0, v14
	s_xor_b32 s14, exec_lo, s14
; %bb.2878:                             ;   in Loop: Header=BB2_2392 Depth=3
	s_delay_alu instid0(VALU_DEP_2) | instskip(SKIP_1) | instid1(VALU_DEP_1)
	v_cmp_lt_u64_e32 vcc_lo, 0xffffff, v[2:3]
	v_add_nc_u32_e32 v8, 7, v11
	v_cndmask_b32_e32 v10, v14, v8, vcc_lo
	v_cndmask_b32_e64 v8, 0, 1, vcc_lo
	s_delay_alu instid0(VALU_DEP_1)
	v_lshrrev_b64 v[8:9], v8, v[2:3]
; %bb.2879:                             ;   in Loop: Header=BB2_2392 Depth=3
	s_and_not1_saveexec_b32 s14, s14
; %bb.2880:                             ;   in Loop: Header=BB2_2392 Depth=3
	v_mov_b64_e32 v[8:9], v[2:3]
	v_bfe_u32 v10, v2, 23, 1
; %bb.2881:                             ;   in Loop: Header=BB2_2392 Depth=3
	s_or_b32 exec_lo, exec_lo, s14
	s_delay_alu instid0(VALU_DEP_2) | instskip(NEXT) | instid1(VALU_DEP_2)
	v_lshrrev_b64 v[8:9], 20, v[8:9]
	v_cmp_gt_i32_e32 vcc_lo, 16, v10
	v_min_i32_e32 v2, 15, v10
	v_cmp_eq_u32_e64 s14, 0, v10
	s_delay_alu instid0(VALU_DEP_2) | instskip(SKIP_1) | instid1(VALU_DEP_2)
	v_dual_cndmask_b32 v9, 0, v9 :: v_dual_lshlrev_b32 v2, 3, v2
	v_cndmask_b32_e32 v8, 7, v8, vcc_lo
	v_and_b32_e32 v2, 0xf8, v2
	s_delay_alu instid0(VALU_DEP_2) | instskip(NEXT) | instid1(VALU_DEP_2)
	v_cmp_eq_u64_e32 vcc_lo, 0, v[8:9]
	v_and_or_b32 v2, v8, 7, v2
	s_and_b32 s14, s14, vcc_lo
	s_delay_alu instid0(VALU_DEP_1) | instid1(SALU_CYCLE_1)
	v_cndmask_b32_e64 v2, v2, 0, s14
	s_delay_alu instid0(VALU_DEP_1)
	v_or_b32_e32 v2, v2, v13
.LBB2_2882:                             ;   in Loop: Header=BB2_2392 Depth=3
	s_or_b32 exec_lo, exec_lo, s45
                                        ; implicit-def: $vgpr13
.LBB2_2883:                             ;   in Loop: Header=BB2_2392 Depth=3
	s_and_not1_saveexec_b32 s14, s44
; %bb.2884:                             ;   in Loop: Header=BB2_2392 Depth=3
	v_or_b32_e32 v2, 0x7e, v13
; %bb.2885:                             ;   in Loop: Header=BB2_2392 Depth=3
	s_or_b32 exec_lo, exec_lo, s14
                                        ; implicit-def: $vgpr9
.LBB2_2886:                             ;   in Loop: Header=BB2_2392 Depth=3
	s_and_not1_saveexec_b32 s14, s15
; %bb.2887:                             ;   in Loop: Header=BB2_2392 Depth=3
	v_or_b32_e32 v2, 0x7f, v9
; %bb.2888:                             ;   in Loop: Header=BB2_2392 Depth=3
	s_or_b32 exec_lo, exec_lo, s14
	v_lshl_or_b32 v8, v73, 8, v72
	v_dual_lshlrev_b32 v9, 16, v62 :: v_dual_lshlrev_b32 v10, 24, v63
	v_lshl_or_b32 v11, v106, 8, v105
	v_dual_lshlrev_b32 v13, 16, v107 :: v_dual_lshlrev_b32 v14, 24, v108
	;; [unrolled: 2-line block ×3, first 2 shown]
	v_dual_lshlrev_b32 v2, 24, v2 :: v_dual_lshlrev_b32 v12, 16, v12
	v_lshl_or_b32 v60, v61, 8, v60
	v_or3_b32 v9, v8, v9, v10
	v_or3_b32 v8, v11, v13, v14
	v_or3_b32 v10, v15, v18, v19
	s_mov_b64 s[44:45], 0
	v_or3_b32 v11, v60, v12, v2
	s_mov_b32 s77, -1
.LBB2_2889:                             ;   Parent Loop BB2_47 Depth=1
                                        ;     Parent Loop BB2_1811 Depth=2
                                        ;       Parent Loop BB2_2392 Depth=3
                                        ; =>      This Inner Loop Header: Depth=4
	s_cmp_eq_u32 s44, 1
	s_cselect_b32 vcc_lo, -1, 0
	s_cmp_eq_u32 s44, 0
	s_wait_xcnt 0x0
	v_dual_cndmask_b32 v13, v45, v47 :: v_dual_cndmask_b32 v12, v44, v46
	s_cselect_b32 s14, -1, 0
	s_and_b32 s15, exec_lo, s77
	s_mov_b64 s[44:45], 1
	s_mov_b32 s77, 0
	v_add_nc_u64_e32 v[14:15], 0x200, v[12:13]
	global_store_b128 v[12:13], v[8:11], off th:TH_STORE_NT
	v_dual_cndmask_b32 v47, v47, v15 :: v_dual_cndmask_b32 v46, v46, v14
	v_dual_cndmask_b32 v45, v45, v15, s14 :: v_dual_cndmask_b32 v44, v44, v14, s14
	s_mov_b32 vcc_lo, s15
	s_cbranch_vccnz .LBB2_2889
; %bb.2890:                             ;   in Loop: Header=BB2_2392 Depth=3
	v_dual_sub_nc_u32 v104, v104, v66 :: v_dual_sub_nc_u32 v95, v95, v36
	v_add_nc_u64_e32 v[56:57], v[56:57], v[84:85]
	v_add_nc_u64_e32 v[58:59], v[58:59], v[84:85]
	;; [unrolled: 1-line block ×3, first 2 shown]
	s_delay_alu instid0(VALU_DEP_4)
	v_cmp_gt_i32_e32 vcc_lo, 16, v104
	v_add_nc_u64_e32 v[46:47], v[46:47], v[80:81]
	s_or_b32 s76, vcc_lo, s76
	s_wait_xcnt 0x0
	s_and_not1_b32 exec_lo, exec_lo, s76
	s_cbranch_execnz .LBB2_2392
; %bb.2891:                             ;   in Loop: Header=BB2_1811 Depth=2
	s_or_b32 exec_lo, exec_lo, s76
.LBB2_2892:                             ;   in Loop: Header=BB2_1811 Depth=2
	s_delay_alu instid0(SALU_CYCLE_1) | instskip(SKIP_3) | instid1(VALU_DEP_1)
	s_or_b32 exec_lo, exec_lo, s75
	v_dual_mov_b32 v46, 0 :: v_dual_bitop2_b32 v8, 15, v115 bitop3:0x40
	s_mov_b32 s14, 0
	s_mov_b32 s15, exec_lo
                                        ; implicit-def: $vgpr56
                                        ; implicit-def: $vgpr2
	v_cndmask_b32_e64 v47, v92, v8, s13
	s_delay_alu instid0(VALU_DEP_1)
	v_cmpx_ne_u32_e32 0, v47
	s_cbranch_execz .LBB2_2894
; %bb.2893:                             ;   in Loop: Header=BB2_1811 Depth=2
	v_cmp_lt_i32_e32 vcc_lo, 0, v95
	s_mov_b32 s14, exec_lo
	v_sub_nc_u32_e32 v8, v92, v8
	v_cndmask_b32_e32 v2, 0, v36, vcc_lo
	s_delay_alu instid0(VALU_DEP_1) | instskip(NEXT) | instid1(VALU_DEP_1)
	v_dual_cndmask_b32 v8, 0, v8, s13 :: v_dual_sub_nc_u32 v2, v2, v95
	v_add3_u32 v46, v93, v91, v8
	s_delay_alu instid0(VALU_DEP_2) | instskip(NEXT) | instid1(VALU_DEP_1)
	v_lshl_add_u32 v56, v2, 5, v94
	v_ashrrev_i32_e32 v2, 31, v56
	s_delay_alu instid0(VALU_DEP_1) | instskip(NEXT) | instid1(VALU_DEP_1)
	v_lshrrev_b32_e32 v2, 27, v2
	v_add_nc_u32_e32 v2, v56, v2
	s_delay_alu instid0(VALU_DEP_1)
	v_ashrrev_i32_e32 v2, 5, v2
.LBB2_2894:                             ;   in Loop: Header=BB2_1811 Depth=2
	s_or_b32 exec_lo, exec_lo, s15
	s_delay_alu instid0(SALU_CYCLE_1)
	s_and_b32 s14, s14, exec_lo
.LBB2_2895:                             ;   in Loop: Header=BB2_1811 Depth=2
	s_or_b32 exec_lo, exec_lo, s74
	s_and_saveexec_b32 s15, s14
	s_cbranch_execz .LBB2_3230
.LBB2_2896:                             ;   in Loop: Header=BB2_1811 Depth=2
	v_ashrrev_i32_e32 v8, 31, v47
	s_mov_b32 s14, exec_lo
	s_delay_alu instid0(VALU_DEP_1) | instskip(NEXT) | instid1(VALU_DEP_1)
	v_lshrrev_b32_e32 v8, 24, v8
	v_add_nc_u32_e32 v8, v47, v8
	s_delay_alu instid0(VALU_DEP_1) | instskip(SKIP_1) | instid1(VALU_DEP_1)
	v_ashrrev_i32_e32 v58, 8, v8
	v_ashrrev_i32_e32 v8, 31, v56
	v_dual_lshrrev_b32 v57, 27, v8 :: v_dual_sub_nc_u32 v115, v58, v2
	s_delay_alu instid0(VALU_DEP_1)
	v_cmpx_lt_i32_e32 0, v115
	s_cbranch_execz .LBB2_3188
; %bb.2897:                             ;   in Loop: Header=BB2_1811 Depth=2
	s_delay_alu instid0(VALU_DEP_2) | instskip(SKIP_4) | instid1(VALU_DEP_1)
	v_dual_add_nc_u32 v8, v56, v57 :: v_dual_lshlrev_b32 v2, 8, v2
	s_trap 2
	ds_load_b64 v[14:15], v0
	s_mov_b32 s44, 0
	v_and_b32_e32 v8, 0xffffffe0, v8
	v_sub_nc_u32_e32 v8, v56, v8
	s_delay_alu instid0(VALU_DEP_1) | instskip(NEXT) | instid1(VALU_DEP_1)
	v_add3_u32 v18, v46, v8, v2
	v_ashrrev_i32_e32 v19, 31, v18
	s_delay_alu instid0(VALU_DEP_1)
	v_add_nc_u64_e32 v[8:9], v[18:19], v[40:41]
	v_add_nc_u64_e32 v[10:11], v[18:19], v[42:43]
	;; [unrolled: 1-line block ×3, first 2 shown]
	s_wait_dscnt 0x0
	v_add_nc_u64_e32 v[14:15], v[14:15], v[18:19]
	s_branch .LBB2_2899
.LBB2_2898:                             ;   in Loop: Header=BB2_2899 Depth=3
	s_or_b32 exec_lo, exec_lo, s13
	v_sub_nc_u32_e32 v115, v115, v36
	s_clause 0x7
	flat_store_b8 v[8:9], v60 th:TH_STORE_NT
	flat_store_b8 v[8:9], v63 offset:32 th:TH_STORE_NT
	flat_store_b8 v[8:9], v91 offset:64 th:TH_STORE_NT
	;; [unrolled: 1-line block ×7, first 2 shown]
	s_clause 0x7
	flat_store_b8 v[10:11], v60 th:TH_STORE_NT
	flat_store_b8 v[10:11], v63 offset:32 th:TH_STORE_NT
	flat_store_b8 v[10:11], v91 offset:64 th:TH_STORE_NT
	;; [unrolled: 1-line block ×7, first 2 shown]
	v_add_nc_u64_e32 v[12:13], v[12:13], v[68:69]
	v_add_nc_u64_e32 v[14:15], v[14:15], v[68:69]
	s_wait_xcnt 0x8
	v_add_nc_u64_e32 v[8:9], v[8:9], v[68:69]
	v_cmp_gt_i32_e32 vcc_lo, 1, v115
	s_wait_xcnt 0x0
	v_add_nc_u64_e32 v[10:11], v[10:11], v[68:69]
	s_or_b32 s44, vcc_lo, s44
	s_delay_alu instid0(SALU_CYCLE_1)
	s_and_not1_b32 exec_lo, exec_lo, s44
	s_cbranch_execz .LBB2_3187
.LBB2_2899:                             ;   Parent Loop BB2_47 Depth=1
                                        ;     Parent Loop BB2_1811 Depth=2
                                        ; =>    This Inner Loop Header: Depth=3
	s_clause 0x7
	flat_load_u8 v45, v[12:13] th:TH_LOAD_NT
	flat_load_u8 v106, v[12:13] offset:32 th:TH_LOAD_NT
	flat_load_u8 v105, v[12:13] offset:64 th:TH_LOAD_NT
	;; [unrolled: 1-line block ×7, first 2 shown]
	s_clause 0x7
	flat_load_u8 v42, v[14:15] th:TH_LOAD_NT
	flat_load_u8 v63, v[14:15] offset:32 th:TH_LOAD_NT
	flat_load_u8 v91, v[14:15] offset:64 th:TH_LOAD_NT
	;; [unrolled: 1-line block ×7, first 2 shown]
	v_dual_mov_b32 v43, 0 :: v_dual_mov_b32 v44, 0
	s_mov_b32 s13, exec_lo
	s_wait_loadcnt_dscnt 0xf0f
	s_wait_xcnt 0x0
	v_cmpx_ne_u16_e32 0, v45
	s_cbranch_execz .LBB2_2907
; %bb.2900:                             ;   in Loop: Header=BB2_2899 Depth=3
	v_bfrev_b32_e32 v44, 1
	s_mov_b32 s45, exec_lo
	v_cmpx_ne_u16_e32 0x80, v45
	s_cbranch_execz .LBB2_2906
; %bb.2901:                             ;   in Loop: Header=BB2_2899 Depth=3
	v_and_b32_e32 v2, 0xffff, v45
	v_mov_b32_e32 v44, 0x7f800001
	s_mov_b32 s74, exec_lo
	s_delay_alu instid0(VALU_DEP_2) | instskip(NEXT) | instid1(VALU_DEP_1)
	v_and_b32_e32 v60, 0x7f, v2
	v_cmpx_ne_u32_e32 0x7f, v60
	s_cbranch_execz .LBB2_2905
; %bb.2902:                             ;   in Loop: Header=BB2_2899 Depth=3
	v_dual_lshrrev_b32 v44, 3, v60 :: v_dual_bitop2_b32 v2, 7, v2 bitop3:0x40
	s_mov_b32 s75, exec_lo
	v_cmpx_gt_u32_e32 8, v60
; %bb.2903:                             ;   in Loop: Header=BB2_2899 Depth=3
	s_delay_alu instid0(VALU_DEP_2) | instskip(NEXT) | instid1(VALU_DEP_1)
	v_clz_i32_u32_e32 v18, v2
	v_min_u32_e32 v44, 32, v18
	s_delay_alu instid0(VALU_DEP_1) | instskip(NEXT) | instid1(VALU_DEP_1)
	v_subrev_nc_u32_e32 v18, 28, v44
	v_lshlrev_b64_e32 v[18:19], v18, v[2:3]
	s_delay_alu instid0(VALU_DEP_1)
	v_dual_sub_nc_u32 v44, 29, v44 :: v_dual_bitop2_b32 v2, 7, v18 bitop3:0x40
; %bb.2904:                             ;   in Loop: Header=BB2_2899 Depth=3
	s_or_b32 exec_lo, exec_lo, s75
	s_delay_alu instid0(VALU_DEP_1) | instskip(NEXT) | instid1(VALU_DEP_2)
	v_dual_lshlrev_b32 v18, 24, v45 :: v_dual_lshlrev_b32 v2, 20, v2
	v_lshl_add_u32 v19, v44, 23, 0x3c000000
	s_delay_alu instid0(VALU_DEP_2) | instskip(NEXT) | instid1(VALU_DEP_1)
	v_and_b32_e32 v18, 0x80000000, v18
	v_or3_b32 v44, v2, v18, v19
.LBB2_2905:                             ;   in Loop: Header=BB2_2899 Depth=3
	s_or_b32 exec_lo, exec_lo, s74
.LBB2_2906:                             ;   in Loop: Header=BB2_2899 Depth=3
	s_delay_alu instid0(SALU_CYCLE_1)
	s_or_b32 exec_lo, exec_lo, s45
.LBB2_2907:                             ;   in Loop: Header=BB2_2899 Depth=3
	s_delay_alu instid0(SALU_CYCLE_1) | instskip(SKIP_3) | instid1(VALU_DEP_1)
	s_or_b32 exec_lo, exec_lo, s13
	s_wait_loadcnt_dscnt 0x707
	v_and_b32_e32 v2, 0xff, v42
	s_mov_b32 s13, exec_lo
	v_cmpx_ne_u16_e32 0, v2
	s_cbranch_execz .LBB2_2915
; %bb.2908:                             ;   in Loop: Header=BB2_2899 Depth=3
	v_bfrev_b32_e32 v43, 1
	s_mov_b32 s45, exec_lo
	v_cmpx_ne_u16_e32 0x80, v2
	s_cbranch_execz .LBB2_2914
; %bb.2909:                             ;   in Loop: Header=BB2_2899 Depth=3
	v_and_b32_e32 v45, 0x7f, v42
	v_mov_b32_e32 v43, 0x7f800001
	s_mov_b32 s74, exec_lo
	s_delay_alu instid0(VALU_DEP_2)
	v_cmpx_ne_u32_e32 0x7f, v45
	s_cbranch_execz .LBB2_2913
; %bb.2910:                             ;   in Loop: Header=BB2_2899 Depth=3
	v_dual_lshrrev_b32 v43, 3, v45 :: v_dual_bitop2_b32 v2, 7, v2 bitop3:0x40
	s_mov_b32 s75, exec_lo
	v_cmpx_gt_u32_e32 8, v45
; %bb.2911:                             ;   in Loop: Header=BB2_2899 Depth=3
	s_delay_alu instid0(VALU_DEP_2) | instskip(NEXT) | instid1(VALU_DEP_1)
	v_clz_i32_u32_e32 v18, v2
	v_min_u32_e32 v43, 32, v18
	s_delay_alu instid0(VALU_DEP_1) | instskip(NEXT) | instid1(VALU_DEP_1)
	v_subrev_nc_u32_e32 v18, 28, v43
	v_lshlrev_b64_e32 v[18:19], v18, v[2:3]
	s_delay_alu instid0(VALU_DEP_1)
	v_dual_sub_nc_u32 v43, 29, v43 :: v_dual_bitop2_b32 v2, 7, v18 bitop3:0x40
; %bb.2912:                             ;   in Loop: Header=BB2_2899 Depth=3
	s_or_b32 exec_lo, exec_lo, s75
	v_lshlrev_b32_e32 v18, 24, v42
	s_delay_alu instid0(VALU_DEP_2) | instskip(NEXT) | instid1(VALU_DEP_3)
	v_lshlrev_b32_e32 v2, 20, v2
	v_lshl_add_u32 v19, v43, 23, 0x3c000000
	s_delay_alu instid0(VALU_DEP_3) | instskip(NEXT) | instid1(VALU_DEP_1)
	v_and_b32_e32 v18, 0x80000000, v18
	v_or3_b32 v43, v2, v18, v19
.LBB2_2913:                             ;   in Loop: Header=BB2_2899 Depth=3
	s_or_b32 exec_lo, exec_lo, s74
.LBB2_2914:                             ;   in Loop: Header=BB2_2899 Depth=3
	s_delay_alu instid0(SALU_CYCLE_1)
	s_or_b32 exec_lo, exec_lo, s45
.LBB2_2915:                             ;   in Loop: Header=BB2_2899 Depth=3
	s_delay_alu instid0(SALU_CYCLE_1) | instskip(NEXT) | instid1(VALU_DEP_1)
	s_or_b32 exec_lo, exec_lo, s13
	v_add_f32_e32 v42, v44, v43
                                        ; implicit-def: $vgpr60
	s_mov_b32 s13, exec_lo
	s_delay_alu instid0(VALU_DEP_1) | instskip(SKIP_1) | instid1(VALU_DEP_2)
	v_and_b32_e32 v2, 0x7f800000, v42
	v_lshrrev_b32_e32 v43, 24, v42
	v_cmpx_ne_u64_e32 0x7f800000, v[2:3]
	s_xor_b32 s45, exec_lo, s13
	s_cbranch_execz .LBB2_2933
; %bb.2916:                             ;   in Loop: Header=BB2_2899 Depth=3
	v_and_b32_e32 v2, 0x7fffffff, v42
	v_and_b32_e32 v107, 0x80, v43
                                        ; implicit-def: $vgpr60
	s_mov_b32 s13, exec_lo
	s_delay_alu instid0(VALU_DEP_2)
	v_cmpx_gt_u64_e32 0x43e00001, v[2:3]
	s_xor_b32 s74, exec_lo, s13
	s_cbranch_execz .LBB2_2930
; %bb.2917:                             ;   in Loop: Header=BB2_2899 Depth=3
	v_mov_b32_e32 v60, 0
	s_mov_b32 s75, exec_lo
	v_cmpx_ne_u32_e32 0, v42
	s_cbranch_execz .LBB2_2929
; %bb.2918:                             ;   in Loop: Header=BB2_2899 Depth=3
	v_bfe_u32 v60, v42, 23, 8
	s_delay_alu instid0(VALU_DEP_1) | instskip(SKIP_1) | instid1(VALU_DEP_2)
	v_sub_nc_u32_e32 v2, 0x79, v60
	v_cmp_gt_u32_e32 vcc_lo, 0x7a, v60
	v_cndmask_b32_e32 v2, 0, v2, vcc_lo
	v_cmp_eq_u32_e32 vcc_lo, 0, v60
	s_delay_alu instid0(VALU_DEP_2) | instskip(SKIP_1) | instid1(VALU_DEP_2)
	v_cndmask_b32_e64 v108, v2, 0x78, vcc_lo
	v_and_b32_e32 v2, 0x7fffff, v42
	v_add_nc_u32_e32 v18, 20, v108
	s_delay_alu instid0(VALU_DEP_2) | instskip(SKIP_1) | instid1(VALU_DEP_3)
	v_or_b32_e32 v42, 0x800000, v2
	v_add_nc_u32_e32 v43, 19, v108
	v_lshlrev_b64_e64 v[18:19], v18, -1
	s_delay_alu instid0(VALU_DEP_3) | instskip(NEXT) | instid1(VALU_DEP_3)
	v_cndmask_b32_e32 v2, v42, v2, vcc_lo
	v_lshlrev_b64_e64 v[44:45], v43, 1
	s_delay_alu instid0(VALU_DEP_2) | instskip(NEXT) | instid1(VALU_DEP_4)
	v_lshrrev_b64 v[42:43], v108, v[2:3]
	v_bfi_b32 v19, v19, 0, 0
	v_bfi_b32 v18, v18, 0, v2
	s_delay_alu instid0(VALU_DEP_1) | instskip(NEXT) | instid1(VALU_DEP_4)
	v_cmp_eq_u64_e64 s13, v[18:19], v[44:45]
	v_mov_b64_e32 v[44:45], v[42:43]
	s_and_saveexec_b32 s76, s13
; %bb.2919:                             ;   in Loop: Header=BB2_2899 Depth=3
	v_bfe_u32 v2, v42, 20, 1
	s_delay_alu instid0(VALU_DEP_1) | instskip(NEXT) | instid1(VALU_DEP_1)
	v_add_nc_u64_e32 v[18:19], v[42:43], v[2:3]
	v_add_nc_u64_e32 v[44:45], -1, v[18:19]
; %bb.2920:                             ;   in Loop: Header=BB2_2899 Depth=3
	s_or_b32 exec_lo, exec_lo, s76
	v_add_nc_u32_e32 v2, 0xffffff81, v60
	v_lshrrev_b32_e32 v18, 23, v42
	s_mov_b32 s13, exec_lo
	s_delay_alu instid0(VALU_DEP_2) | instskip(NEXT) | instid1(VALU_DEP_1)
	v_cndmask_b32_e64 v2, v2, 0xffffff82, vcc_lo
	v_add3_u32 v45, v108, v2, v18
	v_and_b32_e32 v2, 0xfffff, v44
                                        ; implicit-def: $vgpr44
	s_delay_alu instid0(VALU_DEP_1) | instskip(NEXT) | instid1(VALU_DEP_1)
	v_dual_add_nc_u32 v60, 6, v45 :: v_dual_add_nc_u32 v2, v2, v42
                                        ; implicit-def: $vgpr42_vgpr43
	v_cmpx_ne_u32_e32 0, v60
	s_xor_b32 s13, exec_lo, s13
; %bb.2921:                             ;   in Loop: Header=BB2_2899 Depth=3
	s_delay_alu instid0(VALU_DEP_2) | instskip(SKIP_1) | instid1(VALU_DEP_1)
	v_cmp_lt_u64_e32 vcc_lo, 0xffffff, v[2:3]
	v_add_nc_u32_e32 v18, 7, v45
	v_cndmask_b32_e32 v44, v60, v18, vcc_lo
	v_cndmask_b32_e64 v18, 0, 1, vcc_lo
	s_delay_alu instid0(VALU_DEP_1)
	v_lshrrev_b64 v[42:43], v18, v[2:3]
; %bb.2922:                             ;   in Loop: Header=BB2_2899 Depth=3
	s_and_not1_saveexec_b32 s13, s13
; %bb.2923:                             ;   in Loop: Header=BB2_2899 Depth=3
	v_mov_b64_e32 v[42:43], v[2:3]
	v_bfe_u32 v44, v2, 23, 1
; %bb.2924:                             ;   in Loop: Header=BB2_2899 Depth=3
	s_or_b32 exec_lo, exec_lo, s13
	s_delay_alu instid0(VALU_DEP_2) | instskip(NEXT) | instid1(VALU_DEP_2)
	v_lshrrev_b64 v[18:19], 20, v[42:43]
	v_cmp_gt_i32_e32 vcc_lo, 16, v44
	v_cmp_ne_u32_e64 s13, 0, v44
                                        ; implicit-def: $vgpr60
	s_delay_alu instid0(VALU_DEP_3) | instskip(NEXT) | instid1(VALU_DEP_1)
	v_dual_cndmask_b32 v43, 0, v19 :: v_dual_cndmask_b32 v42, 7, v18
	v_cmp_ne_u64_e32 vcc_lo, 0, v[42:43]
	s_or_b32 s13, s13, vcc_lo
	s_delay_alu instid0(SALU_CYCLE_1) | instskip(NEXT) | instid1(SALU_CYCLE_1)
	s_and_saveexec_b32 s76, s13
	s_xor_b32 s13, exec_lo, s76
; %bb.2925:                             ;   in Loop: Header=BB2_2899 Depth=3
	v_min_i32_e32 v2, 15, v44
	s_delay_alu instid0(VALU_DEP_1) | instskip(NEXT) | instid1(VALU_DEP_1)
	v_lshl_or_b32 v2, v2, 3, v107
                                        ; implicit-def: $vgpr107
	v_and_or_b32 v60, v42, 7, v2
; %bb.2926:                             ;   in Loop: Header=BB2_2899 Depth=3
	s_and_not1_saveexec_b32 s13, s13
; %bb.2927:                             ;   in Loop: Header=BB2_2899 Depth=3
	v_mov_b32_e32 v60, v107
; %bb.2928:                             ;   in Loop: Header=BB2_2899 Depth=3
	s_or_b32 exec_lo, exec_lo, s13
.LBB2_2929:                             ;   in Loop: Header=BB2_2899 Depth=3
	s_delay_alu instid0(SALU_CYCLE_1)
	s_or_b32 exec_lo, exec_lo, s75
                                        ; implicit-def: $vgpr107
.LBB2_2930:                             ;   in Loop: Header=BB2_2899 Depth=3
	s_and_not1_saveexec_b32 s13, s74
; %bb.2931:                             ;   in Loop: Header=BB2_2899 Depth=3
	v_or_b32_e32 v60, 0x7e, v107
; %bb.2932:                             ;   in Loop: Header=BB2_2899 Depth=3
	s_or_b32 exec_lo, exec_lo, s13
                                        ; implicit-def: $vgpr43
.LBB2_2933:                             ;   in Loop: Header=BB2_2899 Depth=3
	s_and_not1_saveexec_b32 s13, s45
; %bb.2934:                             ;   in Loop: Header=BB2_2899 Depth=3
	v_or_b32_e32 v60, 0x7f, v43
; %bb.2935:                             ;   in Loop: Header=BB2_2899 Depth=3
	s_or_b32 exec_lo, exec_lo, s13
	v_and_b32_e32 v2, 0xff, v106
	v_dual_mov_b32 v42, 0 :: v_dual_mov_b32 v43, 0
	s_mov_b32 s13, exec_lo
	s_delay_alu instid0(VALU_DEP_2)
	v_cmpx_ne_u16_e32 0, v2
	s_cbranch_execz .LBB2_2943
; %bb.2936:                             ;   in Loop: Header=BB2_2899 Depth=3
	v_bfrev_b32_e32 v43, 1
	s_mov_b32 s45, exec_lo
	v_cmpx_ne_u16_e32 0x80, v2
	s_cbranch_execz .LBB2_2942
; %bb.2937:                             ;   in Loop: Header=BB2_2899 Depth=3
	v_and_b32_e32 v44, 0x7f, v106
	v_mov_b32_e32 v43, 0x7f800001
	s_mov_b32 s74, exec_lo
	s_delay_alu instid0(VALU_DEP_2)
	v_cmpx_ne_u32_e32 0x7f, v44
	s_cbranch_execz .LBB2_2941
; %bb.2938:                             ;   in Loop: Header=BB2_2899 Depth=3
	v_dual_lshrrev_b32 v43, 3, v44 :: v_dual_bitop2_b32 v2, 7, v2 bitop3:0x40
	s_mov_b32 s75, exec_lo
	v_cmpx_gt_u32_e32 8, v44
; %bb.2939:                             ;   in Loop: Header=BB2_2899 Depth=3
	s_delay_alu instid0(VALU_DEP_2) | instskip(NEXT) | instid1(VALU_DEP_1)
	v_clz_i32_u32_e32 v18, v2
	v_min_u32_e32 v43, 32, v18
	s_delay_alu instid0(VALU_DEP_1) | instskip(NEXT) | instid1(VALU_DEP_1)
	v_subrev_nc_u32_e32 v18, 28, v43
	v_lshlrev_b64_e32 v[18:19], v18, v[2:3]
	s_delay_alu instid0(VALU_DEP_1)
	v_dual_sub_nc_u32 v43, 29, v43 :: v_dual_bitop2_b32 v2, 7, v18 bitop3:0x40
; %bb.2940:                             ;   in Loop: Header=BB2_2899 Depth=3
	s_or_b32 exec_lo, exec_lo, s75
	v_lshlrev_b32_e32 v18, 24, v106
	s_delay_alu instid0(VALU_DEP_2) | instskip(NEXT) | instid1(VALU_DEP_3)
	v_lshlrev_b32_e32 v2, 20, v2
	v_lshl_add_u32 v19, v43, 23, 0x3c000000
	s_delay_alu instid0(VALU_DEP_3) | instskip(NEXT) | instid1(VALU_DEP_1)
	v_and_b32_e32 v18, 0x80000000, v18
	v_or3_b32 v43, v2, v18, v19
.LBB2_2941:                             ;   in Loop: Header=BB2_2899 Depth=3
	s_or_b32 exec_lo, exec_lo, s74
.LBB2_2942:                             ;   in Loop: Header=BB2_2899 Depth=3
	s_delay_alu instid0(SALU_CYCLE_1)
	s_or_b32 exec_lo, exec_lo, s45
.LBB2_2943:                             ;   in Loop: Header=BB2_2899 Depth=3
	s_delay_alu instid0(SALU_CYCLE_1) | instskip(SKIP_3) | instid1(VALU_DEP_1)
	s_or_b32 exec_lo, exec_lo, s13
	s_wait_loadcnt_dscnt 0x606
	v_and_b32_e32 v2, 0xff, v63
	s_mov_b32 s13, exec_lo
	v_cmpx_ne_u16_e32 0, v2
	s_cbranch_execz .LBB2_2951
; %bb.2944:                             ;   in Loop: Header=BB2_2899 Depth=3
	v_bfrev_b32_e32 v42, 1
	s_mov_b32 s45, exec_lo
	v_cmpx_ne_u16_e32 0x80, v2
	s_cbranch_execz .LBB2_2950
; %bb.2945:                             ;   in Loop: Header=BB2_2899 Depth=3
	v_and_b32_e32 v44, 0x7f, v63
	v_mov_b32_e32 v42, 0x7f800001
	s_mov_b32 s74, exec_lo
	s_delay_alu instid0(VALU_DEP_2)
	v_cmpx_ne_u32_e32 0x7f, v44
	s_cbranch_execz .LBB2_2949
; %bb.2946:                             ;   in Loop: Header=BB2_2899 Depth=3
	v_dual_lshrrev_b32 v42, 3, v44 :: v_dual_bitop2_b32 v2, 7, v2 bitop3:0x40
	s_mov_b32 s75, exec_lo
	v_cmpx_gt_u32_e32 8, v44
; %bb.2947:                             ;   in Loop: Header=BB2_2899 Depth=3
	s_delay_alu instid0(VALU_DEP_2) | instskip(NEXT) | instid1(VALU_DEP_1)
	v_clz_i32_u32_e32 v18, v2
	v_min_u32_e32 v42, 32, v18
	s_delay_alu instid0(VALU_DEP_1) | instskip(SKIP_1) | instid1(VALU_DEP_2)
	v_subrev_nc_u32_e32 v18, 28, v42
	v_sub_nc_u32_e32 v42, 29, v42
	v_lshlrev_b64_e32 v[18:19], v18, v[2:3]
	s_delay_alu instid0(VALU_DEP_1)
	v_and_b32_e32 v2, 7, v18
; %bb.2948:                             ;   in Loop: Header=BB2_2899 Depth=3
	s_or_b32 exec_lo, exec_lo, s75
	s_delay_alu instid0(VALU_DEP_1) | instskip(SKIP_1) | instid1(VALU_DEP_2)
	v_dual_lshlrev_b32 v18, 24, v63 :: v_dual_lshlrev_b32 v2, 20, v2
	v_lshl_add_u32 v19, v42, 23, 0x3c000000
	v_and_b32_e32 v18, 0x80000000, v18
	s_delay_alu instid0(VALU_DEP_1)
	v_or3_b32 v42, v2, v18, v19
.LBB2_2949:                             ;   in Loop: Header=BB2_2899 Depth=3
	s_or_b32 exec_lo, exec_lo, s74
.LBB2_2950:                             ;   in Loop: Header=BB2_2899 Depth=3
	s_delay_alu instid0(SALU_CYCLE_1)
	s_or_b32 exec_lo, exec_lo, s45
.LBB2_2951:                             ;   in Loop: Header=BB2_2899 Depth=3
	s_delay_alu instid0(SALU_CYCLE_1) | instskip(NEXT) | instid1(VALU_DEP_1)
	s_or_b32 exec_lo, exec_lo, s13
	v_add_f32_e32 v42, v43, v42
                                        ; implicit-def: $vgpr63
	s_mov_b32 s13, exec_lo
	s_delay_alu instid0(VALU_DEP_1) | instskip(SKIP_1) | instid1(VALU_DEP_2)
	v_and_b32_e32 v2, 0x7f800000, v42
	v_lshrrev_b32_e32 v43, 24, v42
	v_cmpx_ne_u64_e32 0x7f800000, v[2:3]
	s_xor_b32 s45, exec_lo, s13
	s_cbranch_execz .LBB2_2969
; %bb.2952:                             ;   in Loop: Header=BB2_2899 Depth=3
	v_and_b32_e32 v2, 0x7fffffff, v42
	v_and_b32_e32 v106, 0x80, v43
                                        ; implicit-def: $vgpr63
	s_mov_b32 s13, exec_lo
	s_delay_alu instid0(VALU_DEP_2)
	v_cmpx_gt_u64_e32 0x43e00001, v[2:3]
	s_xor_b32 s74, exec_lo, s13
	s_cbranch_execz .LBB2_2966
; %bb.2953:                             ;   in Loop: Header=BB2_2899 Depth=3
	v_mov_b32_e32 v63, 0
	s_mov_b32 s75, exec_lo
	v_cmpx_ne_u32_e32 0, v42
	s_cbranch_execz .LBB2_2965
; %bb.2954:                             ;   in Loop: Header=BB2_2899 Depth=3
	v_bfe_u32 v63, v42, 23, 8
	s_delay_alu instid0(VALU_DEP_1) | instskip(SKIP_1) | instid1(VALU_DEP_2)
	v_sub_nc_u32_e32 v2, 0x79, v63
	v_cmp_gt_u32_e32 vcc_lo, 0x7a, v63
	v_cndmask_b32_e32 v2, 0, v2, vcc_lo
	v_cmp_eq_u32_e32 vcc_lo, 0, v63
	s_delay_alu instid0(VALU_DEP_2) | instskip(SKIP_1) | instid1(VALU_DEP_2)
	v_cndmask_b32_e64 v107, v2, 0x78, vcc_lo
	v_and_b32_e32 v2, 0x7fffff, v42
	v_add_nc_u32_e32 v18, 20, v107
	s_delay_alu instid0(VALU_DEP_2) | instskip(SKIP_1) | instid1(VALU_DEP_3)
	v_or_b32_e32 v42, 0x800000, v2
	v_add_nc_u32_e32 v43, 19, v107
	v_lshlrev_b64_e64 v[18:19], v18, -1
	s_delay_alu instid0(VALU_DEP_3) | instskip(NEXT) | instid1(VALU_DEP_3)
	v_cndmask_b32_e32 v2, v42, v2, vcc_lo
	v_lshlrev_b64_e64 v[44:45], v43, 1
	s_delay_alu instid0(VALU_DEP_2) | instskip(NEXT) | instid1(VALU_DEP_4)
	v_lshrrev_b64 v[42:43], v107, v[2:3]
	v_bfi_b32 v19, v19, 0, 0
	v_bfi_b32 v18, v18, 0, v2
	s_delay_alu instid0(VALU_DEP_1) | instskip(NEXT) | instid1(VALU_DEP_4)
	v_cmp_eq_u64_e64 s13, v[18:19], v[44:45]
	v_mov_b64_e32 v[44:45], v[42:43]
	s_and_saveexec_b32 s76, s13
; %bb.2955:                             ;   in Loop: Header=BB2_2899 Depth=3
	v_bfe_u32 v2, v42, 20, 1
	s_delay_alu instid0(VALU_DEP_1) | instskip(NEXT) | instid1(VALU_DEP_1)
	v_add_nc_u64_e32 v[18:19], v[42:43], v[2:3]
	v_add_nc_u64_e32 v[44:45], -1, v[18:19]
; %bb.2956:                             ;   in Loop: Header=BB2_2899 Depth=3
	s_or_b32 exec_lo, exec_lo, s76
	v_add_nc_u32_e32 v2, 0xffffff81, v63
	v_lshrrev_b32_e32 v18, 23, v42
	s_mov_b32 s13, exec_lo
	s_delay_alu instid0(VALU_DEP_2) | instskip(NEXT) | instid1(VALU_DEP_1)
	v_cndmask_b32_e64 v2, v2, 0xffffff82, vcc_lo
	v_add3_u32 v45, v107, v2, v18
	v_and_b32_e32 v2, 0xfffff, v44
                                        ; implicit-def: $vgpr44
	s_delay_alu instid0(VALU_DEP_1) | instskip(NEXT) | instid1(VALU_DEP_1)
	v_dual_add_nc_u32 v63, 6, v45 :: v_dual_add_nc_u32 v2, v2, v42
                                        ; implicit-def: $vgpr42_vgpr43
	v_cmpx_ne_u32_e32 0, v63
	s_xor_b32 s13, exec_lo, s13
; %bb.2957:                             ;   in Loop: Header=BB2_2899 Depth=3
	s_delay_alu instid0(VALU_DEP_2) | instskip(SKIP_1) | instid1(VALU_DEP_1)
	v_cmp_lt_u64_e32 vcc_lo, 0xffffff, v[2:3]
	v_add_nc_u32_e32 v18, 7, v45
	v_cndmask_b32_e32 v44, v63, v18, vcc_lo
	v_cndmask_b32_e64 v18, 0, 1, vcc_lo
	s_delay_alu instid0(VALU_DEP_1)
	v_lshrrev_b64 v[42:43], v18, v[2:3]
; %bb.2958:                             ;   in Loop: Header=BB2_2899 Depth=3
	s_and_not1_saveexec_b32 s13, s13
; %bb.2959:                             ;   in Loop: Header=BB2_2899 Depth=3
	v_mov_b64_e32 v[42:43], v[2:3]
	v_bfe_u32 v44, v2, 23, 1
; %bb.2960:                             ;   in Loop: Header=BB2_2899 Depth=3
	s_or_b32 exec_lo, exec_lo, s13
	s_delay_alu instid0(VALU_DEP_2) | instskip(NEXT) | instid1(VALU_DEP_2)
	v_lshrrev_b64 v[18:19], 20, v[42:43]
	v_cmp_gt_i32_e32 vcc_lo, 16, v44
	v_cmp_ne_u32_e64 s13, 0, v44
                                        ; implicit-def: $vgpr63
	s_delay_alu instid0(VALU_DEP_3) | instskip(NEXT) | instid1(VALU_DEP_1)
	v_dual_cndmask_b32 v43, 0, v19 :: v_dual_cndmask_b32 v42, 7, v18
	v_cmp_ne_u64_e32 vcc_lo, 0, v[42:43]
	s_or_b32 s13, s13, vcc_lo
	s_delay_alu instid0(SALU_CYCLE_1) | instskip(NEXT) | instid1(SALU_CYCLE_1)
	s_and_saveexec_b32 s76, s13
	s_xor_b32 s13, exec_lo, s76
; %bb.2961:                             ;   in Loop: Header=BB2_2899 Depth=3
	v_min_i32_e32 v2, 15, v44
	s_delay_alu instid0(VALU_DEP_1) | instskip(NEXT) | instid1(VALU_DEP_1)
	v_lshl_or_b32 v2, v2, 3, v106
                                        ; implicit-def: $vgpr106
	v_and_or_b32 v63, v42, 7, v2
; %bb.2962:                             ;   in Loop: Header=BB2_2899 Depth=3
	s_and_not1_saveexec_b32 s13, s13
; %bb.2963:                             ;   in Loop: Header=BB2_2899 Depth=3
	v_mov_b32_e32 v63, v106
; %bb.2964:                             ;   in Loop: Header=BB2_2899 Depth=3
	s_or_b32 exec_lo, exec_lo, s13
.LBB2_2965:                             ;   in Loop: Header=BB2_2899 Depth=3
	s_delay_alu instid0(SALU_CYCLE_1)
	s_or_b32 exec_lo, exec_lo, s75
                                        ; implicit-def: $vgpr106
.LBB2_2966:                             ;   in Loop: Header=BB2_2899 Depth=3
	s_and_not1_saveexec_b32 s13, s74
; %bb.2967:                             ;   in Loop: Header=BB2_2899 Depth=3
	v_or_b32_e32 v63, 0x7e, v106
; %bb.2968:                             ;   in Loop: Header=BB2_2899 Depth=3
	s_or_b32 exec_lo, exec_lo, s13
                                        ; implicit-def: $vgpr43
.LBB2_2969:                             ;   in Loop: Header=BB2_2899 Depth=3
	s_and_not1_saveexec_b32 s13, s45
; %bb.2970:                             ;   in Loop: Header=BB2_2899 Depth=3
	v_or_b32_e32 v63, 0x7f, v43
; %bb.2971:                             ;   in Loop: Header=BB2_2899 Depth=3
	s_or_b32 exec_lo, exec_lo, s13
	v_and_b32_e32 v2, 0xff, v105
	v_dual_mov_b32 v42, 0 :: v_dual_mov_b32 v43, 0
	s_mov_b32 s13, exec_lo
	s_delay_alu instid0(VALU_DEP_2)
	v_cmpx_ne_u16_e32 0, v2
	s_cbranch_execz .LBB2_2979
; %bb.2972:                             ;   in Loop: Header=BB2_2899 Depth=3
	v_bfrev_b32_e32 v43, 1
	s_mov_b32 s45, exec_lo
	v_cmpx_ne_u16_e32 0x80, v2
	s_cbranch_execz .LBB2_2978
; %bb.2973:                             ;   in Loop: Header=BB2_2899 Depth=3
	v_and_b32_e32 v44, 0x7f, v105
	v_mov_b32_e32 v43, 0x7f800001
	s_mov_b32 s74, exec_lo
	s_delay_alu instid0(VALU_DEP_2)
	v_cmpx_ne_u32_e32 0x7f, v44
	s_cbranch_execz .LBB2_2977
; %bb.2974:                             ;   in Loop: Header=BB2_2899 Depth=3
	v_dual_lshrrev_b32 v43, 3, v44 :: v_dual_bitop2_b32 v2, 7, v2 bitop3:0x40
	s_mov_b32 s75, exec_lo
	v_cmpx_gt_u32_e32 8, v44
; %bb.2975:                             ;   in Loop: Header=BB2_2899 Depth=3
	s_delay_alu instid0(VALU_DEP_2) | instskip(NEXT) | instid1(VALU_DEP_1)
	v_clz_i32_u32_e32 v18, v2
	v_min_u32_e32 v43, 32, v18
	s_delay_alu instid0(VALU_DEP_1) | instskip(NEXT) | instid1(VALU_DEP_1)
	v_subrev_nc_u32_e32 v18, 28, v43
	v_lshlrev_b64_e32 v[18:19], v18, v[2:3]
	s_delay_alu instid0(VALU_DEP_1)
	v_dual_sub_nc_u32 v43, 29, v43 :: v_dual_bitop2_b32 v2, 7, v18 bitop3:0x40
; %bb.2976:                             ;   in Loop: Header=BB2_2899 Depth=3
	s_or_b32 exec_lo, exec_lo, s75
	s_delay_alu instid0(VALU_DEP_1) | instskip(NEXT) | instid1(VALU_DEP_2)
	v_dual_lshlrev_b32 v18, 24, v105 :: v_dual_lshlrev_b32 v2, 20, v2
	v_lshl_add_u32 v19, v43, 23, 0x3c000000
	s_delay_alu instid0(VALU_DEP_2) | instskip(NEXT) | instid1(VALU_DEP_1)
	v_and_b32_e32 v18, 0x80000000, v18
	v_or3_b32 v43, v2, v18, v19
.LBB2_2977:                             ;   in Loop: Header=BB2_2899 Depth=3
	s_or_b32 exec_lo, exec_lo, s74
.LBB2_2978:                             ;   in Loop: Header=BB2_2899 Depth=3
	s_delay_alu instid0(SALU_CYCLE_1)
	s_or_b32 exec_lo, exec_lo, s45
.LBB2_2979:                             ;   in Loop: Header=BB2_2899 Depth=3
	s_delay_alu instid0(SALU_CYCLE_1) | instskip(SKIP_3) | instid1(VALU_DEP_1)
	s_or_b32 exec_lo, exec_lo, s13
	s_wait_loadcnt_dscnt 0x505
	v_and_b32_e32 v2, 0xff, v91
	s_mov_b32 s13, exec_lo
	v_cmpx_ne_u16_e32 0, v2
	s_cbranch_execz .LBB2_2987
; %bb.2980:                             ;   in Loop: Header=BB2_2899 Depth=3
	v_bfrev_b32_e32 v42, 1
	s_mov_b32 s45, exec_lo
	v_cmpx_ne_u16_e32 0x80, v2
	s_cbranch_execz .LBB2_2986
; %bb.2981:                             ;   in Loop: Header=BB2_2899 Depth=3
	v_and_b32_e32 v44, 0x7f, v91
	v_mov_b32_e32 v42, 0x7f800001
	s_mov_b32 s74, exec_lo
	s_delay_alu instid0(VALU_DEP_2)
	v_cmpx_ne_u32_e32 0x7f, v44
	s_cbranch_execz .LBB2_2985
; %bb.2982:                             ;   in Loop: Header=BB2_2899 Depth=3
	v_dual_lshrrev_b32 v42, 3, v44 :: v_dual_bitop2_b32 v2, 7, v2 bitop3:0x40
	s_mov_b32 s75, exec_lo
	v_cmpx_gt_u32_e32 8, v44
; %bb.2983:                             ;   in Loop: Header=BB2_2899 Depth=3
	s_delay_alu instid0(VALU_DEP_2) | instskip(NEXT) | instid1(VALU_DEP_1)
	v_clz_i32_u32_e32 v18, v2
	v_min_u32_e32 v42, 32, v18
	s_delay_alu instid0(VALU_DEP_1) | instskip(SKIP_1) | instid1(VALU_DEP_2)
	v_subrev_nc_u32_e32 v18, 28, v42
	v_sub_nc_u32_e32 v42, 29, v42
	v_lshlrev_b64_e32 v[18:19], v18, v[2:3]
	s_delay_alu instid0(VALU_DEP_1)
	v_and_b32_e32 v2, 7, v18
; %bb.2984:                             ;   in Loop: Header=BB2_2899 Depth=3
	s_or_b32 exec_lo, exec_lo, s75
	s_delay_alu instid0(VALU_DEP_1) | instskip(SKIP_1) | instid1(VALU_DEP_2)
	v_dual_lshlrev_b32 v18, 24, v91 :: v_dual_lshlrev_b32 v2, 20, v2
	v_lshl_add_u32 v19, v42, 23, 0x3c000000
	v_and_b32_e32 v18, 0x80000000, v18
	s_delay_alu instid0(VALU_DEP_1)
	v_or3_b32 v42, v2, v18, v19
.LBB2_2985:                             ;   in Loop: Header=BB2_2899 Depth=3
	s_or_b32 exec_lo, exec_lo, s74
.LBB2_2986:                             ;   in Loop: Header=BB2_2899 Depth=3
	s_delay_alu instid0(SALU_CYCLE_1)
	s_or_b32 exec_lo, exec_lo, s45
.LBB2_2987:                             ;   in Loop: Header=BB2_2899 Depth=3
	s_delay_alu instid0(SALU_CYCLE_1) | instskip(NEXT) | instid1(VALU_DEP_1)
	s_or_b32 exec_lo, exec_lo, s13
	v_add_f32_e32 v42, v43, v42
                                        ; implicit-def: $vgpr91
	s_mov_b32 s13, exec_lo
	s_delay_alu instid0(VALU_DEP_1) | instskip(SKIP_1) | instid1(VALU_DEP_2)
	v_and_b32_e32 v2, 0x7f800000, v42
	v_lshrrev_b32_e32 v43, 24, v42
	v_cmpx_ne_u64_e32 0x7f800000, v[2:3]
	s_xor_b32 s45, exec_lo, s13
	s_cbranch_execz .LBB2_3005
; %bb.2988:                             ;   in Loop: Header=BB2_2899 Depth=3
	v_and_b32_e32 v2, 0x7fffffff, v42
	v_and_b32_e32 v105, 0x80, v43
                                        ; implicit-def: $vgpr91
	s_mov_b32 s13, exec_lo
	s_delay_alu instid0(VALU_DEP_2)
	v_cmpx_gt_u64_e32 0x43e00001, v[2:3]
	s_xor_b32 s74, exec_lo, s13
	s_cbranch_execz .LBB2_3002
; %bb.2989:                             ;   in Loop: Header=BB2_2899 Depth=3
	v_mov_b32_e32 v91, 0
	s_mov_b32 s75, exec_lo
	v_cmpx_ne_u32_e32 0, v42
	s_cbranch_execz .LBB2_3001
; %bb.2990:                             ;   in Loop: Header=BB2_2899 Depth=3
	v_bfe_u32 v91, v42, 23, 8
	s_delay_alu instid0(VALU_DEP_1) | instskip(SKIP_1) | instid1(VALU_DEP_2)
	v_sub_nc_u32_e32 v2, 0x79, v91
	v_cmp_gt_u32_e32 vcc_lo, 0x7a, v91
	v_cndmask_b32_e32 v2, 0, v2, vcc_lo
	v_cmp_eq_u32_e32 vcc_lo, 0, v91
	s_delay_alu instid0(VALU_DEP_2) | instskip(SKIP_1) | instid1(VALU_DEP_2)
	v_cndmask_b32_e64 v106, v2, 0x78, vcc_lo
	v_and_b32_e32 v2, 0x7fffff, v42
	v_dual_add_nc_u32 v18, 20, v106 :: v_dual_add_nc_u32 v43, 19, v106
	s_delay_alu instid0(VALU_DEP_2) | instskip(NEXT) | instid1(VALU_DEP_2)
	v_or_b32_e32 v42, 0x800000, v2
	v_lshlrev_b64_e64 v[18:19], v18, -1
	s_delay_alu instid0(VALU_DEP_3) | instskip(NEXT) | instid1(VALU_DEP_3)
	v_lshlrev_b64_e64 v[44:45], v43, 1
	v_cndmask_b32_e32 v2, v42, v2, vcc_lo
	s_delay_alu instid0(VALU_DEP_1) | instskip(NEXT) | instid1(VALU_DEP_4)
	v_lshrrev_b64 v[42:43], v106, v[2:3]
	v_bfi_b32 v19, v19, 0, 0
	v_bfi_b32 v18, v18, 0, v2
	s_delay_alu instid0(VALU_DEP_1) | instskip(NEXT) | instid1(VALU_DEP_4)
	v_cmp_eq_u64_e64 s13, v[18:19], v[44:45]
	v_mov_b64_e32 v[44:45], v[42:43]
	s_and_saveexec_b32 s76, s13
; %bb.2991:                             ;   in Loop: Header=BB2_2899 Depth=3
	v_bfe_u32 v2, v42, 20, 1
	s_delay_alu instid0(VALU_DEP_1) | instskip(NEXT) | instid1(VALU_DEP_1)
	v_add_nc_u64_e32 v[18:19], v[42:43], v[2:3]
	v_add_nc_u64_e32 v[44:45], -1, v[18:19]
; %bb.2992:                             ;   in Loop: Header=BB2_2899 Depth=3
	s_or_b32 exec_lo, exec_lo, s76
	v_add_nc_u32_e32 v2, 0xffffff81, v91
	v_lshrrev_b32_e32 v18, 23, v42
	s_mov_b32 s13, exec_lo
	s_delay_alu instid0(VALU_DEP_2) | instskip(NEXT) | instid1(VALU_DEP_1)
	v_cndmask_b32_e64 v2, v2, 0xffffff82, vcc_lo
	v_add3_u32 v45, v106, v2, v18
	v_and_b32_e32 v2, 0xfffff, v44
                                        ; implicit-def: $vgpr44
	s_delay_alu instid0(VALU_DEP_1) | instskip(NEXT) | instid1(VALU_DEP_1)
	v_dual_add_nc_u32 v91, 6, v45 :: v_dual_add_nc_u32 v2, v2, v42
                                        ; implicit-def: $vgpr42_vgpr43
	v_cmpx_ne_u32_e32 0, v91
	s_xor_b32 s13, exec_lo, s13
; %bb.2993:                             ;   in Loop: Header=BB2_2899 Depth=3
	s_delay_alu instid0(VALU_DEP_2) | instskip(SKIP_1) | instid1(VALU_DEP_1)
	v_cmp_lt_u64_e32 vcc_lo, 0xffffff, v[2:3]
	v_add_nc_u32_e32 v18, 7, v45
	v_cndmask_b32_e32 v44, v91, v18, vcc_lo
	v_cndmask_b32_e64 v18, 0, 1, vcc_lo
	s_delay_alu instid0(VALU_DEP_1)
	v_lshrrev_b64 v[42:43], v18, v[2:3]
; %bb.2994:                             ;   in Loop: Header=BB2_2899 Depth=3
	s_and_not1_saveexec_b32 s13, s13
; %bb.2995:                             ;   in Loop: Header=BB2_2899 Depth=3
	v_mov_b64_e32 v[42:43], v[2:3]
	v_bfe_u32 v44, v2, 23, 1
; %bb.2996:                             ;   in Loop: Header=BB2_2899 Depth=3
	s_or_b32 exec_lo, exec_lo, s13
	s_delay_alu instid0(VALU_DEP_2) | instskip(NEXT) | instid1(VALU_DEP_2)
	v_lshrrev_b64 v[18:19], 20, v[42:43]
	v_cmp_gt_i32_e32 vcc_lo, 16, v44
	v_cmp_ne_u32_e64 s13, 0, v44
                                        ; implicit-def: $vgpr91
	s_delay_alu instid0(VALU_DEP_3) | instskip(NEXT) | instid1(VALU_DEP_1)
	v_dual_cndmask_b32 v43, 0, v19 :: v_dual_cndmask_b32 v42, 7, v18
	v_cmp_ne_u64_e32 vcc_lo, 0, v[42:43]
	s_or_b32 s13, s13, vcc_lo
	s_delay_alu instid0(SALU_CYCLE_1) | instskip(NEXT) | instid1(SALU_CYCLE_1)
	s_and_saveexec_b32 s76, s13
	s_xor_b32 s13, exec_lo, s76
; %bb.2997:                             ;   in Loop: Header=BB2_2899 Depth=3
	v_min_i32_e32 v2, 15, v44
	s_delay_alu instid0(VALU_DEP_1) | instskip(NEXT) | instid1(VALU_DEP_1)
	v_lshl_or_b32 v2, v2, 3, v105
                                        ; implicit-def: $vgpr105
	v_and_or_b32 v91, v42, 7, v2
; %bb.2998:                             ;   in Loop: Header=BB2_2899 Depth=3
	s_and_not1_saveexec_b32 s13, s13
; %bb.2999:                             ;   in Loop: Header=BB2_2899 Depth=3
	v_mov_b32_e32 v91, v105
; %bb.3000:                             ;   in Loop: Header=BB2_2899 Depth=3
	s_or_b32 exec_lo, exec_lo, s13
.LBB2_3001:                             ;   in Loop: Header=BB2_2899 Depth=3
	s_delay_alu instid0(SALU_CYCLE_1)
	s_or_b32 exec_lo, exec_lo, s75
                                        ; implicit-def: $vgpr105
.LBB2_3002:                             ;   in Loop: Header=BB2_2899 Depth=3
	s_and_not1_saveexec_b32 s13, s74
; %bb.3003:                             ;   in Loop: Header=BB2_2899 Depth=3
	v_or_b32_e32 v91, 0x7e, v105
; %bb.3004:                             ;   in Loop: Header=BB2_2899 Depth=3
	s_or_b32 exec_lo, exec_lo, s13
                                        ; implicit-def: $vgpr43
.LBB2_3005:                             ;   in Loop: Header=BB2_2899 Depth=3
	s_and_not1_saveexec_b32 s13, s45
; %bb.3006:                             ;   in Loop: Header=BB2_2899 Depth=3
	v_or_b32_e32 v91, 0x7f, v43
; %bb.3007:                             ;   in Loop: Header=BB2_2899 Depth=3
	s_or_b32 exec_lo, exec_lo, s13
	v_and_b32_e32 v2, 0xff, v104
	v_dual_mov_b32 v42, 0 :: v_dual_mov_b32 v43, 0
	s_mov_b32 s13, exec_lo
	s_delay_alu instid0(VALU_DEP_2)
	v_cmpx_ne_u16_e32 0, v2
	s_cbranch_execz .LBB2_3015
; %bb.3008:                             ;   in Loop: Header=BB2_2899 Depth=3
	v_bfrev_b32_e32 v43, 1
	s_mov_b32 s45, exec_lo
	v_cmpx_ne_u16_e32 0x80, v2
	s_cbranch_execz .LBB2_3014
; %bb.3009:                             ;   in Loop: Header=BB2_2899 Depth=3
	v_and_b32_e32 v44, 0x7f, v104
	v_mov_b32_e32 v43, 0x7f800001
	s_mov_b32 s74, exec_lo
	s_delay_alu instid0(VALU_DEP_2)
	v_cmpx_ne_u32_e32 0x7f, v44
	s_cbranch_execz .LBB2_3013
; %bb.3010:                             ;   in Loop: Header=BB2_2899 Depth=3
	v_dual_lshrrev_b32 v43, 3, v44 :: v_dual_bitop2_b32 v2, 7, v2 bitop3:0x40
	s_mov_b32 s75, exec_lo
	v_cmpx_gt_u32_e32 8, v44
; %bb.3011:                             ;   in Loop: Header=BB2_2899 Depth=3
	s_delay_alu instid0(VALU_DEP_2) | instskip(NEXT) | instid1(VALU_DEP_1)
	v_clz_i32_u32_e32 v18, v2
	v_min_u32_e32 v43, 32, v18
	s_delay_alu instid0(VALU_DEP_1) | instskip(NEXT) | instid1(VALU_DEP_1)
	v_subrev_nc_u32_e32 v18, 28, v43
	v_lshlrev_b64_e32 v[18:19], v18, v[2:3]
	s_delay_alu instid0(VALU_DEP_1)
	v_dual_sub_nc_u32 v43, 29, v43 :: v_dual_bitop2_b32 v2, 7, v18 bitop3:0x40
; %bb.3012:                             ;   in Loop: Header=BB2_2899 Depth=3
	s_or_b32 exec_lo, exec_lo, s75
	s_delay_alu instid0(VALU_DEP_1) | instskip(NEXT) | instid1(VALU_DEP_2)
	v_dual_lshlrev_b32 v18, 24, v104 :: v_dual_lshlrev_b32 v2, 20, v2
	v_lshl_add_u32 v19, v43, 23, 0x3c000000
	s_delay_alu instid0(VALU_DEP_2) | instskip(NEXT) | instid1(VALU_DEP_1)
	v_and_b32_e32 v18, 0x80000000, v18
	v_or3_b32 v43, v2, v18, v19
.LBB2_3013:                             ;   in Loop: Header=BB2_2899 Depth=3
	s_or_b32 exec_lo, exec_lo, s74
.LBB2_3014:                             ;   in Loop: Header=BB2_2899 Depth=3
	s_delay_alu instid0(SALU_CYCLE_1)
	s_or_b32 exec_lo, exec_lo, s45
.LBB2_3015:                             ;   in Loop: Header=BB2_2899 Depth=3
	s_delay_alu instid0(SALU_CYCLE_1) | instskip(SKIP_3) | instid1(VALU_DEP_1)
	s_or_b32 exec_lo, exec_lo, s13
	s_wait_loadcnt_dscnt 0x404
	v_and_b32_e32 v2, 0xff, v94
	s_mov_b32 s13, exec_lo
	v_cmpx_ne_u16_e32 0, v2
	s_cbranch_execz .LBB2_3023
; %bb.3016:                             ;   in Loop: Header=BB2_2899 Depth=3
	v_bfrev_b32_e32 v42, 1
	s_mov_b32 s45, exec_lo
	v_cmpx_ne_u16_e32 0x80, v2
	s_cbranch_execz .LBB2_3022
; %bb.3017:                             ;   in Loop: Header=BB2_2899 Depth=3
	v_and_b32_e32 v44, 0x7f, v94
	v_mov_b32_e32 v42, 0x7f800001
	s_mov_b32 s74, exec_lo
	s_delay_alu instid0(VALU_DEP_2)
	v_cmpx_ne_u32_e32 0x7f, v44
	s_cbranch_execz .LBB2_3021
; %bb.3018:                             ;   in Loop: Header=BB2_2899 Depth=3
	v_dual_lshrrev_b32 v42, 3, v44 :: v_dual_bitop2_b32 v2, 7, v2 bitop3:0x40
	s_mov_b32 s75, exec_lo
	v_cmpx_gt_u32_e32 8, v44
; %bb.3019:                             ;   in Loop: Header=BB2_2899 Depth=3
	s_delay_alu instid0(VALU_DEP_2) | instskip(NEXT) | instid1(VALU_DEP_1)
	v_clz_i32_u32_e32 v18, v2
	v_min_u32_e32 v42, 32, v18
	s_delay_alu instid0(VALU_DEP_1) | instskip(SKIP_1) | instid1(VALU_DEP_2)
	v_subrev_nc_u32_e32 v18, 28, v42
	v_sub_nc_u32_e32 v42, 29, v42
	v_lshlrev_b64_e32 v[18:19], v18, v[2:3]
	s_delay_alu instid0(VALU_DEP_1)
	v_and_b32_e32 v2, 7, v18
; %bb.3020:                             ;   in Loop: Header=BB2_2899 Depth=3
	s_or_b32 exec_lo, exec_lo, s75
	v_lshlrev_b32_e32 v18, 24, v94
	s_delay_alu instid0(VALU_DEP_2) | instskip(SKIP_1) | instid1(VALU_DEP_3)
	v_lshlrev_b32_e32 v2, 20, v2
	v_lshl_add_u32 v19, v42, 23, 0x3c000000
	v_and_b32_e32 v18, 0x80000000, v18
	s_delay_alu instid0(VALU_DEP_1)
	v_or3_b32 v42, v2, v18, v19
.LBB2_3021:                             ;   in Loop: Header=BB2_2899 Depth=3
	s_or_b32 exec_lo, exec_lo, s74
.LBB2_3022:                             ;   in Loop: Header=BB2_2899 Depth=3
	s_delay_alu instid0(SALU_CYCLE_1)
	s_or_b32 exec_lo, exec_lo, s45
.LBB2_3023:                             ;   in Loop: Header=BB2_2899 Depth=3
	s_delay_alu instid0(SALU_CYCLE_1) | instskip(NEXT) | instid1(VALU_DEP_1)
	s_or_b32 exec_lo, exec_lo, s13
	v_add_f32_e32 v42, v43, v42
                                        ; implicit-def: $vgpr94
	s_mov_b32 s13, exec_lo
	s_delay_alu instid0(VALU_DEP_1) | instskip(SKIP_1) | instid1(VALU_DEP_2)
	v_and_b32_e32 v2, 0x7f800000, v42
	v_lshrrev_b32_e32 v43, 24, v42
	v_cmpx_ne_u64_e32 0x7f800000, v[2:3]
	s_xor_b32 s45, exec_lo, s13
	s_cbranch_execz .LBB2_3041
; %bb.3024:                             ;   in Loop: Header=BB2_2899 Depth=3
	v_and_b32_e32 v2, 0x7fffffff, v42
	v_and_b32_e32 v104, 0x80, v43
                                        ; implicit-def: $vgpr94
	s_mov_b32 s13, exec_lo
	s_delay_alu instid0(VALU_DEP_2)
	v_cmpx_gt_u64_e32 0x43e00001, v[2:3]
	s_xor_b32 s74, exec_lo, s13
	s_cbranch_execz .LBB2_3038
; %bb.3025:                             ;   in Loop: Header=BB2_2899 Depth=3
	v_mov_b32_e32 v94, 0
	s_mov_b32 s75, exec_lo
	v_cmpx_ne_u32_e32 0, v42
	s_cbranch_execz .LBB2_3037
; %bb.3026:                             ;   in Loop: Header=BB2_2899 Depth=3
	v_bfe_u32 v94, v42, 23, 8
	s_delay_alu instid0(VALU_DEP_1) | instskip(SKIP_1) | instid1(VALU_DEP_2)
	v_sub_nc_u32_e32 v2, 0x79, v94
	v_cmp_gt_u32_e32 vcc_lo, 0x7a, v94
	v_cndmask_b32_e32 v2, 0, v2, vcc_lo
	v_cmp_eq_u32_e32 vcc_lo, 0, v94
	s_delay_alu instid0(VALU_DEP_2) | instskip(SKIP_1) | instid1(VALU_DEP_2)
	v_cndmask_b32_e64 v105, v2, 0x78, vcc_lo
	v_and_b32_e32 v2, 0x7fffff, v42
	v_add_nc_u32_e32 v18, 20, v105
	s_delay_alu instid0(VALU_DEP_2) | instskip(SKIP_1) | instid1(VALU_DEP_3)
	v_or_b32_e32 v42, 0x800000, v2
	v_add_nc_u32_e32 v43, 19, v105
	v_lshlrev_b64_e64 v[18:19], v18, -1
	s_delay_alu instid0(VALU_DEP_3) | instskip(NEXT) | instid1(VALU_DEP_3)
	v_cndmask_b32_e32 v2, v42, v2, vcc_lo
	v_lshlrev_b64_e64 v[44:45], v43, 1
	s_delay_alu instid0(VALU_DEP_2) | instskip(NEXT) | instid1(VALU_DEP_4)
	v_lshrrev_b64 v[42:43], v105, v[2:3]
	v_bfi_b32 v19, v19, 0, 0
	v_bfi_b32 v18, v18, 0, v2
	s_delay_alu instid0(VALU_DEP_1) | instskip(NEXT) | instid1(VALU_DEP_4)
	v_cmp_eq_u64_e64 s13, v[18:19], v[44:45]
	v_mov_b64_e32 v[44:45], v[42:43]
	s_and_saveexec_b32 s76, s13
; %bb.3027:                             ;   in Loop: Header=BB2_2899 Depth=3
	v_bfe_u32 v2, v42, 20, 1
	s_delay_alu instid0(VALU_DEP_1) | instskip(NEXT) | instid1(VALU_DEP_1)
	v_add_nc_u64_e32 v[18:19], v[42:43], v[2:3]
	v_add_nc_u64_e32 v[44:45], -1, v[18:19]
; %bb.3028:                             ;   in Loop: Header=BB2_2899 Depth=3
	s_or_b32 exec_lo, exec_lo, s76
	v_add_nc_u32_e32 v2, 0xffffff81, v94
	v_lshrrev_b32_e32 v18, 23, v42
	s_mov_b32 s13, exec_lo
	s_delay_alu instid0(VALU_DEP_2) | instskip(NEXT) | instid1(VALU_DEP_1)
	v_cndmask_b32_e64 v2, v2, 0xffffff82, vcc_lo
	v_add3_u32 v45, v105, v2, v18
	v_and_b32_e32 v2, 0xfffff, v44
                                        ; implicit-def: $vgpr44
	s_delay_alu instid0(VALU_DEP_1) | instskip(NEXT) | instid1(VALU_DEP_1)
	v_dual_add_nc_u32 v94, 6, v45 :: v_dual_add_nc_u32 v2, v2, v42
                                        ; implicit-def: $vgpr42_vgpr43
	v_cmpx_ne_u32_e32 0, v94
	s_xor_b32 s13, exec_lo, s13
; %bb.3029:                             ;   in Loop: Header=BB2_2899 Depth=3
	s_delay_alu instid0(VALU_DEP_2) | instskip(SKIP_1) | instid1(VALU_DEP_1)
	v_cmp_lt_u64_e32 vcc_lo, 0xffffff, v[2:3]
	v_add_nc_u32_e32 v18, 7, v45
	v_cndmask_b32_e32 v44, v94, v18, vcc_lo
	v_cndmask_b32_e64 v18, 0, 1, vcc_lo
	s_delay_alu instid0(VALU_DEP_1)
	v_lshrrev_b64 v[42:43], v18, v[2:3]
; %bb.3030:                             ;   in Loop: Header=BB2_2899 Depth=3
	s_and_not1_saveexec_b32 s13, s13
; %bb.3031:                             ;   in Loop: Header=BB2_2899 Depth=3
	v_mov_b64_e32 v[42:43], v[2:3]
	v_bfe_u32 v44, v2, 23, 1
; %bb.3032:                             ;   in Loop: Header=BB2_2899 Depth=3
	s_or_b32 exec_lo, exec_lo, s13
	s_delay_alu instid0(VALU_DEP_2) | instskip(NEXT) | instid1(VALU_DEP_2)
	v_lshrrev_b64 v[18:19], 20, v[42:43]
	v_cmp_gt_i32_e32 vcc_lo, 16, v44
	v_cmp_ne_u32_e64 s13, 0, v44
                                        ; implicit-def: $vgpr94
	s_delay_alu instid0(VALU_DEP_3) | instskip(NEXT) | instid1(VALU_DEP_1)
	v_dual_cndmask_b32 v43, 0, v19 :: v_dual_cndmask_b32 v42, 7, v18
	v_cmp_ne_u64_e32 vcc_lo, 0, v[42:43]
	s_or_b32 s13, s13, vcc_lo
	s_delay_alu instid0(SALU_CYCLE_1) | instskip(NEXT) | instid1(SALU_CYCLE_1)
	s_and_saveexec_b32 s76, s13
	s_xor_b32 s13, exec_lo, s76
; %bb.3033:                             ;   in Loop: Header=BB2_2899 Depth=3
	v_min_i32_e32 v2, 15, v44
	s_delay_alu instid0(VALU_DEP_1) | instskip(NEXT) | instid1(VALU_DEP_1)
	v_lshl_or_b32 v2, v2, 3, v104
                                        ; implicit-def: $vgpr104
	v_and_or_b32 v94, v42, 7, v2
; %bb.3034:                             ;   in Loop: Header=BB2_2899 Depth=3
	s_and_not1_saveexec_b32 s13, s13
; %bb.3035:                             ;   in Loop: Header=BB2_2899 Depth=3
	v_mov_b32_e32 v94, v104
; %bb.3036:                             ;   in Loop: Header=BB2_2899 Depth=3
	s_or_b32 exec_lo, exec_lo, s13
.LBB2_3037:                             ;   in Loop: Header=BB2_2899 Depth=3
	s_delay_alu instid0(SALU_CYCLE_1)
	s_or_b32 exec_lo, exec_lo, s75
                                        ; implicit-def: $vgpr104
.LBB2_3038:                             ;   in Loop: Header=BB2_2899 Depth=3
	s_and_not1_saveexec_b32 s13, s74
; %bb.3039:                             ;   in Loop: Header=BB2_2899 Depth=3
	v_or_b32_e32 v94, 0x7e, v104
; %bb.3040:                             ;   in Loop: Header=BB2_2899 Depth=3
	s_or_b32 exec_lo, exec_lo, s13
                                        ; implicit-def: $vgpr43
.LBB2_3041:                             ;   in Loop: Header=BB2_2899 Depth=3
	s_and_not1_saveexec_b32 s13, s45
; %bb.3042:                             ;   in Loop: Header=BB2_2899 Depth=3
	v_or_b32_e32 v94, 0x7f, v43
; %bb.3043:                             ;   in Loop: Header=BB2_2899 Depth=3
	s_or_b32 exec_lo, exec_lo, s13
	v_and_b32_e32 v2, 0xff, v95
	v_dual_mov_b32 v42, 0 :: v_dual_mov_b32 v43, 0
	s_mov_b32 s13, exec_lo
	s_delay_alu instid0(VALU_DEP_2)
	v_cmpx_ne_u16_e32 0, v2
	s_cbranch_execz .LBB2_3051
; %bb.3044:                             ;   in Loop: Header=BB2_2899 Depth=3
	v_bfrev_b32_e32 v43, 1
	s_mov_b32 s45, exec_lo
	v_cmpx_ne_u16_e32 0x80, v2
	s_cbranch_execz .LBB2_3050
; %bb.3045:                             ;   in Loop: Header=BB2_2899 Depth=3
	v_and_b32_e32 v44, 0x7f, v95
	v_mov_b32_e32 v43, 0x7f800001
	s_mov_b32 s74, exec_lo
	s_delay_alu instid0(VALU_DEP_2)
	v_cmpx_ne_u32_e32 0x7f, v44
	s_cbranch_execz .LBB2_3049
; %bb.3046:                             ;   in Loop: Header=BB2_2899 Depth=3
	v_dual_lshrrev_b32 v43, 3, v44 :: v_dual_bitop2_b32 v2, 7, v2 bitop3:0x40
	s_mov_b32 s75, exec_lo
	v_cmpx_gt_u32_e32 8, v44
; %bb.3047:                             ;   in Loop: Header=BB2_2899 Depth=3
	s_delay_alu instid0(VALU_DEP_2) | instskip(NEXT) | instid1(VALU_DEP_1)
	v_clz_i32_u32_e32 v18, v2
	v_min_u32_e32 v43, 32, v18
	s_delay_alu instid0(VALU_DEP_1) | instskip(NEXT) | instid1(VALU_DEP_1)
	v_subrev_nc_u32_e32 v18, 28, v43
	v_lshlrev_b64_e32 v[18:19], v18, v[2:3]
	s_delay_alu instid0(VALU_DEP_1)
	v_dual_sub_nc_u32 v43, 29, v43 :: v_dual_bitop2_b32 v2, 7, v18 bitop3:0x40
; %bb.3048:                             ;   in Loop: Header=BB2_2899 Depth=3
	s_or_b32 exec_lo, exec_lo, s75
	s_delay_alu instid0(VALU_DEP_1) | instskip(NEXT) | instid1(VALU_DEP_2)
	v_dual_lshlrev_b32 v18, 24, v95 :: v_dual_lshlrev_b32 v2, 20, v2
	v_lshl_add_u32 v19, v43, 23, 0x3c000000
	s_delay_alu instid0(VALU_DEP_2) | instskip(NEXT) | instid1(VALU_DEP_1)
	v_and_b32_e32 v18, 0x80000000, v18
	v_or3_b32 v43, v2, v18, v19
.LBB2_3049:                             ;   in Loop: Header=BB2_2899 Depth=3
	s_or_b32 exec_lo, exec_lo, s74
.LBB2_3050:                             ;   in Loop: Header=BB2_2899 Depth=3
	s_delay_alu instid0(SALU_CYCLE_1)
	s_or_b32 exec_lo, exec_lo, s45
.LBB2_3051:                             ;   in Loop: Header=BB2_2899 Depth=3
	s_delay_alu instid0(SALU_CYCLE_1) | instskip(SKIP_3) | instid1(VALU_DEP_1)
	s_or_b32 exec_lo, exec_lo, s13
	s_wait_loadcnt_dscnt 0x303
	v_and_b32_e32 v2, 0xff, v93
	s_mov_b32 s13, exec_lo
	v_cmpx_ne_u16_e32 0, v2
	s_cbranch_execz .LBB2_3059
; %bb.3052:                             ;   in Loop: Header=BB2_2899 Depth=3
	v_bfrev_b32_e32 v42, 1
	s_mov_b32 s45, exec_lo
	v_cmpx_ne_u16_e32 0x80, v2
	s_cbranch_execz .LBB2_3058
; %bb.3053:                             ;   in Loop: Header=BB2_2899 Depth=3
	v_and_b32_e32 v44, 0x7f, v93
	v_mov_b32_e32 v42, 0x7f800001
	s_mov_b32 s74, exec_lo
	s_delay_alu instid0(VALU_DEP_2)
	v_cmpx_ne_u32_e32 0x7f, v44
	s_cbranch_execz .LBB2_3057
; %bb.3054:                             ;   in Loop: Header=BB2_2899 Depth=3
	v_dual_lshrrev_b32 v42, 3, v44 :: v_dual_bitop2_b32 v2, 7, v2 bitop3:0x40
	s_mov_b32 s75, exec_lo
	v_cmpx_gt_u32_e32 8, v44
; %bb.3055:                             ;   in Loop: Header=BB2_2899 Depth=3
	s_delay_alu instid0(VALU_DEP_2) | instskip(NEXT) | instid1(VALU_DEP_1)
	v_clz_i32_u32_e32 v18, v2
	v_min_u32_e32 v42, 32, v18
	s_delay_alu instid0(VALU_DEP_1) | instskip(SKIP_1) | instid1(VALU_DEP_2)
	v_subrev_nc_u32_e32 v18, 28, v42
	v_sub_nc_u32_e32 v42, 29, v42
	v_lshlrev_b64_e32 v[18:19], v18, v[2:3]
	s_delay_alu instid0(VALU_DEP_1)
	v_and_b32_e32 v2, 7, v18
; %bb.3056:                             ;   in Loop: Header=BB2_2899 Depth=3
	s_or_b32 exec_lo, exec_lo, s75
	s_delay_alu instid0(VALU_DEP_1) | instskip(SKIP_1) | instid1(VALU_DEP_2)
	v_dual_lshlrev_b32 v18, 24, v93 :: v_dual_lshlrev_b32 v2, 20, v2
	v_lshl_add_u32 v19, v42, 23, 0x3c000000
	v_and_b32_e32 v18, 0x80000000, v18
	s_delay_alu instid0(VALU_DEP_1)
	v_or3_b32 v42, v2, v18, v19
.LBB2_3057:                             ;   in Loop: Header=BB2_2899 Depth=3
	s_or_b32 exec_lo, exec_lo, s74
.LBB2_3058:                             ;   in Loop: Header=BB2_2899 Depth=3
	s_delay_alu instid0(SALU_CYCLE_1)
	s_or_b32 exec_lo, exec_lo, s45
.LBB2_3059:                             ;   in Loop: Header=BB2_2899 Depth=3
	s_delay_alu instid0(SALU_CYCLE_1) | instskip(NEXT) | instid1(VALU_DEP_1)
	s_or_b32 exec_lo, exec_lo, s13
	v_add_f32_e32 v42, v43, v42
                                        ; implicit-def: $vgpr93
	s_mov_b32 s13, exec_lo
	s_delay_alu instid0(VALU_DEP_1) | instskip(SKIP_1) | instid1(VALU_DEP_2)
	v_and_b32_e32 v2, 0x7f800000, v42
	v_lshrrev_b32_e32 v43, 24, v42
	v_cmpx_ne_u64_e32 0x7f800000, v[2:3]
	s_xor_b32 s45, exec_lo, s13
	s_cbranch_execz .LBB2_3077
; %bb.3060:                             ;   in Loop: Header=BB2_2899 Depth=3
	v_and_b32_e32 v2, 0x7fffffff, v42
	v_and_b32_e32 v95, 0x80, v43
                                        ; implicit-def: $vgpr93
	s_mov_b32 s13, exec_lo
	s_delay_alu instid0(VALU_DEP_2)
	v_cmpx_gt_u64_e32 0x43e00001, v[2:3]
	s_xor_b32 s74, exec_lo, s13
	s_cbranch_execz .LBB2_3074
; %bb.3061:                             ;   in Loop: Header=BB2_2899 Depth=3
	v_mov_b32_e32 v93, 0
	s_mov_b32 s75, exec_lo
	v_cmpx_ne_u32_e32 0, v42
	s_cbranch_execz .LBB2_3073
; %bb.3062:                             ;   in Loop: Header=BB2_2899 Depth=3
	v_bfe_u32 v93, v42, 23, 8
	s_delay_alu instid0(VALU_DEP_1) | instskip(SKIP_1) | instid1(VALU_DEP_2)
	v_sub_nc_u32_e32 v2, 0x79, v93
	v_cmp_gt_u32_e32 vcc_lo, 0x7a, v93
	v_cndmask_b32_e32 v2, 0, v2, vcc_lo
	v_cmp_eq_u32_e32 vcc_lo, 0, v93
	s_delay_alu instid0(VALU_DEP_2) | instskip(SKIP_1) | instid1(VALU_DEP_2)
	v_cndmask_b32_e64 v104, v2, 0x78, vcc_lo
	v_and_b32_e32 v2, 0x7fffff, v42
	v_add_nc_u32_e32 v18, 20, v104
	s_delay_alu instid0(VALU_DEP_2) | instskip(SKIP_1) | instid1(VALU_DEP_3)
	v_or_b32_e32 v42, 0x800000, v2
	v_add_nc_u32_e32 v43, 19, v104
	v_lshlrev_b64_e64 v[18:19], v18, -1
	s_delay_alu instid0(VALU_DEP_3) | instskip(NEXT) | instid1(VALU_DEP_3)
	v_cndmask_b32_e32 v2, v42, v2, vcc_lo
	v_lshlrev_b64_e64 v[44:45], v43, 1
	s_delay_alu instid0(VALU_DEP_2) | instskip(NEXT) | instid1(VALU_DEP_4)
	v_lshrrev_b64 v[42:43], v104, v[2:3]
	v_bfi_b32 v19, v19, 0, 0
	v_bfi_b32 v18, v18, 0, v2
	s_delay_alu instid0(VALU_DEP_1) | instskip(NEXT) | instid1(VALU_DEP_4)
	v_cmp_eq_u64_e64 s13, v[18:19], v[44:45]
	v_mov_b64_e32 v[44:45], v[42:43]
	s_and_saveexec_b32 s76, s13
; %bb.3063:                             ;   in Loop: Header=BB2_2899 Depth=3
	v_bfe_u32 v2, v42, 20, 1
	s_delay_alu instid0(VALU_DEP_1) | instskip(NEXT) | instid1(VALU_DEP_1)
	v_add_nc_u64_e32 v[18:19], v[42:43], v[2:3]
	v_add_nc_u64_e32 v[44:45], -1, v[18:19]
; %bb.3064:                             ;   in Loop: Header=BB2_2899 Depth=3
	s_or_b32 exec_lo, exec_lo, s76
	v_add_nc_u32_e32 v2, 0xffffff81, v93
	v_lshrrev_b32_e32 v18, 23, v42
	s_mov_b32 s13, exec_lo
	s_delay_alu instid0(VALU_DEP_2) | instskip(NEXT) | instid1(VALU_DEP_1)
	v_cndmask_b32_e64 v2, v2, 0xffffff82, vcc_lo
	v_add3_u32 v45, v104, v2, v18
	v_and_b32_e32 v2, 0xfffff, v44
                                        ; implicit-def: $vgpr44
	s_delay_alu instid0(VALU_DEP_1) | instskip(NEXT) | instid1(VALU_DEP_1)
	v_dual_add_nc_u32 v93, 6, v45 :: v_dual_add_nc_u32 v2, v2, v42
                                        ; implicit-def: $vgpr42_vgpr43
	v_cmpx_ne_u32_e32 0, v93
	s_xor_b32 s13, exec_lo, s13
; %bb.3065:                             ;   in Loop: Header=BB2_2899 Depth=3
	s_delay_alu instid0(VALU_DEP_2) | instskip(SKIP_1) | instid1(VALU_DEP_1)
	v_cmp_lt_u64_e32 vcc_lo, 0xffffff, v[2:3]
	v_add_nc_u32_e32 v18, 7, v45
	v_cndmask_b32_e32 v44, v93, v18, vcc_lo
	v_cndmask_b32_e64 v18, 0, 1, vcc_lo
	s_delay_alu instid0(VALU_DEP_1)
	v_lshrrev_b64 v[42:43], v18, v[2:3]
; %bb.3066:                             ;   in Loop: Header=BB2_2899 Depth=3
	s_and_not1_saveexec_b32 s13, s13
; %bb.3067:                             ;   in Loop: Header=BB2_2899 Depth=3
	v_mov_b64_e32 v[42:43], v[2:3]
	v_bfe_u32 v44, v2, 23, 1
; %bb.3068:                             ;   in Loop: Header=BB2_2899 Depth=3
	s_or_b32 exec_lo, exec_lo, s13
	s_delay_alu instid0(VALU_DEP_2) | instskip(NEXT) | instid1(VALU_DEP_2)
	v_lshrrev_b64 v[18:19], 20, v[42:43]
	v_cmp_gt_i32_e32 vcc_lo, 16, v44
	v_cmp_ne_u32_e64 s13, 0, v44
                                        ; implicit-def: $vgpr93
	s_delay_alu instid0(VALU_DEP_3) | instskip(NEXT) | instid1(VALU_DEP_1)
	v_dual_cndmask_b32 v43, 0, v19 :: v_dual_cndmask_b32 v42, 7, v18
	v_cmp_ne_u64_e32 vcc_lo, 0, v[42:43]
	s_or_b32 s13, s13, vcc_lo
	s_delay_alu instid0(SALU_CYCLE_1) | instskip(NEXT) | instid1(SALU_CYCLE_1)
	s_and_saveexec_b32 s76, s13
	s_xor_b32 s13, exec_lo, s76
; %bb.3069:                             ;   in Loop: Header=BB2_2899 Depth=3
	v_min_i32_e32 v2, 15, v44
	s_delay_alu instid0(VALU_DEP_1) | instskip(NEXT) | instid1(VALU_DEP_1)
	v_lshl_or_b32 v2, v2, 3, v95
                                        ; implicit-def: $vgpr95
	v_and_or_b32 v93, v42, 7, v2
; %bb.3070:                             ;   in Loop: Header=BB2_2899 Depth=3
	s_and_not1_saveexec_b32 s13, s13
; %bb.3071:                             ;   in Loop: Header=BB2_2899 Depth=3
	v_mov_b32_e32 v93, v95
; %bb.3072:                             ;   in Loop: Header=BB2_2899 Depth=3
	s_or_b32 exec_lo, exec_lo, s13
.LBB2_3073:                             ;   in Loop: Header=BB2_2899 Depth=3
	s_delay_alu instid0(SALU_CYCLE_1)
	s_or_b32 exec_lo, exec_lo, s75
                                        ; implicit-def: $vgpr95
.LBB2_3074:                             ;   in Loop: Header=BB2_2899 Depth=3
	s_and_not1_saveexec_b32 s13, s74
; %bb.3075:                             ;   in Loop: Header=BB2_2899 Depth=3
	v_or_b32_e32 v93, 0x7e, v95
; %bb.3076:                             ;   in Loop: Header=BB2_2899 Depth=3
	s_or_b32 exec_lo, exec_lo, s13
                                        ; implicit-def: $vgpr43
.LBB2_3077:                             ;   in Loop: Header=BB2_2899 Depth=3
	s_and_not1_saveexec_b32 s13, s45
; %bb.3078:                             ;   in Loop: Header=BB2_2899 Depth=3
	v_or_b32_e32 v93, 0x7f, v43
; %bb.3079:                             ;   in Loop: Header=BB2_2899 Depth=3
	s_or_b32 exec_lo, exec_lo, s13
	v_and_b32_e32 v2, 0xff, v92
	v_dual_mov_b32 v42, 0 :: v_dual_mov_b32 v43, 0
	s_mov_b32 s13, exec_lo
	s_delay_alu instid0(VALU_DEP_2)
	v_cmpx_ne_u16_e32 0, v2
	s_cbranch_execz .LBB2_3087
; %bb.3080:                             ;   in Loop: Header=BB2_2899 Depth=3
	v_bfrev_b32_e32 v43, 1
	s_mov_b32 s45, exec_lo
	v_cmpx_ne_u16_e32 0x80, v2
	s_cbranch_execz .LBB2_3086
; %bb.3081:                             ;   in Loop: Header=BB2_2899 Depth=3
	v_and_b32_e32 v44, 0x7f, v92
	v_mov_b32_e32 v43, 0x7f800001
	s_mov_b32 s74, exec_lo
	s_delay_alu instid0(VALU_DEP_2)
	v_cmpx_ne_u32_e32 0x7f, v44
	s_cbranch_execz .LBB2_3085
; %bb.3082:                             ;   in Loop: Header=BB2_2899 Depth=3
	v_dual_lshrrev_b32 v43, 3, v44 :: v_dual_bitop2_b32 v2, 7, v2 bitop3:0x40
	s_mov_b32 s75, exec_lo
	v_cmpx_gt_u32_e32 8, v44
; %bb.3083:                             ;   in Loop: Header=BB2_2899 Depth=3
	s_delay_alu instid0(VALU_DEP_2) | instskip(NEXT) | instid1(VALU_DEP_1)
	v_clz_i32_u32_e32 v18, v2
	v_min_u32_e32 v43, 32, v18
	s_delay_alu instid0(VALU_DEP_1) | instskip(NEXT) | instid1(VALU_DEP_1)
	v_subrev_nc_u32_e32 v18, 28, v43
	v_lshlrev_b64_e32 v[18:19], v18, v[2:3]
	s_delay_alu instid0(VALU_DEP_1)
	v_dual_sub_nc_u32 v43, 29, v43 :: v_dual_bitop2_b32 v2, 7, v18 bitop3:0x40
; %bb.3084:                             ;   in Loop: Header=BB2_2899 Depth=3
	s_or_b32 exec_lo, exec_lo, s75
	s_delay_alu instid0(VALU_DEP_1) | instskip(NEXT) | instid1(VALU_DEP_2)
	v_dual_lshlrev_b32 v18, 24, v92 :: v_dual_lshlrev_b32 v2, 20, v2
	v_lshl_add_u32 v19, v43, 23, 0x3c000000
	s_delay_alu instid0(VALU_DEP_2) | instskip(NEXT) | instid1(VALU_DEP_1)
	v_and_b32_e32 v18, 0x80000000, v18
	v_or3_b32 v43, v2, v18, v19
.LBB2_3085:                             ;   in Loop: Header=BB2_2899 Depth=3
	s_or_b32 exec_lo, exec_lo, s74
.LBB2_3086:                             ;   in Loop: Header=BB2_2899 Depth=3
	s_delay_alu instid0(SALU_CYCLE_1)
	s_or_b32 exec_lo, exec_lo, s45
.LBB2_3087:                             ;   in Loop: Header=BB2_2899 Depth=3
	s_delay_alu instid0(SALU_CYCLE_1) | instskip(SKIP_3) | instid1(VALU_DEP_1)
	s_or_b32 exec_lo, exec_lo, s13
	s_wait_loadcnt_dscnt 0x202
	v_and_b32_e32 v2, 0xff, v73
	s_mov_b32 s13, exec_lo
	v_cmpx_ne_u16_e32 0, v2
	s_cbranch_execz .LBB2_3095
; %bb.3088:                             ;   in Loop: Header=BB2_2899 Depth=3
	v_bfrev_b32_e32 v42, 1
	s_mov_b32 s45, exec_lo
	v_cmpx_ne_u16_e32 0x80, v2
	s_cbranch_execz .LBB2_3094
; %bb.3089:                             ;   in Loop: Header=BB2_2899 Depth=3
	v_and_b32_e32 v44, 0x7f, v73
	v_mov_b32_e32 v42, 0x7f800001
	s_mov_b32 s74, exec_lo
	s_delay_alu instid0(VALU_DEP_2)
	v_cmpx_ne_u32_e32 0x7f, v44
	s_cbranch_execz .LBB2_3093
; %bb.3090:                             ;   in Loop: Header=BB2_2899 Depth=3
	v_dual_lshrrev_b32 v42, 3, v44 :: v_dual_bitop2_b32 v2, 7, v2 bitop3:0x40
	s_mov_b32 s75, exec_lo
	v_cmpx_gt_u32_e32 8, v44
; %bb.3091:                             ;   in Loop: Header=BB2_2899 Depth=3
	s_delay_alu instid0(VALU_DEP_2) | instskip(NEXT) | instid1(VALU_DEP_1)
	v_clz_i32_u32_e32 v18, v2
	v_min_u32_e32 v42, 32, v18
	s_delay_alu instid0(VALU_DEP_1) | instskip(SKIP_1) | instid1(VALU_DEP_2)
	v_subrev_nc_u32_e32 v18, 28, v42
	v_sub_nc_u32_e32 v42, 29, v42
	v_lshlrev_b64_e32 v[18:19], v18, v[2:3]
	s_delay_alu instid0(VALU_DEP_1)
	v_and_b32_e32 v2, 7, v18
; %bb.3092:                             ;   in Loop: Header=BB2_2899 Depth=3
	s_or_b32 exec_lo, exec_lo, s75
	s_delay_alu instid0(VALU_DEP_1) | instskip(SKIP_1) | instid1(VALU_DEP_2)
	v_dual_lshlrev_b32 v18, 24, v73 :: v_dual_lshlrev_b32 v2, 20, v2
	v_lshl_add_u32 v19, v42, 23, 0x3c000000
	v_and_b32_e32 v18, 0x80000000, v18
	s_delay_alu instid0(VALU_DEP_1)
	v_or3_b32 v42, v2, v18, v19
.LBB2_3093:                             ;   in Loop: Header=BB2_2899 Depth=3
	s_or_b32 exec_lo, exec_lo, s74
.LBB2_3094:                             ;   in Loop: Header=BB2_2899 Depth=3
	s_delay_alu instid0(SALU_CYCLE_1)
	s_or_b32 exec_lo, exec_lo, s45
.LBB2_3095:                             ;   in Loop: Header=BB2_2899 Depth=3
	s_delay_alu instid0(SALU_CYCLE_1) | instskip(NEXT) | instid1(VALU_DEP_1)
	s_or_b32 exec_lo, exec_lo, s13
	v_add_f32_e32 v42, v43, v42
                                        ; implicit-def: $vgpr73
	s_mov_b32 s13, exec_lo
	s_delay_alu instid0(VALU_DEP_1) | instskip(SKIP_1) | instid1(VALU_DEP_2)
	v_and_b32_e32 v2, 0x7f800000, v42
	v_lshrrev_b32_e32 v43, 24, v42
	v_cmpx_ne_u64_e32 0x7f800000, v[2:3]
	s_xor_b32 s45, exec_lo, s13
	s_cbranch_execz .LBB2_3113
; %bb.3096:                             ;   in Loop: Header=BB2_2899 Depth=3
	v_and_b32_e32 v2, 0x7fffffff, v42
	v_and_b32_e32 v92, 0x80, v43
                                        ; implicit-def: $vgpr73
	s_mov_b32 s13, exec_lo
	s_delay_alu instid0(VALU_DEP_2)
	v_cmpx_gt_u64_e32 0x43e00001, v[2:3]
	s_xor_b32 s74, exec_lo, s13
	s_cbranch_execz .LBB2_3110
; %bb.3097:                             ;   in Loop: Header=BB2_2899 Depth=3
	v_mov_b32_e32 v73, 0
	s_mov_b32 s75, exec_lo
	v_cmpx_ne_u32_e32 0, v42
	s_cbranch_execz .LBB2_3109
; %bb.3098:                             ;   in Loop: Header=BB2_2899 Depth=3
	v_bfe_u32 v73, v42, 23, 8
	s_delay_alu instid0(VALU_DEP_1) | instskip(SKIP_1) | instid1(VALU_DEP_2)
	v_sub_nc_u32_e32 v2, 0x79, v73
	v_cmp_gt_u32_e32 vcc_lo, 0x7a, v73
	v_cndmask_b32_e32 v2, 0, v2, vcc_lo
	v_cmp_eq_u32_e32 vcc_lo, 0, v73
	s_delay_alu instid0(VALU_DEP_2) | instskip(SKIP_1) | instid1(VALU_DEP_2)
	v_cndmask_b32_e64 v95, v2, 0x78, vcc_lo
	v_and_b32_e32 v2, 0x7fffff, v42
	v_add_nc_u32_e32 v18, 20, v95
	s_delay_alu instid0(VALU_DEP_2) | instskip(SKIP_1) | instid1(VALU_DEP_3)
	v_or_b32_e32 v42, 0x800000, v2
	v_add_nc_u32_e32 v43, 19, v95
	v_lshlrev_b64_e64 v[18:19], v18, -1
	s_delay_alu instid0(VALU_DEP_3) | instskip(NEXT) | instid1(VALU_DEP_3)
	v_cndmask_b32_e32 v2, v42, v2, vcc_lo
	v_lshlrev_b64_e64 v[44:45], v43, 1
	s_delay_alu instid0(VALU_DEP_2) | instskip(NEXT) | instid1(VALU_DEP_4)
	v_lshrrev_b64 v[42:43], v95, v[2:3]
	v_bfi_b32 v19, v19, 0, 0
	v_bfi_b32 v18, v18, 0, v2
	s_delay_alu instid0(VALU_DEP_1) | instskip(NEXT) | instid1(VALU_DEP_4)
	v_cmp_eq_u64_e64 s13, v[18:19], v[44:45]
	v_mov_b64_e32 v[44:45], v[42:43]
	s_and_saveexec_b32 s76, s13
; %bb.3099:                             ;   in Loop: Header=BB2_2899 Depth=3
	v_bfe_u32 v2, v42, 20, 1
	s_delay_alu instid0(VALU_DEP_1) | instskip(NEXT) | instid1(VALU_DEP_1)
	v_add_nc_u64_e32 v[18:19], v[42:43], v[2:3]
	v_add_nc_u64_e32 v[44:45], -1, v[18:19]
; %bb.3100:                             ;   in Loop: Header=BB2_2899 Depth=3
	s_or_b32 exec_lo, exec_lo, s76
	v_add_nc_u32_e32 v2, 0xffffff81, v73
	v_lshrrev_b32_e32 v18, 23, v42
	s_mov_b32 s13, exec_lo
	s_delay_alu instid0(VALU_DEP_2) | instskip(NEXT) | instid1(VALU_DEP_1)
	v_cndmask_b32_e64 v2, v2, 0xffffff82, vcc_lo
	v_add3_u32 v45, v95, v2, v18
	v_and_b32_e32 v2, 0xfffff, v44
                                        ; implicit-def: $vgpr44
	s_delay_alu instid0(VALU_DEP_1) | instskip(NEXT) | instid1(VALU_DEP_1)
	v_dual_add_nc_u32 v73, 6, v45 :: v_dual_add_nc_u32 v2, v2, v42
                                        ; implicit-def: $vgpr42_vgpr43
	v_cmpx_ne_u32_e32 0, v73
	s_xor_b32 s13, exec_lo, s13
; %bb.3101:                             ;   in Loop: Header=BB2_2899 Depth=3
	s_delay_alu instid0(VALU_DEP_2) | instskip(SKIP_1) | instid1(VALU_DEP_1)
	v_cmp_lt_u64_e32 vcc_lo, 0xffffff, v[2:3]
	v_add_nc_u32_e32 v18, 7, v45
	v_cndmask_b32_e32 v44, v73, v18, vcc_lo
	v_cndmask_b32_e64 v18, 0, 1, vcc_lo
	s_delay_alu instid0(VALU_DEP_1)
	v_lshrrev_b64 v[42:43], v18, v[2:3]
; %bb.3102:                             ;   in Loop: Header=BB2_2899 Depth=3
	s_and_not1_saveexec_b32 s13, s13
; %bb.3103:                             ;   in Loop: Header=BB2_2899 Depth=3
	v_mov_b64_e32 v[42:43], v[2:3]
	v_bfe_u32 v44, v2, 23, 1
; %bb.3104:                             ;   in Loop: Header=BB2_2899 Depth=3
	s_or_b32 exec_lo, exec_lo, s13
	s_delay_alu instid0(VALU_DEP_2) | instskip(NEXT) | instid1(VALU_DEP_2)
	v_lshrrev_b64 v[18:19], 20, v[42:43]
	v_cmp_gt_i32_e32 vcc_lo, 16, v44
	v_cmp_ne_u32_e64 s13, 0, v44
                                        ; implicit-def: $vgpr73
	s_delay_alu instid0(VALU_DEP_3) | instskip(NEXT) | instid1(VALU_DEP_1)
	v_dual_cndmask_b32 v43, 0, v19 :: v_dual_cndmask_b32 v42, 7, v18
	v_cmp_ne_u64_e32 vcc_lo, 0, v[42:43]
	s_or_b32 s13, s13, vcc_lo
	s_delay_alu instid0(SALU_CYCLE_1) | instskip(NEXT) | instid1(SALU_CYCLE_1)
	s_and_saveexec_b32 s76, s13
	s_xor_b32 s13, exec_lo, s76
; %bb.3105:                             ;   in Loop: Header=BB2_2899 Depth=3
	v_min_i32_e32 v2, 15, v44
	s_delay_alu instid0(VALU_DEP_1) | instskip(NEXT) | instid1(VALU_DEP_1)
	v_lshl_or_b32 v2, v2, 3, v92
                                        ; implicit-def: $vgpr92
	v_and_or_b32 v73, v42, 7, v2
; %bb.3106:                             ;   in Loop: Header=BB2_2899 Depth=3
	s_and_not1_saveexec_b32 s13, s13
; %bb.3107:                             ;   in Loop: Header=BB2_2899 Depth=3
	v_mov_b32_e32 v73, v92
; %bb.3108:                             ;   in Loop: Header=BB2_2899 Depth=3
	s_or_b32 exec_lo, exec_lo, s13
.LBB2_3109:                             ;   in Loop: Header=BB2_2899 Depth=3
	s_delay_alu instid0(SALU_CYCLE_1)
	s_or_b32 exec_lo, exec_lo, s75
                                        ; implicit-def: $vgpr92
.LBB2_3110:                             ;   in Loop: Header=BB2_2899 Depth=3
	s_and_not1_saveexec_b32 s13, s74
; %bb.3111:                             ;   in Loop: Header=BB2_2899 Depth=3
	v_or_b32_e32 v73, 0x7e, v92
; %bb.3112:                             ;   in Loop: Header=BB2_2899 Depth=3
	s_or_b32 exec_lo, exec_lo, s13
                                        ; implicit-def: $vgpr43
.LBB2_3113:                             ;   in Loop: Header=BB2_2899 Depth=3
	s_and_not1_saveexec_b32 s13, s45
; %bb.3114:                             ;   in Loop: Header=BB2_2899 Depth=3
	v_or_b32_e32 v73, 0x7f, v43
; %bb.3115:                             ;   in Loop: Header=BB2_2899 Depth=3
	s_or_b32 exec_lo, exec_lo, s13
	v_and_b32_e32 v2, 0xff, v72
	v_dual_mov_b32 v42, 0 :: v_dual_mov_b32 v43, 0
	s_mov_b32 s13, exec_lo
	s_delay_alu instid0(VALU_DEP_2)
	v_cmpx_ne_u16_e32 0, v2
	s_cbranch_execz .LBB2_3123
; %bb.3116:                             ;   in Loop: Header=BB2_2899 Depth=3
	v_bfrev_b32_e32 v43, 1
	s_mov_b32 s45, exec_lo
	v_cmpx_ne_u16_e32 0x80, v2
	s_cbranch_execz .LBB2_3122
; %bb.3117:                             ;   in Loop: Header=BB2_2899 Depth=3
	v_and_b32_e32 v44, 0x7f, v72
	v_mov_b32_e32 v43, 0x7f800001
	s_mov_b32 s74, exec_lo
	s_delay_alu instid0(VALU_DEP_2)
	v_cmpx_ne_u32_e32 0x7f, v44
	s_cbranch_execz .LBB2_3121
; %bb.3118:                             ;   in Loop: Header=BB2_2899 Depth=3
	v_dual_lshrrev_b32 v43, 3, v44 :: v_dual_bitop2_b32 v2, 7, v2 bitop3:0x40
	s_mov_b32 s75, exec_lo
	v_cmpx_gt_u32_e32 8, v44
; %bb.3119:                             ;   in Loop: Header=BB2_2899 Depth=3
	s_delay_alu instid0(VALU_DEP_2) | instskip(NEXT) | instid1(VALU_DEP_1)
	v_clz_i32_u32_e32 v18, v2
	v_min_u32_e32 v43, 32, v18
	s_delay_alu instid0(VALU_DEP_1) | instskip(NEXT) | instid1(VALU_DEP_1)
	v_subrev_nc_u32_e32 v18, 28, v43
	v_lshlrev_b64_e32 v[18:19], v18, v[2:3]
	s_delay_alu instid0(VALU_DEP_1)
	v_dual_sub_nc_u32 v43, 29, v43 :: v_dual_bitop2_b32 v2, 7, v18 bitop3:0x40
; %bb.3120:                             ;   in Loop: Header=BB2_2899 Depth=3
	s_or_b32 exec_lo, exec_lo, s75
	s_delay_alu instid0(VALU_DEP_1) | instskip(NEXT) | instid1(VALU_DEP_2)
	v_dual_lshlrev_b32 v18, 24, v72 :: v_dual_lshlrev_b32 v2, 20, v2
	v_lshl_add_u32 v19, v43, 23, 0x3c000000
	s_delay_alu instid0(VALU_DEP_2) | instskip(NEXT) | instid1(VALU_DEP_1)
	v_and_b32_e32 v18, 0x80000000, v18
	v_or3_b32 v43, v2, v18, v19
.LBB2_3121:                             ;   in Loop: Header=BB2_2899 Depth=3
	s_or_b32 exec_lo, exec_lo, s74
.LBB2_3122:                             ;   in Loop: Header=BB2_2899 Depth=3
	s_delay_alu instid0(SALU_CYCLE_1)
	s_or_b32 exec_lo, exec_lo, s45
.LBB2_3123:                             ;   in Loop: Header=BB2_2899 Depth=3
	s_delay_alu instid0(SALU_CYCLE_1) | instskip(SKIP_3) | instid1(VALU_DEP_1)
	s_or_b32 exec_lo, exec_lo, s13
	s_wait_loadcnt_dscnt 0x101
	v_and_b32_e32 v2, 0xff, v62
	s_mov_b32 s13, exec_lo
	v_cmpx_ne_u16_e32 0, v2
	s_cbranch_execz .LBB2_3131
; %bb.3124:                             ;   in Loop: Header=BB2_2899 Depth=3
	v_bfrev_b32_e32 v42, 1
	s_mov_b32 s45, exec_lo
	v_cmpx_ne_u16_e32 0x80, v2
	s_cbranch_execz .LBB2_3130
; %bb.3125:                             ;   in Loop: Header=BB2_2899 Depth=3
	v_and_b32_e32 v44, 0x7f, v62
	v_mov_b32_e32 v42, 0x7f800001
	s_mov_b32 s74, exec_lo
	s_delay_alu instid0(VALU_DEP_2)
	v_cmpx_ne_u32_e32 0x7f, v44
	s_cbranch_execz .LBB2_3129
; %bb.3126:                             ;   in Loop: Header=BB2_2899 Depth=3
	v_dual_lshrrev_b32 v42, 3, v44 :: v_dual_bitop2_b32 v2, 7, v2 bitop3:0x40
	s_mov_b32 s75, exec_lo
	v_cmpx_gt_u32_e32 8, v44
; %bb.3127:                             ;   in Loop: Header=BB2_2899 Depth=3
	s_delay_alu instid0(VALU_DEP_2) | instskip(NEXT) | instid1(VALU_DEP_1)
	v_clz_i32_u32_e32 v18, v2
	v_min_u32_e32 v42, 32, v18
	s_delay_alu instid0(VALU_DEP_1) | instskip(SKIP_1) | instid1(VALU_DEP_2)
	v_subrev_nc_u32_e32 v18, 28, v42
	v_sub_nc_u32_e32 v42, 29, v42
	v_lshlrev_b64_e32 v[18:19], v18, v[2:3]
	s_delay_alu instid0(VALU_DEP_1)
	v_and_b32_e32 v2, 7, v18
; %bb.3128:                             ;   in Loop: Header=BB2_2899 Depth=3
	s_or_b32 exec_lo, exec_lo, s75
	v_lshlrev_b32_e32 v18, 24, v62
	s_delay_alu instid0(VALU_DEP_2) | instskip(SKIP_1) | instid1(VALU_DEP_3)
	v_lshlrev_b32_e32 v2, 20, v2
	v_lshl_add_u32 v19, v42, 23, 0x3c000000
	v_and_b32_e32 v18, 0x80000000, v18
	s_delay_alu instid0(VALU_DEP_1)
	v_or3_b32 v42, v2, v18, v19
.LBB2_3129:                             ;   in Loop: Header=BB2_2899 Depth=3
	s_or_b32 exec_lo, exec_lo, s74
.LBB2_3130:                             ;   in Loop: Header=BB2_2899 Depth=3
	s_delay_alu instid0(SALU_CYCLE_1)
	s_or_b32 exec_lo, exec_lo, s45
.LBB2_3131:                             ;   in Loop: Header=BB2_2899 Depth=3
	s_delay_alu instid0(SALU_CYCLE_1) | instskip(NEXT) | instid1(VALU_DEP_1)
	s_or_b32 exec_lo, exec_lo, s13
	v_add_f32_e32 v42, v43, v42
                                        ; implicit-def: $vgpr62
	s_mov_b32 s13, exec_lo
	s_delay_alu instid0(VALU_DEP_1) | instskip(SKIP_1) | instid1(VALU_DEP_2)
	v_and_b32_e32 v2, 0x7f800000, v42
	v_lshrrev_b32_e32 v43, 24, v42
	v_cmpx_ne_u64_e32 0x7f800000, v[2:3]
	s_xor_b32 s45, exec_lo, s13
	s_cbranch_execz .LBB2_3149
; %bb.3132:                             ;   in Loop: Header=BB2_2899 Depth=3
	v_and_b32_e32 v2, 0x7fffffff, v42
	v_and_b32_e32 v72, 0x80, v43
                                        ; implicit-def: $vgpr62
	s_mov_b32 s13, exec_lo
	s_delay_alu instid0(VALU_DEP_2)
	v_cmpx_gt_u64_e32 0x43e00001, v[2:3]
	s_xor_b32 s74, exec_lo, s13
	s_cbranch_execz .LBB2_3146
; %bb.3133:                             ;   in Loop: Header=BB2_2899 Depth=3
	v_mov_b32_e32 v62, 0
	s_mov_b32 s75, exec_lo
	v_cmpx_ne_u32_e32 0, v42
	s_cbranch_execz .LBB2_3145
; %bb.3134:                             ;   in Loop: Header=BB2_2899 Depth=3
	v_bfe_u32 v62, v42, 23, 8
	s_delay_alu instid0(VALU_DEP_1) | instskip(SKIP_1) | instid1(VALU_DEP_2)
	v_sub_nc_u32_e32 v2, 0x79, v62
	v_cmp_gt_u32_e32 vcc_lo, 0x7a, v62
	v_cndmask_b32_e32 v2, 0, v2, vcc_lo
	v_cmp_eq_u32_e32 vcc_lo, 0, v62
	s_delay_alu instid0(VALU_DEP_2) | instskip(SKIP_1) | instid1(VALU_DEP_2)
	v_cndmask_b32_e64 v92, v2, 0x78, vcc_lo
	v_and_b32_e32 v2, 0x7fffff, v42
	v_add_nc_u32_e32 v18, 20, v92
	s_delay_alu instid0(VALU_DEP_2) | instskip(SKIP_1) | instid1(VALU_DEP_3)
	v_or_b32_e32 v42, 0x800000, v2
	v_add_nc_u32_e32 v43, 19, v92
	v_lshlrev_b64_e64 v[18:19], v18, -1
	s_delay_alu instid0(VALU_DEP_3) | instskip(NEXT) | instid1(VALU_DEP_3)
	v_cndmask_b32_e32 v2, v42, v2, vcc_lo
	v_lshlrev_b64_e64 v[44:45], v43, 1
	s_delay_alu instid0(VALU_DEP_2) | instskip(NEXT) | instid1(VALU_DEP_4)
	v_lshrrev_b64 v[42:43], v92, v[2:3]
	v_bfi_b32 v19, v19, 0, 0
	v_bfi_b32 v18, v18, 0, v2
	s_delay_alu instid0(VALU_DEP_1) | instskip(NEXT) | instid1(VALU_DEP_4)
	v_cmp_eq_u64_e64 s13, v[18:19], v[44:45]
	v_mov_b64_e32 v[44:45], v[42:43]
	s_and_saveexec_b32 s76, s13
; %bb.3135:                             ;   in Loop: Header=BB2_2899 Depth=3
	v_bfe_u32 v2, v42, 20, 1
	s_delay_alu instid0(VALU_DEP_1) | instskip(NEXT) | instid1(VALU_DEP_1)
	v_add_nc_u64_e32 v[18:19], v[42:43], v[2:3]
	v_add_nc_u64_e32 v[44:45], -1, v[18:19]
; %bb.3136:                             ;   in Loop: Header=BB2_2899 Depth=3
	s_or_b32 exec_lo, exec_lo, s76
	v_add_nc_u32_e32 v2, 0xffffff81, v62
	v_lshrrev_b32_e32 v18, 23, v42
	s_mov_b32 s13, exec_lo
	s_delay_alu instid0(VALU_DEP_2) | instskip(NEXT) | instid1(VALU_DEP_1)
	v_cndmask_b32_e64 v2, v2, 0xffffff82, vcc_lo
	v_add3_u32 v45, v92, v2, v18
	v_and_b32_e32 v2, 0xfffff, v44
                                        ; implicit-def: $vgpr44
	s_delay_alu instid0(VALU_DEP_1) | instskip(NEXT) | instid1(VALU_DEP_1)
	v_dual_add_nc_u32 v62, 6, v45 :: v_dual_add_nc_u32 v2, v2, v42
                                        ; implicit-def: $vgpr42_vgpr43
	v_cmpx_ne_u32_e32 0, v62
	s_xor_b32 s13, exec_lo, s13
; %bb.3137:                             ;   in Loop: Header=BB2_2899 Depth=3
	s_delay_alu instid0(VALU_DEP_2) | instskip(SKIP_1) | instid1(VALU_DEP_1)
	v_cmp_lt_u64_e32 vcc_lo, 0xffffff, v[2:3]
	v_add_nc_u32_e32 v18, 7, v45
	v_cndmask_b32_e32 v44, v62, v18, vcc_lo
	v_cndmask_b32_e64 v18, 0, 1, vcc_lo
	s_delay_alu instid0(VALU_DEP_1)
	v_lshrrev_b64 v[42:43], v18, v[2:3]
; %bb.3138:                             ;   in Loop: Header=BB2_2899 Depth=3
	s_and_not1_saveexec_b32 s13, s13
; %bb.3139:                             ;   in Loop: Header=BB2_2899 Depth=3
	v_mov_b64_e32 v[42:43], v[2:3]
	v_bfe_u32 v44, v2, 23, 1
; %bb.3140:                             ;   in Loop: Header=BB2_2899 Depth=3
	s_or_b32 exec_lo, exec_lo, s13
	s_delay_alu instid0(VALU_DEP_2) | instskip(NEXT) | instid1(VALU_DEP_2)
	v_lshrrev_b64 v[18:19], 20, v[42:43]
	v_cmp_gt_i32_e32 vcc_lo, 16, v44
	v_cmp_ne_u32_e64 s13, 0, v44
                                        ; implicit-def: $vgpr62
	s_delay_alu instid0(VALU_DEP_3) | instskip(NEXT) | instid1(VALU_DEP_1)
	v_dual_cndmask_b32 v43, 0, v19 :: v_dual_cndmask_b32 v42, 7, v18
	v_cmp_ne_u64_e32 vcc_lo, 0, v[42:43]
	s_or_b32 s13, s13, vcc_lo
	s_delay_alu instid0(SALU_CYCLE_1) | instskip(NEXT) | instid1(SALU_CYCLE_1)
	s_and_saveexec_b32 s76, s13
	s_xor_b32 s13, exec_lo, s76
; %bb.3141:                             ;   in Loop: Header=BB2_2899 Depth=3
	v_min_i32_e32 v2, 15, v44
	s_delay_alu instid0(VALU_DEP_1) | instskip(NEXT) | instid1(VALU_DEP_1)
	v_lshl_or_b32 v2, v2, 3, v72
                                        ; implicit-def: $vgpr72
	v_and_or_b32 v62, v42, 7, v2
; %bb.3142:                             ;   in Loop: Header=BB2_2899 Depth=3
	s_and_not1_saveexec_b32 s13, s13
; %bb.3143:                             ;   in Loop: Header=BB2_2899 Depth=3
	v_mov_b32_e32 v62, v72
; %bb.3144:                             ;   in Loop: Header=BB2_2899 Depth=3
	s_or_b32 exec_lo, exec_lo, s13
.LBB2_3145:                             ;   in Loop: Header=BB2_2899 Depth=3
	s_delay_alu instid0(SALU_CYCLE_1)
	s_or_b32 exec_lo, exec_lo, s75
                                        ; implicit-def: $vgpr72
.LBB2_3146:                             ;   in Loop: Header=BB2_2899 Depth=3
	s_and_not1_saveexec_b32 s13, s74
; %bb.3147:                             ;   in Loop: Header=BB2_2899 Depth=3
	v_or_b32_e32 v62, 0x7e, v72
; %bb.3148:                             ;   in Loop: Header=BB2_2899 Depth=3
	s_or_b32 exec_lo, exec_lo, s13
                                        ; implicit-def: $vgpr43
.LBB2_3149:                             ;   in Loop: Header=BB2_2899 Depth=3
	s_and_not1_saveexec_b32 s13, s45
; %bb.3150:                             ;   in Loop: Header=BB2_2899 Depth=3
	v_or_b32_e32 v62, 0x7f, v43
; %bb.3151:                             ;   in Loop: Header=BB2_2899 Depth=3
	s_or_b32 exec_lo, exec_lo, s13
	v_and_b32_e32 v2, 0xff, v61
	v_dual_mov_b32 v42, 0 :: v_dual_mov_b32 v43, 0
	s_mov_b32 s13, exec_lo
	s_delay_alu instid0(VALU_DEP_2)
	v_cmpx_ne_u16_e32 0, v2
	s_cbranch_execz .LBB2_3159
; %bb.3152:                             ;   in Loop: Header=BB2_2899 Depth=3
	v_bfrev_b32_e32 v43, 1
	s_mov_b32 s45, exec_lo
	v_cmpx_ne_u16_e32 0x80, v2
	s_cbranch_execz .LBB2_3158
; %bb.3153:                             ;   in Loop: Header=BB2_2899 Depth=3
	v_and_b32_e32 v44, 0x7f, v61
	v_mov_b32_e32 v43, 0x7f800001
	s_mov_b32 s74, exec_lo
	s_delay_alu instid0(VALU_DEP_2)
	v_cmpx_ne_u32_e32 0x7f, v44
	s_cbranch_execz .LBB2_3157
; %bb.3154:                             ;   in Loop: Header=BB2_2899 Depth=3
	v_dual_lshrrev_b32 v43, 3, v44 :: v_dual_bitop2_b32 v2, 7, v2 bitop3:0x40
	s_mov_b32 s75, exec_lo
	v_cmpx_gt_u32_e32 8, v44
; %bb.3155:                             ;   in Loop: Header=BB2_2899 Depth=3
	s_delay_alu instid0(VALU_DEP_2) | instskip(NEXT) | instid1(VALU_DEP_1)
	v_clz_i32_u32_e32 v18, v2
	v_min_u32_e32 v43, 32, v18
	s_delay_alu instid0(VALU_DEP_1) | instskip(NEXT) | instid1(VALU_DEP_1)
	v_subrev_nc_u32_e32 v18, 28, v43
	v_lshlrev_b64_e32 v[18:19], v18, v[2:3]
	s_delay_alu instid0(VALU_DEP_1)
	v_dual_sub_nc_u32 v43, 29, v43 :: v_dual_bitop2_b32 v2, 7, v18 bitop3:0x40
; %bb.3156:                             ;   in Loop: Header=BB2_2899 Depth=3
	s_or_b32 exec_lo, exec_lo, s75
	s_delay_alu instid0(VALU_DEP_1) | instskip(NEXT) | instid1(VALU_DEP_2)
	v_dual_lshlrev_b32 v18, 24, v61 :: v_dual_lshlrev_b32 v2, 20, v2
	v_lshl_add_u32 v19, v43, 23, 0x3c000000
	s_delay_alu instid0(VALU_DEP_2) | instskip(NEXT) | instid1(VALU_DEP_1)
	v_and_b32_e32 v18, 0x80000000, v18
	v_or3_b32 v43, v2, v18, v19
.LBB2_3157:                             ;   in Loop: Header=BB2_2899 Depth=3
	s_or_b32 exec_lo, exec_lo, s74
.LBB2_3158:                             ;   in Loop: Header=BB2_2899 Depth=3
	s_delay_alu instid0(SALU_CYCLE_1)
	s_or_b32 exec_lo, exec_lo, s45
.LBB2_3159:                             ;   in Loop: Header=BB2_2899 Depth=3
	s_delay_alu instid0(SALU_CYCLE_1) | instskip(SKIP_3) | instid1(VALU_DEP_1)
	s_or_b32 exec_lo, exec_lo, s13
	s_wait_loadcnt_dscnt 0x0
	v_and_b32_e32 v2, 0xff, v59
	s_mov_b32 s13, exec_lo
	v_cmpx_ne_u16_e32 0, v2
	s_cbranch_execz .LBB2_3167
; %bb.3160:                             ;   in Loop: Header=BB2_2899 Depth=3
	v_bfrev_b32_e32 v42, 1
	s_mov_b32 s45, exec_lo
	v_cmpx_ne_u16_e32 0x80, v2
	s_cbranch_execz .LBB2_3166
; %bb.3161:                             ;   in Loop: Header=BB2_2899 Depth=3
	v_and_b32_e32 v44, 0x7f, v59
	v_mov_b32_e32 v42, 0x7f800001
	s_mov_b32 s74, exec_lo
	s_delay_alu instid0(VALU_DEP_2)
	v_cmpx_ne_u32_e32 0x7f, v44
	s_cbranch_execz .LBB2_3165
; %bb.3162:                             ;   in Loop: Header=BB2_2899 Depth=3
	v_dual_lshrrev_b32 v42, 3, v44 :: v_dual_bitop2_b32 v2, 7, v2 bitop3:0x40
	s_mov_b32 s75, exec_lo
	v_cmpx_gt_u32_e32 8, v44
; %bb.3163:                             ;   in Loop: Header=BB2_2899 Depth=3
	s_delay_alu instid0(VALU_DEP_2) | instskip(NEXT) | instid1(VALU_DEP_1)
	v_clz_i32_u32_e32 v18, v2
	v_min_u32_e32 v42, 32, v18
	s_delay_alu instid0(VALU_DEP_1) | instskip(SKIP_1) | instid1(VALU_DEP_2)
	v_subrev_nc_u32_e32 v18, 28, v42
	v_sub_nc_u32_e32 v42, 29, v42
	v_lshlrev_b64_e32 v[18:19], v18, v[2:3]
	s_delay_alu instid0(VALU_DEP_1)
	v_and_b32_e32 v2, 7, v18
; %bb.3164:                             ;   in Loop: Header=BB2_2899 Depth=3
	s_or_b32 exec_lo, exec_lo, s75
	s_delay_alu instid0(VALU_DEP_1) | instskip(SKIP_1) | instid1(VALU_DEP_2)
	v_dual_lshlrev_b32 v18, 24, v59 :: v_dual_lshlrev_b32 v2, 20, v2
	v_lshl_add_u32 v19, v42, 23, 0x3c000000
	v_and_b32_e32 v18, 0x80000000, v18
	s_delay_alu instid0(VALU_DEP_1)
	v_or3_b32 v42, v2, v18, v19
.LBB2_3165:                             ;   in Loop: Header=BB2_2899 Depth=3
	s_or_b32 exec_lo, exec_lo, s74
.LBB2_3166:                             ;   in Loop: Header=BB2_2899 Depth=3
	s_delay_alu instid0(SALU_CYCLE_1)
	s_or_b32 exec_lo, exec_lo, s45
.LBB2_3167:                             ;   in Loop: Header=BB2_2899 Depth=3
	s_delay_alu instid0(SALU_CYCLE_1) | instskip(NEXT) | instid1(VALU_DEP_1)
	s_or_b32 exec_lo, exec_lo, s13
	v_add_f32_e32 v42, v43, v42
	s_delay_alu instid0(VALU_DEP_1) | instskip(SKIP_1) | instid1(VALU_DEP_2)
	v_and_b32_e32 v2, 0x7f800000, v42
	v_lshrrev_b32_e32 v43, 24, v42
	v_cmp_ne_u64_e32 vcc_lo, 0x7f800000, v[2:3]
                                        ; implicit-def: $vgpr2
	s_and_saveexec_b32 s13, vcc_lo
	s_delay_alu instid0(SALU_CYCLE_1)
	s_xor_b32 s45, exec_lo, s13
	s_cbranch_execz .LBB2_3185
; %bb.3168:                             ;   in Loop: Header=BB2_2899 Depth=3
	v_and_b32_e32 v2, 0x7fffffff, v42
	v_and_b32_e32 v59, 0x80, v43
	s_delay_alu instid0(VALU_DEP_2) | instskip(SKIP_1) | instid1(SALU_CYCLE_1)
	v_cmp_gt_u64_e32 vcc_lo, 0x43e00001, v[2:3]
                                        ; implicit-def: $vgpr2
	s_and_saveexec_b32 s13, vcc_lo
	s_xor_b32 s74, exec_lo, s13
	s_cbranch_execz .LBB2_3182
; %bb.3169:                             ;   in Loop: Header=BB2_2899 Depth=3
	v_mov_b32_e32 v2, 0
	s_mov_b32 s75, exec_lo
	v_cmpx_ne_u32_e32 0, v42
	s_cbranch_execz .LBB2_3181
; %bb.3170:                             ;   in Loop: Header=BB2_2899 Depth=3
	v_bfe_u32 v61, v42, 23, 8
	s_delay_alu instid0(VALU_DEP_1) | instskip(SKIP_1) | instid1(VALU_DEP_2)
	v_sub_nc_u32_e32 v2, 0x79, v61
	v_cmp_gt_u32_e32 vcc_lo, 0x7a, v61
	v_cndmask_b32_e32 v2, 0, v2, vcc_lo
	v_cmp_eq_u32_e32 vcc_lo, 0, v61
	s_delay_alu instid0(VALU_DEP_2) | instskip(SKIP_1) | instid1(VALU_DEP_2)
	v_cndmask_b32_e64 v72, v2, 0x78, vcc_lo
	v_and_b32_e32 v2, 0x7fffff, v42
	v_add_nc_u32_e32 v18, 20, v72
	s_delay_alu instid0(VALU_DEP_2) | instskip(SKIP_1) | instid1(VALU_DEP_3)
	v_or_b32_e32 v42, 0x800000, v2
	v_add_nc_u32_e32 v43, 19, v72
	v_lshlrev_b64_e64 v[18:19], v18, -1
	s_delay_alu instid0(VALU_DEP_3) | instskip(NEXT) | instid1(VALU_DEP_3)
	v_cndmask_b32_e32 v2, v42, v2, vcc_lo
	v_lshlrev_b64_e64 v[44:45], v43, 1
	s_delay_alu instid0(VALU_DEP_2) | instskip(NEXT) | instid1(VALU_DEP_4)
	v_lshrrev_b64 v[42:43], v72, v[2:3]
	v_bfi_b32 v19, v19, 0, 0
	v_bfi_b32 v18, v18, 0, v2
	s_delay_alu instid0(VALU_DEP_1) | instskip(NEXT) | instid1(VALU_DEP_4)
	v_cmp_eq_u64_e64 s13, v[18:19], v[44:45]
	v_mov_b64_e32 v[44:45], v[42:43]
	s_and_saveexec_b32 s76, s13
; %bb.3171:                             ;   in Loop: Header=BB2_2899 Depth=3
	v_bfe_u32 v2, v42, 20, 1
	s_delay_alu instid0(VALU_DEP_1) | instskip(NEXT) | instid1(VALU_DEP_1)
	v_add_nc_u64_e32 v[18:19], v[42:43], v[2:3]
	v_add_nc_u64_e32 v[44:45], -1, v[18:19]
; %bb.3172:                             ;   in Loop: Header=BB2_2899 Depth=3
	s_or_b32 exec_lo, exec_lo, s76
	v_add_nc_u32_e32 v2, 0xffffff81, v61
	v_lshrrev_b32_e32 v18, 23, v42
	s_mov_b32 s13, exec_lo
	s_delay_alu instid0(VALU_DEP_2) | instskip(NEXT) | instid1(VALU_DEP_1)
	v_cndmask_b32_e64 v2, v2, 0xffffff82, vcc_lo
	v_add3_u32 v45, v72, v2, v18
	v_and_b32_e32 v2, 0xfffff, v44
                                        ; implicit-def: $vgpr44
	s_delay_alu instid0(VALU_DEP_1) | instskip(NEXT) | instid1(VALU_DEP_1)
	v_dual_add_nc_u32 v61, 6, v45 :: v_dual_add_nc_u32 v2, v2, v42
                                        ; implicit-def: $vgpr42_vgpr43
	v_cmpx_ne_u32_e32 0, v61
	s_xor_b32 s13, exec_lo, s13
; %bb.3173:                             ;   in Loop: Header=BB2_2899 Depth=3
	s_delay_alu instid0(VALU_DEP_2) | instskip(SKIP_1) | instid1(VALU_DEP_1)
	v_cmp_lt_u64_e32 vcc_lo, 0xffffff, v[2:3]
	v_add_nc_u32_e32 v18, 7, v45
	v_cndmask_b32_e32 v44, v61, v18, vcc_lo
	v_cndmask_b32_e64 v18, 0, 1, vcc_lo
	s_delay_alu instid0(VALU_DEP_1)
	v_lshrrev_b64 v[42:43], v18, v[2:3]
; %bb.3174:                             ;   in Loop: Header=BB2_2899 Depth=3
	s_and_not1_saveexec_b32 s13, s13
; %bb.3175:                             ;   in Loop: Header=BB2_2899 Depth=3
	v_mov_b64_e32 v[42:43], v[2:3]
	v_bfe_u32 v44, v2, 23, 1
; %bb.3176:                             ;   in Loop: Header=BB2_2899 Depth=3
	s_or_b32 exec_lo, exec_lo, s13
	s_delay_alu instid0(VALU_DEP_2) | instskip(NEXT) | instid1(VALU_DEP_2)
	v_lshrrev_b64 v[18:19], 20, v[42:43]
	v_cmp_gt_i32_e32 vcc_lo, 16, v44
	v_cmp_ne_u32_e64 s13, 0, v44
                                        ; implicit-def: $vgpr2
	s_delay_alu instid0(VALU_DEP_3) | instskip(NEXT) | instid1(VALU_DEP_1)
	v_dual_cndmask_b32 v43, 0, v19 :: v_dual_cndmask_b32 v42, 7, v18
	v_cmp_ne_u64_e32 vcc_lo, 0, v[42:43]
	s_or_b32 s13, s13, vcc_lo
	s_delay_alu instid0(SALU_CYCLE_1) | instskip(NEXT) | instid1(SALU_CYCLE_1)
	s_and_saveexec_b32 s76, s13
	s_xor_b32 s13, exec_lo, s76
; %bb.3177:                             ;   in Loop: Header=BB2_2899 Depth=3
	v_min_i32_e32 v2, 15, v44
	s_delay_alu instid0(VALU_DEP_1) | instskip(NEXT) | instid1(VALU_DEP_1)
	v_lshl_or_b32 v2, v2, 3, v59
                                        ; implicit-def: $vgpr59
	v_and_or_b32 v2, v42, 7, v2
; %bb.3178:                             ;   in Loop: Header=BB2_2899 Depth=3
	s_and_not1_saveexec_b32 s13, s13
; %bb.3179:                             ;   in Loop: Header=BB2_2899 Depth=3
	v_mov_b32_e32 v2, v59
; %bb.3180:                             ;   in Loop: Header=BB2_2899 Depth=3
	s_or_b32 exec_lo, exec_lo, s13
.LBB2_3181:                             ;   in Loop: Header=BB2_2899 Depth=3
	s_delay_alu instid0(SALU_CYCLE_1)
	s_or_b32 exec_lo, exec_lo, s75
                                        ; implicit-def: $vgpr59
.LBB2_3182:                             ;   in Loop: Header=BB2_2899 Depth=3
	s_and_not1_saveexec_b32 s13, s74
; %bb.3183:                             ;   in Loop: Header=BB2_2899 Depth=3
	v_or_b32_e32 v2, 0x7e, v59
; %bb.3184:                             ;   in Loop: Header=BB2_2899 Depth=3
	s_or_b32 exec_lo, exec_lo, s13
                                        ; implicit-def: $vgpr43
.LBB2_3185:                             ;   in Loop: Header=BB2_2899 Depth=3
	s_and_not1_saveexec_b32 s13, s45
	s_cbranch_execz .LBB2_2898
; %bb.3186:                             ;   in Loop: Header=BB2_2899 Depth=3
	v_or_b32_e32 v2, 0x7f, v43
	s_branch .LBB2_2898
.LBB2_3187:                             ;   in Loop: Header=BB2_1811 Depth=2
	s_or_b32 exec_lo, exec_lo, s44
.LBB2_3188:                             ;   in Loop: Header=BB2_1811 Depth=2
	s_delay_alu instid0(SALU_CYCLE_1) | instskip(SKIP_1) | instid1(VALU_DEP_1)
	s_or_b32 exec_lo, exec_lo, s14
	v_lshlrev_b32_e32 v2, 8, v58
	v_cmp_ne_u32_e32 vcc_lo, v47, v2
	s_and_b32 exec_lo, exec_lo, vcc_lo
	s_cbranch_execz .LBB2_3230
; %bb.3189:                             ;   in Loop: Header=BB2_1811 Depth=2
	v_dual_add_nc_u32 v8, v56, v57 :: v_dual_lshlrev_b32 v9, 5, v115
	s_delay_alu instid0(VALU_DEP_1) | instskip(NEXT) | instid1(VALU_DEP_1)
	v_and_b32_e32 v8, 0xffffffe0, v8
	v_sub_nc_u32_e32 v8, v56, v8
	s_delay_alu instid0(VALU_DEP_1) | instskip(NEXT) | instid1(VALU_DEP_1)
	v_sub_nc_u32_e32 v8, v8, v9
	v_add_nc_u32_e32 v2, v2, v8
	s_delay_alu instid0(VALU_DEP_1) | instskip(NEXT) | instid1(VALU_DEP_1)
	v_sub_nc_u32_e32 v115, v47, v2
	v_cmp_lt_i32_e32 vcc_lo, 0, v115
	s_and_b32 exec_lo, exec_lo, vcc_lo
	s_cbranch_execz .LBB2_3230
; %bb.3190:                             ;   in Loop: Header=BB2_1811 Depth=2
	s_trap 2
	ds_load_b128 v[8:11], v0
	v_add_nc_u32_e32 v12, v2, v46
	s_mov_b32 s74, 0
	s_delay_alu instid0(VALU_DEP_1) | instskip(SKIP_1) | instid1(VALU_DEP_1)
	v_ashrrev_i32_e32 v13, 31, v12
	s_wait_dscnt 0x0
	v_add_nc_u64_e32 v[8:9], v[8:9], v[12:13]
	v_add_nc_u64_e32 v[10:11], v[10:11], v[12:13]
	s_delay_alu instid0(VALU_DEP_2) | instskip(NEXT) | instid1(VALU_DEP_2)
	v_mov_b64_e32 v[12:13], v[8:9]
	v_mov_b64_e32 v[14:15], v[10:11]
.LBB2_3191:                             ;   Parent Loop BB2_47 Depth=1
                                        ;     Parent Loop BB2_1811 Depth=2
                                        ; =>    This Loop Header: Depth=3
                                        ;         Child Loop BB2_3228 Depth 4
	flat_load_u8 v45, v[12:13] th:TH_LOAD_NT
	flat_load_u8 v42, v[14:15] th:TH_LOAD_NT
	v_dual_mov_b32 v43, 0 :: v_dual_mov_b32 v44, 0
	s_mov_b32 s13, exec_lo
	s_wait_loadcnt_dscnt 0x101
	s_wait_xcnt 0x0
	v_cmpx_ne_u16_e32 0, v45
	s_cbranch_execz .LBB2_3199
; %bb.3192:                             ;   in Loop: Header=BB2_3191 Depth=3
	v_bfrev_b32_e32 v44, 1
	s_mov_b32 s14, exec_lo
	v_cmpx_ne_u16_e32 0x80, v45
	s_cbranch_execz .LBB2_3198
; %bb.3193:                             ;   in Loop: Header=BB2_3191 Depth=3
	v_and_b32_e32 v2, 0xffff, v45
	v_mov_b32_e32 v44, 0x7f800001
	s_mov_b32 s44, exec_lo
	s_delay_alu instid0(VALU_DEP_2) | instskip(NEXT) | instid1(VALU_DEP_1)
	v_and_b32_e32 v46, 0x7f, v2
	v_cmpx_ne_u32_e32 0x7f, v46
	s_cbranch_execz .LBB2_3197
; %bb.3194:                             ;   in Loop: Header=BB2_3191 Depth=3
	v_and_b32_e32 v2, 7, v2
	v_lshrrev_b32_e32 v44, 3, v46
	s_mov_b32 s45, exec_lo
	v_cmpx_gt_u32_e32 8, v46
; %bb.3195:                             ;   in Loop: Header=BB2_3191 Depth=3
	s_delay_alu instid0(VALU_DEP_3) | instskip(NEXT) | instid1(VALU_DEP_1)
	v_clz_i32_u32_e32 v18, v2
	v_min_u32_e32 v44, 32, v18
	s_delay_alu instid0(VALU_DEP_1) | instskip(NEXT) | instid1(VALU_DEP_1)
	v_subrev_nc_u32_e32 v18, 28, v44
	v_lshlrev_b64_e32 v[18:19], v18, v[2:3]
	s_delay_alu instid0(VALU_DEP_1)
	v_dual_sub_nc_u32 v44, 29, v44 :: v_dual_bitop2_b32 v2, 7, v18 bitop3:0x40
; %bb.3196:                             ;   in Loop: Header=BB2_3191 Depth=3
	s_or_b32 exec_lo, exec_lo, s45
	s_delay_alu instid0(VALU_DEP_1) | instskip(NEXT) | instid1(VALU_DEP_2)
	v_dual_lshlrev_b32 v18, 24, v45 :: v_dual_lshlrev_b32 v2, 20, v2
	v_lshl_add_u32 v19, v44, 23, 0x3c000000
	s_delay_alu instid0(VALU_DEP_2) | instskip(NEXT) | instid1(VALU_DEP_1)
	v_and_b32_e32 v18, 0x80000000, v18
	v_or3_b32 v44, v2, v18, v19
.LBB2_3197:                             ;   in Loop: Header=BB2_3191 Depth=3
	s_or_b32 exec_lo, exec_lo, s44
.LBB2_3198:                             ;   in Loop: Header=BB2_3191 Depth=3
	s_delay_alu instid0(SALU_CYCLE_1)
	s_or_b32 exec_lo, exec_lo, s14
.LBB2_3199:                             ;   in Loop: Header=BB2_3191 Depth=3
	s_delay_alu instid0(SALU_CYCLE_1) | instskip(SKIP_3) | instid1(VALU_DEP_1)
	s_or_b32 exec_lo, exec_lo, s13
	s_wait_loadcnt_dscnt 0x0
	v_and_b32_e32 v2, 0xff, v42
	s_mov_b32 s13, exec_lo
	v_cmpx_ne_u16_e32 0, v2
	s_cbranch_execz .LBB2_3207
; %bb.3200:                             ;   in Loop: Header=BB2_3191 Depth=3
	v_bfrev_b32_e32 v43, 1
	s_mov_b32 s14, exec_lo
	v_cmpx_ne_u16_e32 0x80, v2
	s_cbranch_execz .LBB2_3206
; %bb.3201:                             ;   in Loop: Header=BB2_3191 Depth=3
	v_and_b32_e32 v45, 0x7f, v42
	v_mov_b32_e32 v43, 0x7f800001
	s_mov_b32 s44, exec_lo
	s_delay_alu instid0(VALU_DEP_2)
	v_cmpx_ne_u32_e32 0x7f, v45
	s_cbranch_execz .LBB2_3205
; %bb.3202:                             ;   in Loop: Header=BB2_3191 Depth=3
	v_dual_lshrrev_b32 v43, 3, v45 :: v_dual_bitop2_b32 v2, 7, v2 bitop3:0x40
	s_mov_b32 s45, exec_lo
	v_cmpx_gt_u32_e32 8, v45
; %bb.3203:                             ;   in Loop: Header=BB2_3191 Depth=3
	s_delay_alu instid0(VALU_DEP_2) | instskip(NEXT) | instid1(VALU_DEP_1)
	v_clz_i32_u32_e32 v18, v2
	v_min_u32_e32 v43, 32, v18
	s_delay_alu instid0(VALU_DEP_1) | instskip(NEXT) | instid1(VALU_DEP_1)
	v_subrev_nc_u32_e32 v18, 28, v43
	v_lshlrev_b64_e32 v[18:19], v18, v[2:3]
	s_delay_alu instid0(VALU_DEP_1)
	v_dual_sub_nc_u32 v43, 29, v43 :: v_dual_bitop2_b32 v2, 7, v18 bitop3:0x40
; %bb.3204:                             ;   in Loop: Header=BB2_3191 Depth=3
	s_or_b32 exec_lo, exec_lo, s45
	v_lshlrev_b32_e32 v18, 24, v42
	s_delay_alu instid0(VALU_DEP_2) | instskip(NEXT) | instid1(VALU_DEP_3)
	v_lshlrev_b32_e32 v2, 20, v2
	v_lshl_add_u32 v19, v43, 23, 0x3c000000
	s_delay_alu instid0(VALU_DEP_3) | instskip(NEXT) | instid1(VALU_DEP_1)
	v_and_b32_e32 v18, 0x80000000, v18
	v_or3_b32 v43, v2, v18, v19
.LBB2_3205:                             ;   in Loop: Header=BB2_3191 Depth=3
	s_or_b32 exec_lo, exec_lo, s44
.LBB2_3206:                             ;   in Loop: Header=BB2_3191 Depth=3
	s_delay_alu instid0(SALU_CYCLE_1)
	s_or_b32 exec_lo, exec_lo, s14
.LBB2_3207:                             ;   in Loop: Header=BB2_3191 Depth=3
	s_delay_alu instid0(SALU_CYCLE_1) | instskip(NEXT) | instid1(VALU_DEP_1)
	s_or_b32 exec_lo, exec_lo, s13
	v_add_f32_e32 v42, v44, v43
	s_delay_alu instid0(VALU_DEP_1) | instskip(NEXT) | instid1(VALU_DEP_1)
	v_and_b32_e32 v2, 0x7f800000, v42
	v_cmp_ne_u64_e32 vcc_lo, 0x7f800000, v[2:3]
                                        ; implicit-def: $vgpr2
	s_and_saveexec_b32 s13, vcc_lo
	s_delay_alu instid0(SALU_CYCLE_1)
	s_xor_b32 s14, exec_lo, s13
	s_cbranch_execz .LBB2_3225
; %bb.3208:                             ;   in Loop: Header=BB2_3191 Depth=3
	v_and_b32_e32 v2, 0x7fffffff, v42
	v_lshrrev_b32_e32 v18, 24, v42
	s_delay_alu instid0(VALU_DEP_2) | instskip(NEXT) | instid1(VALU_DEP_2)
	v_cmp_gt_u64_e32 vcc_lo, 0x43e00001, v[2:3]
	v_and_b32_e32 v46, 0x80, v18
                                        ; implicit-def: $vgpr2
	s_and_saveexec_b32 s13, vcc_lo
	s_delay_alu instid0(SALU_CYCLE_1)
	s_xor_b32 s44, exec_lo, s13
	s_cbranch_execz .LBB2_3222
; %bb.3209:                             ;   in Loop: Header=BB2_3191 Depth=3
	v_mov_b32_e32 v2, 0
	s_mov_b32 s45, exec_lo
	v_cmpx_ne_u32_e32 0, v42
	s_cbranch_execz .LBB2_3221
; %bb.3210:                             ;   in Loop: Header=BB2_3191 Depth=3
	v_bfe_u32 v47, v42, 23, 8
	s_delay_alu instid0(VALU_DEP_1) | instskip(SKIP_1) | instid1(VALU_DEP_2)
	v_sub_nc_u32_e32 v2, 0x79, v47
	v_cmp_gt_u32_e32 vcc_lo, 0x7a, v47
	v_cndmask_b32_e32 v2, 0, v2, vcc_lo
	v_cmp_eq_u32_e32 vcc_lo, 0, v47
	s_delay_alu instid0(VALU_DEP_2) | instskip(SKIP_1) | instid1(VALU_DEP_2)
	v_cndmask_b32_e64 v56, v2, 0x78, vcc_lo
	v_and_b32_e32 v2, 0x7fffff, v42
	v_add_nc_u32_e32 v18, 20, v56
	s_delay_alu instid0(VALU_DEP_2) | instskip(SKIP_1) | instid1(VALU_DEP_3)
	v_or_b32_e32 v42, 0x800000, v2
	v_add_nc_u32_e32 v43, 19, v56
	v_lshlrev_b64_e64 v[18:19], v18, -1
	s_delay_alu instid0(VALU_DEP_3) | instskip(NEXT) | instid1(VALU_DEP_3)
	v_cndmask_b32_e32 v2, v42, v2, vcc_lo
	v_lshlrev_b64_e64 v[44:45], v43, 1
	s_delay_alu instid0(VALU_DEP_2) | instskip(NEXT) | instid1(VALU_DEP_4)
	v_lshrrev_b64 v[42:43], v56, v[2:3]
	v_bfi_b32 v19, v19, 0, 0
	v_bfi_b32 v18, v18, 0, v2
	s_delay_alu instid0(VALU_DEP_1) | instskip(NEXT) | instid1(VALU_DEP_4)
	v_cmp_eq_u64_e64 s13, v[18:19], v[44:45]
	v_mov_b64_e32 v[44:45], v[42:43]
	s_and_saveexec_b32 s75, s13
; %bb.3211:                             ;   in Loop: Header=BB2_3191 Depth=3
	v_bfe_u32 v2, v42, 20, 1
	s_delay_alu instid0(VALU_DEP_1) | instskip(NEXT) | instid1(VALU_DEP_1)
	v_add_nc_u64_e32 v[18:19], v[42:43], v[2:3]
	v_add_nc_u64_e32 v[44:45], -1, v[18:19]
; %bb.3212:                             ;   in Loop: Header=BB2_3191 Depth=3
	s_or_b32 exec_lo, exec_lo, s75
	v_add_nc_u32_e32 v2, 0xffffff81, v47
	v_lshrrev_b32_e32 v18, 23, v42
	s_mov_b32 s13, exec_lo
	s_delay_alu instid0(VALU_DEP_2) | instskip(NEXT) | instid1(VALU_DEP_1)
	v_cndmask_b32_e64 v2, v2, 0xffffff82, vcc_lo
	v_add3_u32 v45, v56, v2, v18
	v_and_b32_e32 v2, 0xfffff, v44
                                        ; implicit-def: $vgpr44
	s_delay_alu instid0(VALU_DEP_1) | instskip(NEXT) | instid1(VALU_DEP_1)
	v_dual_add_nc_u32 v47, 6, v45 :: v_dual_add_nc_u32 v2, v2, v42
                                        ; implicit-def: $vgpr42_vgpr43
	v_cmpx_ne_u32_e32 0, v47
	s_xor_b32 s13, exec_lo, s13
; %bb.3213:                             ;   in Loop: Header=BB2_3191 Depth=3
	s_delay_alu instid0(VALU_DEP_2) | instskip(SKIP_1) | instid1(VALU_DEP_1)
	v_cmp_lt_u64_e32 vcc_lo, 0xffffff, v[2:3]
	v_add_nc_u32_e32 v18, 7, v45
	v_cndmask_b32_e32 v44, v47, v18, vcc_lo
	v_cndmask_b32_e64 v18, 0, 1, vcc_lo
	s_delay_alu instid0(VALU_DEP_1)
	v_lshrrev_b64 v[42:43], v18, v[2:3]
; %bb.3214:                             ;   in Loop: Header=BB2_3191 Depth=3
	s_and_not1_saveexec_b32 s13, s13
; %bb.3215:                             ;   in Loop: Header=BB2_3191 Depth=3
	v_mov_b64_e32 v[42:43], v[2:3]
	v_bfe_u32 v44, v2, 23, 1
; %bb.3216:                             ;   in Loop: Header=BB2_3191 Depth=3
	s_or_b32 exec_lo, exec_lo, s13
	s_delay_alu instid0(VALU_DEP_2) | instskip(NEXT) | instid1(VALU_DEP_2)
	v_lshrrev_b64 v[18:19], 20, v[42:43]
	v_cmp_gt_i32_e32 vcc_lo, 16, v44
	v_cmp_ne_u32_e64 s13, 0, v44
                                        ; implicit-def: $vgpr2
	s_delay_alu instid0(VALU_DEP_3) | instskip(NEXT) | instid1(VALU_DEP_1)
	v_dual_cndmask_b32 v43, 0, v19 :: v_dual_cndmask_b32 v42, 7, v18
	v_cmp_ne_u64_e32 vcc_lo, 0, v[42:43]
	s_or_b32 s13, s13, vcc_lo
	s_delay_alu instid0(SALU_CYCLE_1) | instskip(NEXT) | instid1(SALU_CYCLE_1)
	s_and_saveexec_b32 s75, s13
	s_xor_b32 s13, exec_lo, s75
; %bb.3217:                             ;   in Loop: Header=BB2_3191 Depth=3
	v_min_i32_e32 v2, 15, v44
	s_delay_alu instid0(VALU_DEP_1) | instskip(NEXT) | instid1(VALU_DEP_1)
	v_lshl_or_b32 v2, v2, 3, v46
                                        ; implicit-def: $vgpr46
	v_and_or_b32 v2, v42, 7, v2
; %bb.3218:                             ;   in Loop: Header=BB2_3191 Depth=3
	s_and_not1_saveexec_b32 s13, s13
; %bb.3219:                             ;   in Loop: Header=BB2_3191 Depth=3
	v_mov_b32_e32 v2, v46
; %bb.3220:                             ;   in Loop: Header=BB2_3191 Depth=3
	s_or_b32 exec_lo, exec_lo, s13
.LBB2_3221:                             ;   in Loop: Header=BB2_3191 Depth=3
	s_delay_alu instid0(SALU_CYCLE_1)
	s_or_b32 exec_lo, exec_lo, s45
                                        ; implicit-def: $vgpr46
.LBB2_3222:                             ;   in Loop: Header=BB2_3191 Depth=3
	s_and_not1_saveexec_b32 s13, s44
; %bb.3223:                             ;   in Loop: Header=BB2_3191 Depth=3
	v_or_b32_e32 v2, 0x7e, v46
; %bb.3224:                             ;   in Loop: Header=BB2_3191 Depth=3
	s_or_b32 exec_lo, exec_lo, s13
                                        ; implicit-def: $vgpr42
.LBB2_3225:                             ;   in Loop: Header=BB2_3191 Depth=3
	s_and_not1_saveexec_b32 s13, s14
; %bb.3226:                             ;   in Loop: Header=BB2_3191 Depth=3
	v_lshrrev_b32_e32 v2, 24, v42
	s_delay_alu instid0(VALU_DEP_1)
	v_or_b32_e32 v2, 0x7f, v2
; %bb.3227:                             ;   in Loop: Header=BB2_3191 Depth=3
	s_or_b32 exec_lo, exec_lo, s13
	s_mov_b64 s[44:45], 0
	s_mov_b32 s75, -1
.LBB2_3228:                             ;   Parent Loop BB2_47 Depth=1
                                        ;     Parent Loop BB2_1811 Depth=2
                                        ;       Parent Loop BB2_3191 Depth=3
                                        ; =>      This Inner Loop Header: Depth=4
	s_cmp_eq_u32 s44, 1
	s_cselect_b32 vcc_lo, -1, 0
	s_cmp_eq_u32 s44, 0
	s_wait_xcnt 0x0
	v_dual_cndmask_b32 v19, v9, v11 :: v_dual_cndmask_b32 v18, v8, v10
	s_cselect_b32 s13, -1, 0
	s_and_b32 s14, exec_lo, s75
	s_mov_b64 s[44:45], 1
	s_mov_b32 s75, 0
	v_add_nc_u64_e32 v[42:43], 32, v[18:19]
	flat_store_b8 v[18:19], v2 th:TH_STORE_NT
	v_dual_cndmask_b32 v11, v11, v43 :: v_dual_cndmask_b32 v10, v10, v42
	v_dual_cndmask_b32 v9, v9, v43, s13 :: v_dual_cndmask_b32 v8, v8, v42, s13
	s_mov_b32 vcc_lo, s14
	s_cbranch_vccnz .LBB2_3228
; %bb.3229:                             ;   in Loop: Header=BB2_3191 Depth=3
	v_sub_nc_u32_e32 v115, v115, v38
	v_add_nc_u64_e32 v[12:13], v[12:13], v[82:83]
	v_add_nc_u64_e32 v[14:15], v[14:15], v[82:83]
	;; [unrolled: 1-line block ×4, first 2 shown]
	v_cmp_gt_i32_e32 vcc_lo, 1, v115
	s_or_b32 s74, vcc_lo, s74
	s_wait_xcnt 0x0
	s_and_not1_b32 exec_lo, exec_lo, s74
	s_cbranch_execnz .LBB2_3191
.LBB2_3230:                             ;   in Loop: Header=BB2_1811 Depth=2
	s_or_b32 exec_lo, exec_lo, s15
	s_mov_b32 s13, 0
.LBB2_3231:                             ;   in Loop: Header=BB2_1811 Depth=2
	s_delay_alu instid0(SALU_CYCLE_1)
	s_and_b32 vcc_lo, exec_lo, s13
	s_cbranch_vccz .LBB2_4576
; %bb.3232:                             ;   in Loop: Header=BB2_1811 Depth=2
	s_mov_b32 s13, -1
	s_and_saveexec_b32 s14, s12
	s_cbranch_execz .LBB2_3234
; %bb.3233:                             ;   in Loop: Header=BB2_1811 Depth=2
	ds_load_b32 v2, v0 offset:720
	s_wait_dscnt 0x0
	v_and_b32_e32 v2, 15, v2
	s_delay_alu instid0(VALU_DEP_1)
	v_cmp_eq_u32_e32 vcc_lo, 0, v2
	s_or_not1_b32 s13, vcc_lo, exec_lo
.LBB2_3234:                             ;   in Loop: Header=BB2_1811 Depth=2
	s_or_b32 exec_lo, exec_lo, s14
	s_and_saveexec_b32 s14, s10
	s_cbranch_execz .LBB2_3236
; %bb.3235:                             ;   in Loop: Header=BB2_1811 Depth=2
	ds_load_b32 v2, v0 offset:784
	s_wait_dscnt 0x0
	v_and_b32_e32 v2, 15, v2
	s_delay_alu instid0(VALU_DEP_1) | instskip(SKIP_3) | instid1(SALU_CYCLE_1)
	v_cmp_eq_u32_e32 vcc_lo, 0, v2
	s_and_b32 s15, s13, vcc_lo
	s_and_not1_b32 s13, s13, exec_lo
	s_and_b32 s15, s15, exec_lo
	s_or_b32 s13, s13, s15
.LBB2_3236:                             ;   in Loop: Header=BB2_1811 Depth=2
	s_or_b32 exec_lo, exec_lo, s14
	s_xor_b32 s13, s13, -1
	v_dual_mov_b32 v42, 0 :: v_dual_mov_b32 v43, v113
	v_cndmask_b32_e64 v2, 0, 1, s13
	v_mov_b32_e32 v44, v0
	s_mov_b32 s15, -1
	s_delay_alu instid0(VALU_DEP_2)
	v_cmp_ne_u32_e32 vcc_lo, 0, v2
	v_mov_b32_e32 v2, v79
	s_cbranch_vccz .LBB2_3238
; %bb.3237:                             ;   in Loop: Header=BB2_1811 Depth=2
	s_and_saveexec_b32 s14, s15
	s_cbranch_execnz .LBB2_4243
	s_branch .LBB2_4575
.LBB2_3238:                             ;   in Loop: Header=BB2_1811 Depth=2
	v_dual_ashrrev_i32 v2, 31, v113 :: v_dual_sub_nc_u32 v115, v113, v50
	s_mov_b32 s44, exec_lo
	s_delay_alu instid0(VALU_DEP_1) | instskip(NEXT) | instid1(VALU_DEP_1)
	v_lshrrev_b32_e32 v2, 23, v2
	v_add_nc_u32_e32 v2, v113, v2
	s_delay_alu instid0(VALU_DEP_1) | instskip(SKIP_1) | instid1(VALU_DEP_2)
	v_and_b32_e32 v62, 0xfffffe00, v2
	v_ashrrev_i32_e32 v2, 9, v2
	v_sub_nc_u32_e32 v63, v113, v62
	s_delay_alu instid0(VALU_DEP_1) | instskip(NEXT) | instid1(VALU_DEP_3)
	v_cmp_lt_i32_e32 vcc_lo, 15, v63
	v_add_co_ci_u32_e64 v72, null, v2, v89, vcc_lo
	v_cmpx_lt_i32_e32 15, v115
	s_cbranch_execz .LBB2_3738
; %bb.3239:                             ;   in Loop: Header=BB2_1811 Depth=2
	s_trap 2
	ds_load_b64 v[8:9], v0
	v_add_nc_u64_e32 v[42:43], v[118:119], v[50:51]
	v_add_nc_u64_e32 v[46:47], v[40:41], v[50:51]
	s_mov_b32 s45, 0
	s_wait_dscnt 0x0
	v_add_nc_u64_e32 v[44:45], v[8:9], v[50:51]
	s_branch .LBB2_3241
.LBB2_3240:                             ;   in Loop: Header=BB2_3241 Depth=3
	s_or_b32 exec_lo, exec_lo, s13
	v_lshl_or_b32 v8, v61, 8, v60
	v_dual_lshlrev_b32 v9, 16, v58 :: v_dual_lshlrev_b32 v10, 24, v59
	v_lshl_or_b32 v11, v91, 8, v73
	v_dual_lshlrev_b32 v13, 16, v92 :: v_dual_lshlrev_b32 v14, 24, v93
	;; [unrolled: 2-line block ×3, first 2 shown]
	v_dual_lshlrev_b32 v2, 24, v2 :: v_dual_lshlrev_b32 v12, 16, v12
	v_lshl_or_b32 v56, v57, 8, v56
	v_or3_b32 v9, v8, v9, v10
	v_or3_b32 v8, v11, v13, v14
	;; [unrolled: 1-line block ×3, first 2 shown]
	v_dual_sub_nc_u32 v115, v115, v66 :: v_dual_sub_nc_u32 v72, v72, v36
	v_or3_b32 v11, v56, v12, v2
	v_add_nc_u64_e32 v[42:43], v[42:43], v[66:67]
	v_add_nc_u64_e32 v[44:45], v[44:45], v[66:67]
	s_delay_alu instid0(VALU_DEP_4) | instskip(SKIP_4) | instid1(SALU_CYCLE_1)
	v_cmp_gt_i32_e64 s13, 16, v115
	global_store_b128 v[46:47], v[8:11], off th:TH_STORE_NT
	s_wait_xcnt 0x0
	v_add_nc_u64_e32 v[46:47], v[46:47], v[66:67]
	s_or_b32 s45, s13, s45
	s_and_not1_b32 exec_lo, exec_lo, s45
	s_cbranch_execz .LBB2_3737
.LBB2_3241:                             ;   Parent Loop BB2_47 Depth=1
                                        ;     Parent Loop BB2_1811 Depth=2
                                        ; =>    This Inner Loop Header: Depth=3
	global_load_b128 v[12:15], v[42:43], off th:TH_LOAD_NT
	global_load_b128 v[8:11], v[44:45], off th:TH_LOAD_NT
	v_mov_b32_e32 v2, 0
	s_mov_b32 s14, exec_lo
	s_wait_loadcnt 0x1
	v_and_b32_e32 v56, 0xff, v12
	s_wait_xcnt 0x0
	s_delay_alu instid0(VALU_DEP_1)
	v_cmpx_ne_u16_e32 0, v56
	s_cbranch_execz .LBB2_3247
; %bb.3242:                             ;   in Loop: Header=BB2_3241 Depth=3
	v_bfrev_b32_e32 v2, 1
	s_mov_b32 s15, exec_lo
	v_cmpx_ne_u16_e32 0x80, v56
	s_cbranch_execz .LBB2_3246
; %bb.3243:                             ;   in Loop: Header=BB2_3241 Depth=3
	v_and_b32_e32 v56, 0x7f, v12
	v_mov_b32_e32 v2, 0x7f800001
	s_mov_b32 s74, exec_lo
	s_delay_alu instid0(VALU_DEP_2)
	v_cmpx_ne_u32_e32 0x7f, v56
	s_cbranch_execz .LBB2_3245
; %bb.3244:                             ;   in Loop: Header=BB2_3241 Depth=3
	v_cmp_gt_u32_e64 s13, 8, v56
	v_and_b32_e32 v2, 7, v12
	s_delay_alu instid0(VALU_DEP_1) | instskip(NEXT) | instid1(VALU_DEP_1)
	v_clz_i32_u32_e32 v2, v2
	v_min_u32_e32 v2, 32, v2
	v_lshrrev_b32_e32 v18, 3, v56
	s_delay_alu instid0(VALU_DEP_2) | instskip(SKIP_1) | instid1(VALU_DEP_1)
	v_subrev_nc_u32_e32 v19, 28, v2
	v_sub_nc_u32_e32 v2, 29, v2
	v_dual_cndmask_b32 v2, v18, v2, s13 :: v_dual_cndmask_b32 v18, 0, v19, s13
	s_delay_alu instid0(VALU_DEP_1) | instskip(SKIP_1) | instid1(VALU_DEP_3)
	v_lshlrev_b64_e32 v[56:57], v18, v[12:13]
	v_lshlrev_b32_e32 v18, 24, v12
	v_lshl_add_u32 v2, v2, 23, 0x3c000000
	s_delay_alu instid0(VALU_DEP_2) | instskip(NEXT) | instid1(VALU_DEP_4)
	v_and_b32_e32 v18, 0x80000000, v18
	v_lshlrev_b32_e32 v19, 20, v56
	s_delay_alu instid0(VALU_DEP_1) | instskip(NEXT) | instid1(VALU_DEP_1)
	v_and_b32_e32 v19, 0x700000, v19
	v_or3_b32 v2, v19, v18, v2
.LBB2_3245:                             ;   in Loop: Header=BB2_3241 Depth=3
	s_or_b32 exec_lo, exec_lo, s74
.LBB2_3246:                             ;   in Loop: Header=BB2_3241 Depth=3
	s_delay_alu instid0(SALU_CYCLE_1)
	s_or_b32 exec_lo, exec_lo, s15
.LBB2_3247:                             ;   in Loop: Header=BB2_3241 Depth=3
	s_delay_alu instid0(SALU_CYCLE_1) | instskip(SKIP_4) | instid1(VALU_DEP_1)
	s_or_b32 exec_lo, exec_lo, s14
	s_wait_loadcnt 0x0
	v_and_b32_e32 v57, 0xff, v8
	s_mov_b32 s14, 0
	s_mov_b32 s15, exec_lo
	v_cmpx_lt_i16_e32 0x7f, v57
	s_xor_b32 s15, exec_lo, s15
	s_cbranch_execz .LBB2_3282
; %bb.3248:                             ;   in Loop: Header=BB2_3241 Depth=3
	s_mov_b32 s14, -1
	s_mov_b32 s74, exec_lo
	v_cmpx_eq_u16_e32 0x80, v57
; %bb.3249:                             ;   in Loop: Header=BB2_3241 Depth=3
	s_xor_b32 s14, exec_lo, -1
; %bb.3250:                             ;   in Loop: Header=BB2_3241 Depth=3
	s_or_b32 exec_lo, exec_lo, s74
	s_delay_alu instid0(SALU_CYCLE_1)
	s_and_b32 s14, s14, exec_lo
                                        ; implicit-def: $vgpr57
	s_or_saveexec_b32 s15, s15
	v_bfrev_b32_e32 v56, 1
	s_xor_b32 exec_lo, exec_lo, s15
	s_cbranch_execnz .LBB2_3283
.LBB2_3251:                             ;   in Loop: Header=BB2_3241 Depth=3
	s_or_b32 exec_lo, exec_lo, s15
	s_and_saveexec_b32 s15, s14
	s_cbranch_execz .LBB2_3253
.LBB2_3252:                             ;   in Loop: Header=BB2_3241 Depth=3
	v_and_b32_e32 v19, 0x7f, v8
	v_bfe_u32 v56, v8, 3, 4
	s_delay_alu instid0(VALU_DEP_2) | instskip(SKIP_1) | instid1(VALU_DEP_1)
	v_cmp_gt_u32_e64 s13, 8, v19
	v_and_b32_e32 v18, 7, v8
	v_clz_i32_u32_e32 v18, v18
	s_delay_alu instid0(VALU_DEP_1) | instskip(NEXT) | instid1(VALU_DEP_1)
	v_min_u32_e32 v18, 32, v18
	v_subrev_nc_u32_e32 v57, 28, v18
	v_sub_nc_u32_e32 v18, 29, v18
	s_delay_alu instid0(VALU_DEP_1) | instskip(SKIP_1) | instid1(VALU_DEP_2)
	v_dual_cndmask_b32 v18, v56, v18, s13 :: v_dual_cndmask_b32 v56, 0, v57, s13
	v_cmp_ne_u32_e64 s13, 0x7f, v19
	v_lshlrev_b64_e32 v[56:57], v56, v[8:9]
	v_lshlrev_b32_e32 v57, 24, v8
	s_delay_alu instid0(VALU_DEP_1) | instskip(NEXT) | instid1(VALU_DEP_3)
	v_and_b32_e32 v57, 0x80000000, v57
	v_lshlrev_b32_e32 v56, 20, v56
	v_lshl_add_u32 v18, v18, 23, 0x3c000000
	s_delay_alu instid0(VALU_DEP_2) | instskip(NEXT) | instid1(VALU_DEP_1)
	v_and_b32_e32 v56, 0x700000, v56
	v_or3_b32 v18, v56, v57, v18
	s_delay_alu instid0(VALU_DEP_1)
	v_cndmask_b32_e64 v56, 0x7f800001, v18, s13
.LBB2_3253:                             ;   in Loop: Header=BB2_3241 Depth=3
	s_or_b32 exec_lo, exec_lo, s15
	s_delay_alu instid0(VALU_DEP_1) | instskip(SKIP_1) | instid1(VALU_DEP_1)
	v_add_f32_e32 v56, v2, v56
                                        ; implicit-def: $vgpr73
	s_mov_b32 s14, exec_lo
	v_and_b32_e32 v2, 0x7f800000, v56
	v_lshrrev_b32_e32 v57, 24, v56
	s_delay_alu instid0(VALU_DEP_2)
	v_cmpx_ne_u64_e32 0x7f800000, v[2:3]
	s_xor_b32 s15, exec_lo, s14
	s_cbranch_execz .LBB2_3267
; %bb.3254:                             ;   in Loop: Header=BB2_3241 Depth=3
	v_and_b32_e32 v2, 0x7fffffff, v56
	v_and_b32_e32 v60, 0x80, v57
                                        ; implicit-def: $vgpr73
	s_mov_b32 s14, exec_lo
	s_delay_alu instid0(VALU_DEP_2)
	v_cmpx_gt_u64_e32 0x43e00001, v[2:3]
	s_xor_b32 s74, exec_lo, s14
	s_cbranch_execz .LBB2_3264
; %bb.3255:                             ;   in Loop: Header=BB2_3241 Depth=3
	v_mov_b32_e32 v73, 0
	s_mov_b32 s75, exec_lo
	v_cmpx_ne_u32_e32 0, v56
	s_cbranch_execz .LBB2_3263
; %bb.3256:                             ;   in Loop: Header=BB2_3241 Depth=3
	v_bfe_u32 v61, v56, 23, 8
	s_delay_alu instid0(VALU_DEP_1) | instskip(SKIP_1) | instid1(VALU_DEP_1)
	v_sub_nc_u32_e32 v2, 0x79, v61
	v_cmp_gt_u32_e64 s13, 0x7a, v61
	v_cndmask_b32_e64 v2, 0, v2, s13
	v_cmp_eq_u32_e64 s13, 0, v61
	s_delay_alu instid0(VALU_DEP_1) | instskip(SKIP_1) | instid1(VALU_DEP_2)
	v_cndmask_b32_e64 v73, v2, 0x78, s13
	v_and_b32_e32 v2, 0x7fffff, v56
	v_add_nc_u32_e32 v18, 20, v73
	s_delay_alu instid0(VALU_DEP_2) | instskip(NEXT) | instid1(VALU_DEP_2)
	v_or_b32_e32 v19, 0x800000, v2
	v_lshlrev_b64_e64 v[56:57], v18, -1
	s_delay_alu instid0(VALU_DEP_2) | instskip(NEXT) | instid1(VALU_DEP_1)
	v_dual_add_nc_u32 v18, 19, v73 :: v_dual_cndmask_b32 v2, v19, v2, s13
	v_lshlrev_b64_e64 v[58:59], v18, 1
	s_delay_alu instid0(VALU_DEP_3) | instskip(NEXT) | instid1(VALU_DEP_3)
	v_bfi_b32 v93, v57, 0, 0
	v_bfi_b32 v92, v56, 0, v2
	v_lshrrev_b64 v[56:57], v73, v[2:3]
	s_delay_alu instid0(VALU_DEP_2) | instskip(NEXT) | instid1(VALU_DEP_2)
	v_cmp_eq_u64_e64 s14, v[92:93], v[58:59]
	v_mov_b64_e32 v[58:59], v[56:57]
	s_and_saveexec_b32 s76, s14
; %bb.3257:                             ;   in Loop: Header=BB2_3241 Depth=3
	v_bfe_u32 v2, v56, 20, 1
	s_delay_alu instid0(VALU_DEP_1) | instskip(NEXT) | instid1(VALU_DEP_1)
	v_add_nc_u64_e32 v[58:59], v[56:57], v[2:3]
	v_add_nc_u64_e32 v[58:59], -1, v[58:59]
; %bb.3258:                             ;   in Loop: Header=BB2_3241 Depth=3
	s_or_b32 exec_lo, exec_lo, s76
	v_add_nc_u32_e32 v2, 0xffffff81, v61
	v_lshrrev_b32_e32 v18, 23, v56
	s_mov_b32 s14, exec_lo
	s_delay_alu instid0(VALU_DEP_2) | instskip(NEXT) | instid1(VALU_DEP_1)
	v_cndmask_b32_e64 v2, v2, 0xffffff82, s13
	v_add3_u32 v59, v73, v2, v18
	v_and_b32_e32 v2, 0xfffff, v58
                                        ; implicit-def: $vgpr58
	s_delay_alu instid0(VALU_DEP_1) | instskip(NEXT) | instid1(VALU_DEP_1)
	v_dual_add_nc_u32 v61, 6, v59 :: v_dual_add_nc_u32 v2, v2, v56
                                        ; implicit-def: $vgpr56_vgpr57
	v_cmpx_ne_u32_e32 0, v61
	s_xor_b32 s14, exec_lo, s14
; %bb.3259:                             ;   in Loop: Header=BB2_3241 Depth=3
	s_delay_alu instid0(VALU_DEP_2) | instskip(SKIP_1) | instid1(VALU_DEP_1)
	v_cmp_lt_u64_e64 s13, 0xffffff, v[2:3]
	v_add_nc_u32_e32 v18, 7, v59
	v_cndmask_b32_e64 v58, v61, v18, s13
	v_cndmask_b32_e64 v18, 0, 1, s13
	s_delay_alu instid0(VALU_DEP_1)
	v_lshrrev_b64 v[56:57], v18, v[2:3]
; %bb.3260:                             ;   in Loop: Header=BB2_3241 Depth=3
	s_and_not1_saveexec_b32 s13, s14
; %bb.3261:                             ;   in Loop: Header=BB2_3241 Depth=3
	v_mov_b64_e32 v[56:57], v[2:3]
	v_bfe_u32 v58, v2, 23, 1
; %bb.3262:                             ;   in Loop: Header=BB2_3241 Depth=3
	s_or_b32 exec_lo, exec_lo, s13
	s_delay_alu instid0(VALU_DEP_2) | instskip(NEXT) | instid1(VALU_DEP_2)
	v_lshrrev_b64 v[56:57], 20, v[56:57]
	v_cmp_gt_i32_e64 s13, 16, v58
	v_min_i32_e32 v2, 15, v58
	v_cmp_eq_u32_e64 s14, 0, v58
	s_delay_alu instid0(VALU_DEP_2) | instskip(SKIP_1) | instid1(VALU_DEP_2)
	v_dual_cndmask_b32 v57, 0, v57, s13 :: v_dual_lshlrev_b32 v2, 3, v2
	v_cndmask_b32_e64 v56, 7, v56, s13
	v_and_b32_e32 v2, 0xf8, v2
	s_delay_alu instid0(VALU_DEP_2) | instskip(NEXT) | instid1(VALU_DEP_2)
	v_cmp_eq_u64_e64 s13, 0, v[56:57]
	v_and_or_b32 v2, v56, 7, v2
	s_and_b32 s13, s14, s13
	s_delay_alu instid0(VALU_DEP_1) | instid1(SALU_CYCLE_1)
	v_cndmask_b32_e64 v2, v2, 0, s13
	s_delay_alu instid0(VALU_DEP_1)
	v_or_b32_e32 v73, v2, v60
.LBB2_3263:                             ;   in Loop: Header=BB2_3241 Depth=3
	s_or_b32 exec_lo, exec_lo, s75
                                        ; implicit-def: $vgpr60
.LBB2_3264:                             ;   in Loop: Header=BB2_3241 Depth=3
	s_and_not1_saveexec_b32 s13, s74
; %bb.3265:                             ;   in Loop: Header=BB2_3241 Depth=3
	v_or_b32_e32 v73, 0x7e, v60
; %bb.3266:                             ;   in Loop: Header=BB2_3241 Depth=3
	s_or_b32 exec_lo, exec_lo, s13
                                        ; implicit-def: $vgpr57
.LBB2_3267:                             ;   in Loop: Header=BB2_3241 Depth=3
	s_and_not1_saveexec_b32 s13, s15
; %bb.3268:                             ;   in Loop: Header=BB2_3241 Depth=3
	v_or_b32_e32 v73, 0x7f, v57
; %bb.3269:                             ;   in Loop: Header=BB2_3241 Depth=3
	s_or_b32 exec_lo, exec_lo, s13
	v_lshrrev_b16 v2, 8, v12
	v_mov_b32_e32 v56, 0
	s_mov_b32 s14, exec_lo
	s_delay_alu instid0(VALU_DEP_2)
	v_cmpx_ne_u16_e32 0, v2
	s_cbranch_execz .LBB2_3277
; %bb.3270:                             ;   in Loop: Header=BB2_3241 Depth=3
	v_bfrev_b32_e32 v56, 1
	s_mov_b32 s15, exec_lo
	v_cmpx_ne_u16_e32 0x80, v2
	s_cbranch_execz .LBB2_3276
; %bb.3271:                             ;   in Loop: Header=BB2_3241 Depth=3
	v_and_b32_e32 v2, 0xffff, v2
	v_mov_b32_e32 v56, 0x7f800001
	s_mov_b32 s74, exec_lo
	s_delay_alu instid0(VALU_DEP_2) | instskip(NEXT) | instid1(VALU_DEP_1)
	v_and_b32_e32 v57, 0x7f, v2
	v_cmpx_ne_u32_e32 0x7f, v57
	s_cbranch_execz .LBB2_3275
; %bb.3272:                             ;   in Loop: Header=BB2_3241 Depth=3
	v_dual_lshrrev_b32 v56, 3, v57 :: v_dual_bitop2_b32 v2, 7, v2 bitop3:0x40
	s_mov_b32 s75, exec_lo
	v_cmpx_gt_u32_e32 8, v57
; %bb.3273:                             ;   in Loop: Header=BB2_3241 Depth=3
	s_delay_alu instid0(VALU_DEP_2) | instskip(NEXT) | instid1(VALU_DEP_1)
	v_clz_i32_u32_e32 v18, v2
	v_min_u32_e32 v18, 32, v18
	s_delay_alu instid0(VALU_DEP_1) | instskip(SKIP_1) | instid1(VALU_DEP_2)
	v_subrev_nc_u32_e32 v19, 28, v18
	v_sub_nc_u32_e32 v56, 29, v18
	v_lshlrev_b64_e32 v[58:59], v19, v[2:3]
	s_delay_alu instid0(VALU_DEP_1)
	v_and_b32_e32 v2, 7, v58
; %bb.3274:                             ;   in Loop: Header=BB2_3241 Depth=3
	s_or_b32 exec_lo, exec_lo, s75
	s_delay_alu instid0(VALU_DEP_1) | instskip(SKIP_1) | instid1(VALU_DEP_2)
	v_dual_lshlrev_b32 v18, 16, v12 :: v_dual_lshlrev_b32 v2, 20, v2
	v_lshl_add_u32 v19, v56, 23, 0x3c000000
	v_and_b32_e32 v18, 0x80000000, v18
	s_delay_alu instid0(VALU_DEP_1)
	v_or3_b32 v56, v2, v18, v19
.LBB2_3275:                             ;   in Loop: Header=BB2_3241 Depth=3
	s_or_b32 exec_lo, exec_lo, s74
.LBB2_3276:                             ;   in Loop: Header=BB2_3241 Depth=3
	s_delay_alu instid0(SALU_CYCLE_1)
	s_or_b32 exec_lo, exec_lo, s15
.LBB2_3277:                             ;   in Loop: Header=BB2_3241 Depth=3
	s_delay_alu instid0(SALU_CYCLE_1) | instskip(SKIP_3) | instid1(VALU_DEP_1)
	s_or_b32 exec_lo, exec_lo, s14
	v_lshrrev_b16 v57, 8, v8
	s_mov_b32 s15, 0
	s_mov_b32 s14, exec_lo
	v_cmpx_lt_i16_e32 0x7f, v57
	s_xor_b32 s14, exec_lo, s14
	s_cbranch_execz .LBB2_3284
; %bb.3278:                             ;   in Loop: Header=BB2_3241 Depth=3
	s_mov_b32 s15, -1
	s_mov_b32 s74, exec_lo
	v_cmpx_eq_u16_e32 0x80, v57
; %bb.3279:                             ;   in Loop: Header=BB2_3241 Depth=3
	s_xor_b32 s15, exec_lo, -1
; %bb.3280:                             ;   in Loop: Header=BB2_3241 Depth=3
	s_or_b32 exec_lo, exec_lo, s74
	s_delay_alu instid0(SALU_CYCLE_1)
	s_and_b32 s15, s15, exec_lo
	s_or_saveexec_b32 s14, s14
	v_bfrev_b32_e32 v58, 1
	s_xor_b32 exec_lo, exec_lo, s14
	s_cbranch_execnz .LBB2_3285
.LBB2_3281:                             ;   in Loop: Header=BB2_3241 Depth=3
	s_or_b32 exec_lo, exec_lo, s14
	s_and_saveexec_b32 s14, s15
	s_cbranch_execnz .LBB2_3286
	s_branch .LBB2_3289
.LBB2_3282:                             ;   in Loop: Header=BB2_3241 Depth=3
	s_or_saveexec_b32 s15, s15
	v_bfrev_b32_e32 v56, 1
	s_xor_b32 exec_lo, exec_lo, s15
	s_cbranch_execz .LBB2_3251
.LBB2_3283:                             ;   in Loop: Header=BB2_3241 Depth=3
	v_cmp_ne_u16_e64 s13, 0, v57
	v_mov_b32_e32 v56, 0
	s_and_not1_b32 s14, s14, exec_lo
	s_and_b32 s13, s13, exec_lo
	s_delay_alu instid0(SALU_CYCLE_1)
	s_or_b32 s14, s14, s13
	s_or_b32 exec_lo, exec_lo, s15
	s_and_saveexec_b32 s15, s14
	s_cbranch_execnz .LBB2_3252
	s_branch .LBB2_3253
.LBB2_3284:                             ;   in Loop: Header=BB2_3241 Depth=3
	s_or_saveexec_b32 s14, s14
	v_bfrev_b32_e32 v58, 1
	s_xor_b32 exec_lo, exec_lo, s14
	s_cbranch_execz .LBB2_3281
.LBB2_3285:                             ;   in Loop: Header=BB2_3241 Depth=3
	v_cmp_ne_u16_e64 s13, 0, v57
	v_mov_b32_e32 v58, 0
	s_and_not1_b32 s15, s15, exec_lo
	s_and_b32 s13, s13, exec_lo
	s_delay_alu instid0(SALU_CYCLE_1)
	s_or_b32 s15, s15, s13
	s_or_b32 exec_lo, exec_lo, s14
	s_and_saveexec_b32 s14, s15
	s_cbranch_execz .LBB2_3289
.LBB2_3286:                             ;   in Loop: Header=BB2_3241 Depth=3
	v_and_b32_e32 v2, 0xffff, v57
	v_mov_b32_e32 v58, 0x7f800001
	s_mov_b32 s15, exec_lo
	s_delay_alu instid0(VALU_DEP_2) | instskip(NEXT) | instid1(VALU_DEP_1)
	v_and_b32_e32 v59, 0x7f, v2
	v_cmpx_ne_u32_e32 0x7f, v59
	s_cbranch_execz .LBB2_3288
; %bb.3287:                             ;   in Loop: Header=BB2_3241 Depth=3
	v_and_b32_e32 v18, 7, v2
	v_cmp_gt_u32_e64 s13, 8, v59
	s_delay_alu instid0(VALU_DEP_2) | instskip(NEXT) | instid1(VALU_DEP_1)
	v_clz_i32_u32_e32 v19, v18
	v_min_u32_e32 v19, 32, v19
	s_delay_alu instid0(VALU_DEP_1) | instskip(NEXT) | instid1(VALU_DEP_1)
	v_subrev_nc_u32_e32 v58, 28, v19
	v_lshlrev_b64_e32 v[60:61], v58, v[2:3]
	v_lshrrev_b32_e32 v2, 3, v59
	s_delay_alu instid0(VALU_DEP_2) | instskip(NEXT) | instid1(VALU_DEP_1)
	v_dual_sub_nc_u32 v19, 29, v19 :: v_dual_bitop2_b32 v58, 7, v60 bitop3:0x40
	v_dual_lshlrev_b32 v57, 24, v57 :: v_dual_cndmask_b32 v2, v2, v19, s13
	s_delay_alu instid0(VALU_DEP_2) | instskip(NEXT) | instid1(VALU_DEP_2)
	v_cndmask_b32_e64 v18, v18, v58, s13
	v_and_b32_e32 v19, 0x80000000, v57
	s_delay_alu instid0(VALU_DEP_3) | instskip(NEXT) | instid1(VALU_DEP_3)
	v_lshl_add_u32 v2, v2, 23, 0x3c000000
	v_lshlrev_b32_e32 v18, 20, v18
	s_delay_alu instid0(VALU_DEP_1)
	v_or3_b32 v58, v18, v19, v2
.LBB2_3288:                             ;   in Loop: Header=BB2_3241 Depth=3
	s_or_b32 exec_lo, exec_lo, s15
.LBB2_3289:                             ;   in Loop: Header=BB2_3241 Depth=3
	s_delay_alu instid0(SALU_CYCLE_1) | instskip(NEXT) | instid1(VALU_DEP_1)
	s_or_b32 exec_lo, exec_lo, s14
	v_add_f32_e32 v56, v56, v58
                                        ; implicit-def: $vgpr91
	s_mov_b32 s14, exec_lo
	s_delay_alu instid0(VALU_DEP_1) | instskip(SKIP_1) | instid1(VALU_DEP_2)
	v_and_b32_e32 v2, 0x7f800000, v56
	v_lshrrev_b32_e32 v57, 24, v56
	v_cmpx_ne_u64_e32 0x7f800000, v[2:3]
	s_xor_b32 s15, exec_lo, s14
	s_cbranch_execz .LBB2_3303
; %bb.3290:                             ;   in Loop: Header=BB2_3241 Depth=3
	v_and_b32_e32 v2, 0x7fffffff, v56
	v_and_b32_e32 v60, 0x80, v57
                                        ; implicit-def: $vgpr91
	s_mov_b32 s14, exec_lo
	s_delay_alu instid0(VALU_DEP_2)
	v_cmpx_gt_u64_e32 0x43e00001, v[2:3]
	s_xor_b32 s74, exec_lo, s14
	s_cbranch_execz .LBB2_3300
; %bb.3291:                             ;   in Loop: Header=BB2_3241 Depth=3
	v_mov_b32_e32 v91, 0
	s_mov_b32 s75, exec_lo
	v_cmpx_ne_u32_e32 0, v56
	s_cbranch_execz .LBB2_3299
; %bb.3292:                             ;   in Loop: Header=BB2_3241 Depth=3
	v_bfe_u32 v61, v56, 23, 8
	s_delay_alu instid0(VALU_DEP_1) | instskip(SKIP_1) | instid1(VALU_DEP_1)
	v_sub_nc_u32_e32 v2, 0x79, v61
	v_cmp_gt_u32_e64 s13, 0x7a, v61
	v_cndmask_b32_e64 v2, 0, v2, s13
	v_cmp_eq_u32_e64 s13, 0, v61
	s_delay_alu instid0(VALU_DEP_1) | instskip(SKIP_1) | instid1(VALU_DEP_2)
	v_cndmask_b32_e64 v91, v2, 0x78, s13
	v_and_b32_e32 v2, 0x7fffff, v56
	v_add_nc_u32_e32 v18, 20, v91
	s_delay_alu instid0(VALU_DEP_2) | instskip(NEXT) | instid1(VALU_DEP_2)
	v_or_b32_e32 v19, 0x800000, v2
	v_lshlrev_b64_e64 v[56:57], v18, -1
	s_delay_alu instid0(VALU_DEP_2) | instskip(NEXT) | instid1(VALU_DEP_1)
	v_dual_add_nc_u32 v18, 19, v91 :: v_dual_cndmask_b32 v2, v19, v2, s13
	v_lshlrev_b64_e64 v[58:59], v18, 1
	s_delay_alu instid0(VALU_DEP_3) | instskip(NEXT) | instid1(VALU_DEP_3)
	v_bfi_b32 v93, v57, 0, 0
	v_bfi_b32 v92, v56, 0, v2
	v_lshrrev_b64 v[56:57], v91, v[2:3]
	s_delay_alu instid0(VALU_DEP_2) | instskip(NEXT) | instid1(VALU_DEP_2)
	v_cmp_eq_u64_e64 s14, v[92:93], v[58:59]
	v_mov_b64_e32 v[58:59], v[56:57]
	s_and_saveexec_b32 s76, s14
; %bb.3293:                             ;   in Loop: Header=BB2_3241 Depth=3
	v_bfe_u32 v2, v56, 20, 1
	s_delay_alu instid0(VALU_DEP_1) | instskip(NEXT) | instid1(VALU_DEP_1)
	v_add_nc_u64_e32 v[58:59], v[56:57], v[2:3]
	v_add_nc_u64_e32 v[58:59], -1, v[58:59]
; %bb.3294:                             ;   in Loop: Header=BB2_3241 Depth=3
	s_or_b32 exec_lo, exec_lo, s76
	v_add_nc_u32_e32 v2, 0xffffff81, v61
	v_lshrrev_b32_e32 v18, 23, v56
	s_mov_b32 s14, exec_lo
	s_delay_alu instid0(VALU_DEP_2) | instskip(NEXT) | instid1(VALU_DEP_1)
	v_cndmask_b32_e64 v2, v2, 0xffffff82, s13
	v_add3_u32 v59, v91, v2, v18
	v_and_b32_e32 v2, 0xfffff, v58
                                        ; implicit-def: $vgpr58
	s_delay_alu instid0(VALU_DEP_1) | instskip(NEXT) | instid1(VALU_DEP_1)
	v_dual_add_nc_u32 v61, 6, v59 :: v_dual_add_nc_u32 v2, v2, v56
                                        ; implicit-def: $vgpr56_vgpr57
	v_cmpx_ne_u32_e32 0, v61
	s_xor_b32 s14, exec_lo, s14
; %bb.3295:                             ;   in Loop: Header=BB2_3241 Depth=3
	s_delay_alu instid0(VALU_DEP_2) | instskip(SKIP_1) | instid1(VALU_DEP_1)
	v_cmp_lt_u64_e64 s13, 0xffffff, v[2:3]
	v_add_nc_u32_e32 v18, 7, v59
	v_cndmask_b32_e64 v58, v61, v18, s13
	v_cndmask_b32_e64 v18, 0, 1, s13
	s_delay_alu instid0(VALU_DEP_1)
	v_lshrrev_b64 v[56:57], v18, v[2:3]
; %bb.3296:                             ;   in Loop: Header=BB2_3241 Depth=3
	s_and_not1_saveexec_b32 s13, s14
; %bb.3297:                             ;   in Loop: Header=BB2_3241 Depth=3
	v_mov_b64_e32 v[56:57], v[2:3]
	v_bfe_u32 v58, v2, 23, 1
; %bb.3298:                             ;   in Loop: Header=BB2_3241 Depth=3
	s_or_b32 exec_lo, exec_lo, s13
	s_delay_alu instid0(VALU_DEP_2) | instskip(NEXT) | instid1(VALU_DEP_2)
	v_lshrrev_b64 v[56:57], 20, v[56:57]
	v_cmp_gt_i32_e64 s13, 16, v58
	v_min_i32_e32 v2, 15, v58
	v_cmp_eq_u32_e64 s14, 0, v58
	s_delay_alu instid0(VALU_DEP_2) | instskip(SKIP_1) | instid1(VALU_DEP_2)
	v_dual_cndmask_b32 v57, 0, v57, s13 :: v_dual_lshlrev_b32 v2, 3, v2
	v_cndmask_b32_e64 v56, 7, v56, s13
	v_and_b32_e32 v2, 0xf8, v2
	s_delay_alu instid0(VALU_DEP_2) | instskip(NEXT) | instid1(VALU_DEP_2)
	v_cmp_eq_u64_e64 s13, 0, v[56:57]
	v_and_or_b32 v2, v56, 7, v2
	s_and_b32 s13, s14, s13
	s_delay_alu instid0(VALU_DEP_1) | instid1(SALU_CYCLE_1)
	v_cndmask_b32_e64 v2, v2, 0, s13
	s_delay_alu instid0(VALU_DEP_1)
	v_or_b32_e32 v91, v2, v60
.LBB2_3299:                             ;   in Loop: Header=BB2_3241 Depth=3
	s_or_b32 exec_lo, exec_lo, s75
                                        ; implicit-def: $vgpr60
.LBB2_3300:                             ;   in Loop: Header=BB2_3241 Depth=3
	s_and_not1_saveexec_b32 s13, s74
; %bb.3301:                             ;   in Loop: Header=BB2_3241 Depth=3
	v_or_b32_e32 v91, 0x7e, v60
; %bb.3302:                             ;   in Loop: Header=BB2_3241 Depth=3
	s_or_b32 exec_lo, exec_lo, s13
                                        ; implicit-def: $vgpr57
.LBB2_3303:                             ;   in Loop: Header=BB2_3241 Depth=3
	s_and_not1_saveexec_b32 s13, s15
; %bb.3304:                             ;   in Loop: Header=BB2_3241 Depth=3
	v_or_b32_e32 v91, 0x7f, v57
; %bb.3305:                             ;   in Loop: Header=BB2_3241 Depth=3
	s_or_b32 exec_lo, exec_lo, s13
	v_dual_mov_b32 v56, 0 :: v_dual_lshrrev_b32 v57, 16, v12
	s_mov_b32 s14, exec_lo
	s_delay_alu instid0(VALU_DEP_1) | instskip(NEXT) | instid1(VALU_DEP_1)
	v_and_b32_e32 v2, 0xff, v57
	v_cmpx_ne_u16_e32 0, v2
	s_cbranch_execz .LBB2_3313
; %bb.3306:                             ;   in Loop: Header=BB2_3241 Depth=3
	v_bfrev_b32_e32 v56, 1
	s_mov_b32 s15, exec_lo
	v_cmpx_ne_u16_e32 0x80, v2
	s_cbranch_execz .LBB2_3312
; %bb.3307:                             ;   in Loop: Header=BB2_3241 Depth=3
	v_bfe_u32 v58, v12, 16, 7
	v_mov_b32_e32 v56, 0x7f800001
	s_mov_b32 s74, exec_lo
	s_delay_alu instid0(VALU_DEP_2)
	v_cmpx_ne_u32_e32 0x7f, v58
	s_cbranch_execz .LBB2_3311
; %bb.3308:                             ;   in Loop: Header=BB2_3241 Depth=3
	v_dual_lshrrev_b32 v56, 3, v58 :: v_dual_bitop2_b32 v2, 7, v57 bitop3:0x40
	s_mov_b32 s75, exec_lo
	v_cmpx_gt_u32_e32 8, v58
; %bb.3309:                             ;   in Loop: Header=BB2_3241 Depth=3
	s_delay_alu instid0(VALU_DEP_2) | instskip(NEXT) | instid1(VALU_DEP_1)
	v_clz_i32_u32_e32 v18, v2
	v_min_u32_e32 v18, 32, v18
	s_delay_alu instid0(VALU_DEP_1) | instskip(SKIP_1) | instid1(VALU_DEP_2)
	v_subrev_nc_u32_e32 v19, 28, v18
	v_sub_nc_u32_e32 v56, 29, v18
	v_lshlrev_b64_e32 v[58:59], v19, v[2:3]
	s_delay_alu instid0(VALU_DEP_1)
	v_and_b32_e32 v2, 7, v58
; %bb.3310:                             ;   in Loop: Header=BB2_3241 Depth=3
	s_or_b32 exec_lo, exec_lo, s75
	s_delay_alu instid0(VALU_DEP_1) | instskip(SKIP_1) | instid1(VALU_DEP_2)
	v_dual_lshlrev_b32 v18, 24, v57 :: v_dual_lshlrev_b32 v2, 20, v2
	v_lshl_add_u32 v19, v56, 23, 0x3c000000
	v_and_b32_e32 v18, 0x80000000, v18
	s_delay_alu instid0(VALU_DEP_1)
	v_or3_b32 v56, v2, v18, v19
.LBB2_3311:                             ;   in Loop: Header=BB2_3241 Depth=3
	s_or_b32 exec_lo, exec_lo, s74
.LBB2_3312:                             ;   in Loop: Header=BB2_3241 Depth=3
	s_delay_alu instid0(SALU_CYCLE_1)
	s_or_b32 exec_lo, exec_lo, s15
.LBB2_3313:                             ;   in Loop: Header=BB2_3241 Depth=3
	s_delay_alu instid0(SALU_CYCLE_1) | instskip(SKIP_3) | instid1(VALU_DEP_1)
	s_or_b32 exec_lo, exec_lo, s14
	v_lshrrev_b32_e32 v2, 16, v8
	s_mov_b32 s15, 0
	s_mov_b32 s14, exec_lo
	v_and_b32_e32 v58, 0xff, v2
	s_delay_alu instid0(VALU_DEP_1)
	v_cmpx_lt_i16_e32 0x7f, v58
	s_xor_b32 s14, exec_lo, s14
	s_cbranch_execz .LBB2_3318
; %bb.3314:                             ;   in Loop: Header=BB2_3241 Depth=3
	s_mov_b32 s15, -1
	s_mov_b32 s74, exec_lo
	v_cmpx_eq_u16_e32 0x80, v58
; %bb.3315:                             ;   in Loop: Header=BB2_3241 Depth=3
	s_xor_b32 s15, exec_lo, -1
; %bb.3316:                             ;   in Loop: Header=BB2_3241 Depth=3
	s_or_b32 exec_lo, exec_lo, s74
	s_delay_alu instid0(SALU_CYCLE_1)
	s_and_b32 s15, s15, exec_lo
                                        ; implicit-def: $vgpr58
	s_or_saveexec_b32 s14, s14
	v_bfrev_b32_e32 v57, 1
	s_xor_b32 exec_lo, exec_lo, s14
	s_cbranch_execnz .LBB2_3319
.LBB2_3317:                             ;   in Loop: Header=BB2_3241 Depth=3
	s_or_b32 exec_lo, exec_lo, s14
	s_and_saveexec_b32 s14, s15
	s_cbranch_execnz .LBB2_3320
	s_branch .LBB2_3323
.LBB2_3318:                             ;   in Loop: Header=BB2_3241 Depth=3
	s_or_saveexec_b32 s14, s14
	v_bfrev_b32_e32 v57, 1
	s_xor_b32 exec_lo, exec_lo, s14
	s_cbranch_execz .LBB2_3317
.LBB2_3319:                             ;   in Loop: Header=BB2_3241 Depth=3
	v_cmp_ne_u16_e64 s13, 0, v58
	v_mov_b32_e32 v57, 0
	s_and_not1_b32 s15, s15, exec_lo
	s_and_b32 s13, s13, exec_lo
	s_delay_alu instid0(SALU_CYCLE_1)
	s_or_b32 s15, s15, s13
	s_or_b32 exec_lo, exec_lo, s14
	s_and_saveexec_b32 s14, s15
	s_cbranch_execz .LBB2_3323
.LBB2_3320:                             ;   in Loop: Header=BB2_3241 Depth=3
	v_and_b32_e32 v58, 0x7f, v2
	v_mov_b32_e32 v57, 0x7f800001
	s_mov_b32 s15, exec_lo
	s_delay_alu instid0(VALU_DEP_2)
	v_cmpx_ne_u32_e32 0x7f, v58
	s_cbranch_execz .LBB2_3322
; %bb.3321:                             ;   in Loop: Header=BB2_3241 Depth=3
	v_and_b32_e32 v18, 7, v2
	v_cmp_gt_u32_e64 s13, 8, v58
	s_delay_alu instid0(VALU_DEP_2) | instskip(NEXT) | instid1(VALU_DEP_1)
	v_clz_i32_u32_e32 v19, v18
	v_min_u32_e32 v19, 32, v19
	s_delay_alu instid0(VALU_DEP_1) | instskip(SKIP_1) | instid1(VALU_DEP_2)
	v_subrev_nc_u32_e32 v57, 28, v19
	v_sub_nc_u32_e32 v19, 29, v19
	v_lshlrev_b64_e32 v[60:61], v57, v[2:3]
	s_delay_alu instid0(VALU_DEP_1) | instskip(NEXT) | instid1(VALU_DEP_1)
	v_dual_lshrrev_b32 v57, 3, v58 :: v_dual_bitop2_b32 v58, 7, v60 bitop3:0x40
	v_dual_lshlrev_b32 v2, 24, v2 :: v_dual_cndmask_b32 v19, v57, v19, s13
	s_delay_alu instid0(VALU_DEP_2) | instskip(NEXT) | instid1(VALU_DEP_2)
	v_cndmask_b32_e64 v18, v18, v58, s13
	v_and_b32_e32 v2, 0x80000000, v2
	s_delay_alu instid0(VALU_DEP_3) | instskip(NEXT) | instid1(VALU_DEP_3)
	v_lshl_add_u32 v19, v19, 23, 0x3c000000
	v_lshlrev_b32_e32 v18, 20, v18
	s_delay_alu instid0(VALU_DEP_1)
	v_or3_b32 v57, v18, v2, v19
.LBB2_3322:                             ;   in Loop: Header=BB2_3241 Depth=3
	s_or_b32 exec_lo, exec_lo, s15
.LBB2_3323:                             ;   in Loop: Header=BB2_3241 Depth=3
	s_delay_alu instid0(SALU_CYCLE_1) | instskip(NEXT) | instid1(VALU_DEP_1)
	s_or_b32 exec_lo, exec_lo, s14
	v_add_f32_e32 v56, v56, v57
                                        ; implicit-def: $vgpr92
	s_mov_b32 s14, exec_lo
	s_delay_alu instid0(VALU_DEP_1) | instskip(SKIP_1) | instid1(VALU_DEP_2)
	v_and_b32_e32 v2, 0x7f800000, v56
	v_lshrrev_b32_e32 v57, 24, v56
	v_cmpx_ne_u64_e32 0x7f800000, v[2:3]
	s_xor_b32 s15, exec_lo, s14
	s_cbranch_execz .LBB2_3337
; %bb.3324:                             ;   in Loop: Header=BB2_3241 Depth=3
	v_and_b32_e32 v2, 0x7fffffff, v56
	v_and_b32_e32 v60, 0x80, v57
                                        ; implicit-def: $vgpr92
	s_mov_b32 s14, exec_lo
	s_delay_alu instid0(VALU_DEP_2)
	v_cmpx_gt_u64_e32 0x43e00001, v[2:3]
	s_xor_b32 s74, exec_lo, s14
	s_cbranch_execz .LBB2_3334
; %bb.3325:                             ;   in Loop: Header=BB2_3241 Depth=3
	v_mov_b32_e32 v92, 0
	s_mov_b32 s75, exec_lo
	v_cmpx_ne_u32_e32 0, v56
	s_cbranch_execz .LBB2_3333
; %bb.3326:                             ;   in Loop: Header=BB2_3241 Depth=3
	v_bfe_u32 v61, v56, 23, 8
	s_delay_alu instid0(VALU_DEP_1) | instskip(SKIP_1) | instid1(VALU_DEP_1)
	v_sub_nc_u32_e32 v2, 0x79, v61
	v_cmp_gt_u32_e64 s13, 0x7a, v61
	v_cndmask_b32_e64 v2, 0, v2, s13
	v_cmp_eq_u32_e64 s13, 0, v61
	s_delay_alu instid0(VALU_DEP_1) | instskip(SKIP_1) | instid1(VALU_DEP_2)
	v_cndmask_b32_e64 v92, v2, 0x78, s13
	v_and_b32_e32 v2, 0x7fffff, v56
	v_add_nc_u32_e32 v18, 20, v92
	s_delay_alu instid0(VALU_DEP_2) | instskip(NEXT) | instid1(VALU_DEP_2)
	v_or_b32_e32 v19, 0x800000, v2
	v_lshlrev_b64_e64 v[56:57], v18, -1
	s_delay_alu instid0(VALU_DEP_2) | instskip(NEXT) | instid1(VALU_DEP_1)
	v_dual_add_nc_u32 v18, 19, v92 :: v_dual_cndmask_b32 v2, v19, v2, s13
	v_lshlrev_b64_e64 v[58:59], v18, 1
	s_delay_alu instid0(VALU_DEP_3) | instskip(NEXT) | instid1(VALU_DEP_3)
	v_bfi_b32 v95, v57, 0, 0
	v_bfi_b32 v94, v56, 0, v2
	v_lshrrev_b64 v[56:57], v92, v[2:3]
	s_delay_alu instid0(VALU_DEP_2) | instskip(NEXT) | instid1(VALU_DEP_2)
	v_cmp_eq_u64_e64 s14, v[94:95], v[58:59]
	v_mov_b64_e32 v[58:59], v[56:57]
	s_and_saveexec_b32 s76, s14
; %bb.3327:                             ;   in Loop: Header=BB2_3241 Depth=3
	v_bfe_u32 v2, v56, 20, 1
	s_delay_alu instid0(VALU_DEP_1) | instskip(NEXT) | instid1(VALU_DEP_1)
	v_add_nc_u64_e32 v[58:59], v[56:57], v[2:3]
	v_add_nc_u64_e32 v[58:59], -1, v[58:59]
; %bb.3328:                             ;   in Loop: Header=BB2_3241 Depth=3
	s_or_b32 exec_lo, exec_lo, s76
	v_add_nc_u32_e32 v2, 0xffffff81, v61
	v_lshrrev_b32_e32 v18, 23, v56
	s_mov_b32 s14, exec_lo
	s_delay_alu instid0(VALU_DEP_2) | instskip(NEXT) | instid1(VALU_DEP_1)
	v_cndmask_b32_e64 v2, v2, 0xffffff82, s13
	v_add3_u32 v59, v92, v2, v18
	v_and_b32_e32 v2, 0xfffff, v58
                                        ; implicit-def: $vgpr58
	s_delay_alu instid0(VALU_DEP_1) | instskip(NEXT) | instid1(VALU_DEP_1)
	v_dual_add_nc_u32 v61, 6, v59 :: v_dual_add_nc_u32 v2, v2, v56
                                        ; implicit-def: $vgpr56_vgpr57
	v_cmpx_ne_u32_e32 0, v61
	s_xor_b32 s14, exec_lo, s14
; %bb.3329:                             ;   in Loop: Header=BB2_3241 Depth=3
	s_delay_alu instid0(VALU_DEP_2) | instskip(SKIP_1) | instid1(VALU_DEP_1)
	v_cmp_lt_u64_e64 s13, 0xffffff, v[2:3]
	v_add_nc_u32_e32 v18, 7, v59
	v_cndmask_b32_e64 v58, v61, v18, s13
	v_cndmask_b32_e64 v18, 0, 1, s13
	s_delay_alu instid0(VALU_DEP_1)
	v_lshrrev_b64 v[56:57], v18, v[2:3]
; %bb.3330:                             ;   in Loop: Header=BB2_3241 Depth=3
	s_and_not1_saveexec_b32 s13, s14
; %bb.3331:                             ;   in Loop: Header=BB2_3241 Depth=3
	v_mov_b64_e32 v[56:57], v[2:3]
	v_bfe_u32 v58, v2, 23, 1
; %bb.3332:                             ;   in Loop: Header=BB2_3241 Depth=3
	s_or_b32 exec_lo, exec_lo, s13
	s_delay_alu instid0(VALU_DEP_2) | instskip(NEXT) | instid1(VALU_DEP_2)
	v_lshrrev_b64 v[56:57], 20, v[56:57]
	v_cmp_gt_i32_e64 s13, 16, v58
	v_min_i32_e32 v2, 15, v58
	v_cmp_eq_u32_e64 s14, 0, v58
	s_delay_alu instid0(VALU_DEP_2) | instskip(SKIP_1) | instid1(VALU_DEP_2)
	v_dual_cndmask_b32 v57, 0, v57, s13 :: v_dual_lshlrev_b32 v2, 3, v2
	v_cndmask_b32_e64 v56, 7, v56, s13
	v_and_b32_e32 v2, 0xf8, v2
	s_delay_alu instid0(VALU_DEP_2) | instskip(NEXT) | instid1(VALU_DEP_2)
	v_cmp_eq_u64_e64 s13, 0, v[56:57]
	v_and_or_b32 v2, v56, 7, v2
	s_and_b32 s13, s14, s13
	s_delay_alu instid0(VALU_DEP_1) | instid1(SALU_CYCLE_1)
	v_cndmask_b32_e64 v2, v2, 0, s13
	s_delay_alu instid0(VALU_DEP_1)
	v_or_b32_e32 v92, v2, v60
.LBB2_3333:                             ;   in Loop: Header=BB2_3241 Depth=3
	s_or_b32 exec_lo, exec_lo, s75
                                        ; implicit-def: $vgpr60
.LBB2_3334:                             ;   in Loop: Header=BB2_3241 Depth=3
	s_and_not1_saveexec_b32 s13, s74
; %bb.3335:                             ;   in Loop: Header=BB2_3241 Depth=3
	v_or_b32_e32 v92, 0x7e, v60
; %bb.3336:                             ;   in Loop: Header=BB2_3241 Depth=3
	s_or_b32 exec_lo, exec_lo, s13
                                        ; implicit-def: $vgpr57
.LBB2_3337:                             ;   in Loop: Header=BB2_3241 Depth=3
	s_and_not1_saveexec_b32 s13, s15
; %bb.3338:                             ;   in Loop: Header=BB2_3241 Depth=3
	v_or_b32_e32 v92, 0x7f, v57
; %bb.3339:                             ;   in Loop: Header=BB2_3241 Depth=3
	s_or_b32 exec_lo, exec_lo, s13
	v_mov_b32_e32 v56, 0
	s_mov_b32 s14, exec_lo
	v_cmpx_lt_u32_e32 0xffffff, v12
	s_cbranch_execz .LBB2_3347
; %bb.3340:                             ;   in Loop: Header=BB2_3241 Depth=3
	v_lshrrev_b32_e32 v57, 24, v12
	v_bfrev_b32_e32 v56, 1
	s_mov_b32 s15, exec_lo
	s_delay_alu instid0(VALU_DEP_2)
	v_cmpx_ne_u32_e32 0x80, v57
	s_cbranch_execz .LBB2_3346
; %bb.3341:                             ;   in Loop: Header=BB2_3241 Depth=3
	v_bfe_u32 v58, v12, 24, 7
	v_mov_b32_e32 v56, 0x7f800001
	s_mov_b32 s74, exec_lo
	s_delay_alu instid0(VALU_DEP_2)
	v_cmpx_ne_u32_e32 0x7f, v58
	s_cbranch_execz .LBB2_3345
; %bb.3342:                             ;   in Loop: Header=BB2_3241 Depth=3
	v_dual_lshrrev_b32 v56, 3, v58 :: v_dual_bitop2_b32 v2, 7, v57 bitop3:0x40
	s_mov_b32 s75, exec_lo
	v_cmpx_gt_u32_e32 8, v58
; %bb.3343:                             ;   in Loop: Header=BB2_3241 Depth=3
	s_delay_alu instid0(VALU_DEP_2) | instskip(NEXT) | instid1(VALU_DEP_1)
	v_clz_i32_u32_e32 v18, v2
	v_min_u32_e32 v18, 32, v18
	s_delay_alu instid0(VALU_DEP_1) | instskip(SKIP_1) | instid1(VALU_DEP_2)
	v_subrev_nc_u32_e32 v19, 28, v18
	v_sub_nc_u32_e32 v56, 29, v18
	v_lshlrev_b64_e32 v[58:59], v19, v[2:3]
	s_delay_alu instid0(VALU_DEP_1)
	v_and_b32_e32 v2, 7, v58
; %bb.3344:                             ;   in Loop: Header=BB2_3241 Depth=3
	s_or_b32 exec_lo, exec_lo, s75
	s_delay_alu instid0(VALU_DEP_1) | instskip(SKIP_1) | instid1(VALU_DEP_2)
	v_dual_lshlrev_b32 v18, 24, v57 :: v_dual_lshlrev_b32 v2, 20, v2
	v_lshl_add_u32 v19, v56, 23, 0x3c000000
	v_and_b32_e32 v18, 0x80000000, v18
	s_delay_alu instid0(VALU_DEP_1)
	v_or3_b32 v56, v2, v18, v19
.LBB2_3345:                             ;   in Loop: Header=BB2_3241 Depth=3
	s_or_b32 exec_lo, exec_lo, s74
.LBB2_3346:                             ;   in Loop: Header=BB2_3241 Depth=3
	s_delay_alu instid0(SALU_CYCLE_1)
	s_or_b32 exec_lo, exec_lo, s15
.LBB2_3347:                             ;   in Loop: Header=BB2_3241 Depth=3
	s_delay_alu instid0(SALU_CYCLE_1) | instskip(SKIP_3) | instid1(VALU_DEP_3)
	s_or_b32 exec_lo, exec_lo, s14
	v_lshrrev_b32_e32 v2, 24, v8
	v_bfe_u32 v57, v8, 24, 7
	v_cmp_gt_u32_e64 s15, 0x1000000, v8
	v_cmp_eq_u32_e64 s13, 0x80, v2
	s_delay_alu instid0(VALU_DEP_3) | instskip(NEXT) | instid1(VALU_DEP_2)
	v_cmp_eq_u32_e64 s14, 0x7f, v57
	v_cndmask_b32_e64 v18, 0x7f800001, v77, s13
	s_or_b32 s13, s13, s14
	s_delay_alu instid0(SALU_CYCLE_1) | instskip(NEXT) | instid1(VALU_DEP_1)
	s_nor_b32 s13, s15, s13
	v_cndmask_b32_e64 v58, v18, 0, s15
	s_and_saveexec_b32 s14, s13
	s_cbranch_execz .LBB2_3349
; %bb.3348:                             ;   in Loop: Header=BB2_3241 Depth=3
	v_and_b32_e32 v18, 7, v2
	v_cmp_gt_u32_e64 s13, 8, v57
	s_delay_alu instid0(VALU_DEP_2) | instskip(NEXT) | instid1(VALU_DEP_1)
	v_clz_i32_u32_e32 v19, v18
	v_min_u32_e32 v19, 32, v19
	s_delay_alu instid0(VALU_DEP_1) | instskip(NEXT) | instid1(VALU_DEP_1)
	v_subrev_nc_u32_e32 v58, 28, v19
	v_lshlrev_b64_e32 v[58:59], v58, v[2:3]
	v_dual_lshrrev_b32 v59, 3, v57 :: v_dual_sub_nc_u32 v19, 29, v19
	s_delay_alu instid0(VALU_DEP_2) | instskip(NEXT) | instid1(VALU_DEP_2)
	v_and_b32_e32 v57, 7, v58
	v_dual_lshlrev_b32 v2, 24, v2 :: v_dual_cndmask_b32 v19, v59, v19, s13
	s_delay_alu instid0(VALU_DEP_2) | instskip(NEXT) | instid1(VALU_DEP_2)
	v_cndmask_b32_e64 v18, v18, v57, s13
	v_and_b32_e32 v2, 0x80000000, v2
	s_delay_alu instid0(VALU_DEP_3) | instskip(NEXT) | instid1(VALU_DEP_3)
	v_lshl_add_u32 v19, v19, 23, 0x3c000000
	v_lshlrev_b32_e32 v18, 20, v18
	s_delay_alu instid0(VALU_DEP_1)
	v_or3_b32 v58, v18, v2, v19
.LBB2_3349:                             ;   in Loop: Header=BB2_3241 Depth=3
	s_or_b32 exec_lo, exec_lo, s14
	s_delay_alu instid0(VALU_DEP_1) | instskip(SKIP_1) | instid1(VALU_DEP_1)
	v_add_f32_e32 v56, v56, v58
                                        ; implicit-def: $vgpr93
	s_mov_b32 s14, exec_lo
	v_and_b32_e32 v2, 0x7f800000, v56
	v_lshrrev_b32_e32 v57, 24, v56
	s_delay_alu instid0(VALU_DEP_2)
	v_cmpx_ne_u64_e32 0x7f800000, v[2:3]
	s_xor_b32 s15, exec_lo, s14
	s_cbranch_execz .LBB2_3363
; %bb.3350:                             ;   in Loop: Header=BB2_3241 Depth=3
	v_and_b32_e32 v2, 0x7fffffff, v56
	v_and_b32_e32 v60, 0x80, v57
                                        ; implicit-def: $vgpr93
	s_mov_b32 s14, exec_lo
	s_delay_alu instid0(VALU_DEP_2)
	v_cmpx_gt_u64_e32 0x43e00001, v[2:3]
	s_xor_b32 s74, exec_lo, s14
	s_cbranch_execz .LBB2_3360
; %bb.3351:                             ;   in Loop: Header=BB2_3241 Depth=3
	v_mov_b32_e32 v93, 0
	s_mov_b32 s75, exec_lo
	v_cmpx_ne_u32_e32 0, v56
	s_cbranch_execz .LBB2_3359
; %bb.3352:                             ;   in Loop: Header=BB2_3241 Depth=3
	v_bfe_u32 v61, v56, 23, 8
	s_delay_alu instid0(VALU_DEP_1) | instskip(SKIP_1) | instid1(VALU_DEP_1)
	v_sub_nc_u32_e32 v2, 0x79, v61
	v_cmp_gt_u32_e64 s13, 0x7a, v61
	v_cndmask_b32_e64 v2, 0, v2, s13
	v_cmp_eq_u32_e64 s13, 0, v61
	s_delay_alu instid0(VALU_DEP_1) | instskip(SKIP_1) | instid1(VALU_DEP_2)
	v_cndmask_b32_e64 v93, v2, 0x78, s13
	v_and_b32_e32 v2, 0x7fffff, v56
	v_add_nc_u32_e32 v18, 20, v93
	s_delay_alu instid0(VALU_DEP_2) | instskip(NEXT) | instid1(VALU_DEP_2)
	v_or_b32_e32 v19, 0x800000, v2
	v_lshlrev_b64_e64 v[56:57], v18, -1
	s_delay_alu instid0(VALU_DEP_2) | instskip(NEXT) | instid1(VALU_DEP_1)
	v_dual_add_nc_u32 v18, 19, v93 :: v_dual_cndmask_b32 v2, v19, v2, s13
	v_lshlrev_b64_e64 v[58:59], v18, 1
	s_delay_alu instid0(VALU_DEP_3) | instskip(NEXT) | instid1(VALU_DEP_3)
	v_bfi_b32 v95, v57, 0, 0
	v_bfi_b32 v94, v56, 0, v2
	v_lshrrev_b64 v[56:57], v93, v[2:3]
	s_delay_alu instid0(VALU_DEP_2) | instskip(NEXT) | instid1(VALU_DEP_2)
	v_cmp_eq_u64_e64 s14, v[94:95], v[58:59]
	v_mov_b64_e32 v[58:59], v[56:57]
	s_and_saveexec_b32 s76, s14
; %bb.3353:                             ;   in Loop: Header=BB2_3241 Depth=3
	v_bfe_u32 v2, v56, 20, 1
	s_delay_alu instid0(VALU_DEP_1) | instskip(NEXT) | instid1(VALU_DEP_1)
	v_add_nc_u64_e32 v[58:59], v[56:57], v[2:3]
	v_add_nc_u64_e32 v[58:59], -1, v[58:59]
; %bb.3354:                             ;   in Loop: Header=BB2_3241 Depth=3
	s_or_b32 exec_lo, exec_lo, s76
	v_add_nc_u32_e32 v2, 0xffffff81, v61
	v_lshrrev_b32_e32 v18, 23, v56
	s_mov_b32 s14, exec_lo
	s_delay_alu instid0(VALU_DEP_2) | instskip(NEXT) | instid1(VALU_DEP_1)
	v_cndmask_b32_e64 v2, v2, 0xffffff82, s13
	v_add3_u32 v59, v93, v2, v18
	v_and_b32_e32 v2, 0xfffff, v58
                                        ; implicit-def: $vgpr58
	s_delay_alu instid0(VALU_DEP_1) | instskip(NEXT) | instid1(VALU_DEP_1)
	v_dual_add_nc_u32 v61, 6, v59 :: v_dual_add_nc_u32 v2, v2, v56
                                        ; implicit-def: $vgpr56_vgpr57
	v_cmpx_ne_u32_e32 0, v61
	s_xor_b32 s14, exec_lo, s14
; %bb.3355:                             ;   in Loop: Header=BB2_3241 Depth=3
	s_delay_alu instid0(VALU_DEP_2) | instskip(SKIP_1) | instid1(VALU_DEP_1)
	v_cmp_lt_u64_e64 s13, 0xffffff, v[2:3]
	v_add_nc_u32_e32 v18, 7, v59
	v_cndmask_b32_e64 v58, v61, v18, s13
	v_cndmask_b32_e64 v18, 0, 1, s13
	s_delay_alu instid0(VALU_DEP_1)
	v_lshrrev_b64 v[56:57], v18, v[2:3]
; %bb.3356:                             ;   in Loop: Header=BB2_3241 Depth=3
	s_and_not1_saveexec_b32 s13, s14
; %bb.3357:                             ;   in Loop: Header=BB2_3241 Depth=3
	v_mov_b64_e32 v[56:57], v[2:3]
	v_bfe_u32 v58, v2, 23, 1
; %bb.3358:                             ;   in Loop: Header=BB2_3241 Depth=3
	s_or_b32 exec_lo, exec_lo, s13
	s_delay_alu instid0(VALU_DEP_2) | instskip(NEXT) | instid1(VALU_DEP_2)
	v_lshrrev_b64 v[56:57], 20, v[56:57]
	v_cmp_gt_i32_e64 s13, 16, v58
	v_min_i32_e32 v2, 15, v58
	v_cmp_eq_u32_e64 s14, 0, v58
	s_delay_alu instid0(VALU_DEP_2) | instskip(SKIP_1) | instid1(VALU_DEP_2)
	v_dual_cndmask_b32 v57, 0, v57, s13 :: v_dual_lshlrev_b32 v2, 3, v2
	v_cndmask_b32_e64 v56, 7, v56, s13
	v_and_b32_e32 v2, 0xf8, v2
	s_delay_alu instid0(VALU_DEP_2) | instskip(NEXT) | instid1(VALU_DEP_2)
	v_cmp_eq_u64_e64 s13, 0, v[56:57]
	v_and_or_b32 v2, v56, 7, v2
	s_and_b32 s13, s14, s13
	s_delay_alu instid0(VALU_DEP_1) | instid1(SALU_CYCLE_1)
	v_cndmask_b32_e64 v2, v2, 0, s13
	s_delay_alu instid0(VALU_DEP_1)
	v_or_b32_e32 v93, v2, v60
.LBB2_3359:                             ;   in Loop: Header=BB2_3241 Depth=3
	s_or_b32 exec_lo, exec_lo, s75
                                        ; implicit-def: $vgpr60
.LBB2_3360:                             ;   in Loop: Header=BB2_3241 Depth=3
	s_and_not1_saveexec_b32 s13, s74
; %bb.3361:                             ;   in Loop: Header=BB2_3241 Depth=3
	v_or_b32_e32 v93, 0x7e, v60
; %bb.3362:                             ;   in Loop: Header=BB2_3241 Depth=3
	s_or_b32 exec_lo, exec_lo, s13
                                        ; implicit-def: $vgpr57
.LBB2_3363:                             ;   in Loop: Header=BB2_3241 Depth=3
	s_and_not1_saveexec_b32 s13, s15
; %bb.3364:                             ;   in Loop: Header=BB2_3241 Depth=3
	v_or_b32_e32 v93, 0x7f, v57
; %bb.3365:                             ;   in Loop: Header=BB2_3241 Depth=3
	s_or_b32 exec_lo, exec_lo, s13
	v_and_b32_e32 v56, 0xff, v13
	v_dual_mov_b32 v2, v13 :: v_dual_mov_b32 v58, 0
	s_mov_b32 s14, exec_lo
	s_delay_alu instid0(VALU_DEP_2)
	v_cmpx_ne_u16_e32 0, v56
	s_cbranch_execz .LBB2_3371
; %bb.3366:                             ;   in Loop: Header=BB2_3241 Depth=3
	v_bfrev_b32_e32 v58, 1
	s_mov_b32 s15, exec_lo
	v_cmpx_ne_u16_e32 0x80, v56
	s_cbranch_execz .LBB2_3370
; %bb.3367:                             ;   in Loop: Header=BB2_3241 Depth=3
	v_and_b32_e32 v56, 0x7f, v13
	v_mov_b32_e32 v58, 0x7f800001
	s_mov_b32 s74, exec_lo
	s_delay_alu instid0(VALU_DEP_2)
	v_cmpx_ne_u32_e32 0x7f, v56
	s_cbranch_execz .LBB2_3369
; %bb.3368:                             ;   in Loop: Header=BB2_3241 Depth=3
	v_dual_lshrrev_b32 v19, 3, v56 :: v_dual_bitop2_b32 v18, 7, v13 bitop3:0x40
	v_cmp_gt_u32_e64 s13, 8, v56
	s_delay_alu instid0(VALU_DEP_2) | instskip(NEXT) | instid1(VALU_DEP_1)
	v_clz_i32_u32_e32 v18, v18
	v_min_u32_e32 v18, 32, v18
	s_delay_alu instid0(VALU_DEP_1) | instskip(SKIP_1) | instid1(VALU_DEP_1)
	v_subrev_nc_u32_e32 v57, 28, v18
	v_sub_nc_u32_e32 v18, 29, v18
	v_dual_cndmask_b32 v18, v19, v18, s13 :: v_dual_cndmask_b32 v19, 0, v57, s13
	s_delay_alu instid0(VALU_DEP_1) | instskip(SKIP_1) | instid1(VALU_DEP_1)
	v_lshlrev_b64_e32 v[56:57], v19, v[2:3]
	v_lshlrev_b32_e32 v19, 24, v2
	v_and_b32_e32 v19, 0x80000000, v19
	s_delay_alu instid0(VALU_DEP_3) | instskip(SKIP_1) | instid1(VALU_DEP_2)
	v_lshlrev_b32_e32 v56, 20, v56
	v_lshl_add_u32 v18, v18, 23, 0x3c000000
	v_and_b32_e32 v56, 0x700000, v56
	s_delay_alu instid0(VALU_DEP_1)
	v_or3_b32 v58, v56, v19, v18
.LBB2_3369:                             ;   in Loop: Header=BB2_3241 Depth=3
	s_or_b32 exec_lo, exec_lo, s74
.LBB2_3370:                             ;   in Loop: Header=BB2_3241 Depth=3
	s_delay_alu instid0(SALU_CYCLE_1)
	s_or_b32 exec_lo, exec_lo, s15
.LBB2_3371:                             ;   in Loop: Header=BB2_3241 Depth=3
	s_delay_alu instid0(SALU_CYCLE_1) | instskip(SKIP_4) | instid1(VALU_DEP_2)
	s_or_b32 exec_lo, exec_lo, s14
	v_and_b32_e32 v57, 0xff, v9
	v_mov_b32_e32 v56, v9
	s_mov_b32 s14, 0
	s_mov_b32 s15, exec_lo
	v_cmpx_lt_i16_e32 0x7f, v57
	s_xor_b32 s15, exec_lo, s15
	s_cbranch_execz .LBB2_3406
; %bb.3372:                             ;   in Loop: Header=BB2_3241 Depth=3
	s_mov_b32 s14, -1
	s_mov_b32 s74, exec_lo
	v_cmpx_eq_u16_e32 0x80, v57
; %bb.3373:                             ;   in Loop: Header=BB2_3241 Depth=3
	s_xor_b32 s14, exec_lo, -1
; %bb.3374:                             ;   in Loop: Header=BB2_3241 Depth=3
	s_or_b32 exec_lo, exec_lo, s74
	s_delay_alu instid0(SALU_CYCLE_1)
	s_and_b32 s14, s14, exec_lo
                                        ; implicit-def: $vgpr57
	s_or_saveexec_b32 s15, s15
	v_bfrev_b32_e32 v59, 1
	s_xor_b32 exec_lo, exec_lo, s15
	s_cbranch_execnz .LBB2_3407
.LBB2_3375:                             ;   in Loop: Header=BB2_3241 Depth=3
	s_or_b32 exec_lo, exec_lo, s15
	v_mov_b32_e32 v57, v3
	s_and_saveexec_b32 s15, s14
	s_cbranch_execz .LBB2_3377
.LBB2_3376:                             ;   in Loop: Header=BB2_3241 Depth=3
	v_and_b32_e32 v19, 0x7f, v9
	v_bfe_u32 v59, v9, 3, 4
	s_delay_alu instid0(VALU_DEP_2) | instskip(SKIP_1) | instid1(VALU_DEP_1)
	v_cmp_gt_u32_e64 s13, 8, v19
	v_and_b32_e32 v18, 7, v9
	v_clz_i32_u32_e32 v18, v18
	s_delay_alu instid0(VALU_DEP_1) | instskip(NEXT) | instid1(VALU_DEP_1)
	v_min_u32_e32 v18, 32, v18
	v_subrev_nc_u32_e32 v60, 28, v18
	v_sub_nc_u32_e32 v18, 29, v18
	s_delay_alu instid0(VALU_DEP_1) | instskip(SKIP_1) | instid1(VALU_DEP_2)
	v_dual_cndmask_b32 v18, v59, v18, s13 :: v_dual_cndmask_b32 v59, 0, v60, s13
	v_cmp_ne_u32_e64 s13, 0x7f, v19
	v_lshlrev_b64_e32 v[60:61], v59, v[56:57]
	v_lshlrev_b32_e32 v57, 24, v56
	s_delay_alu instid0(VALU_DEP_1) | instskip(NEXT) | instid1(VALU_DEP_3)
	v_and_b32_e32 v57, 0x80000000, v57
	v_lshlrev_b32_e32 v59, 20, v60
	v_lshl_add_u32 v18, v18, 23, 0x3c000000
	s_delay_alu instid0(VALU_DEP_2) | instskip(NEXT) | instid1(VALU_DEP_1)
	v_and_b32_e32 v59, 0x700000, v59
	v_or3_b32 v18, v59, v57, v18
	s_delay_alu instid0(VALU_DEP_1)
	v_cndmask_b32_e64 v59, 0x7f800001, v18, s13
.LBB2_3377:                             ;   in Loop: Header=BB2_3241 Depth=3
	s_or_b32 exec_lo, exec_lo, s15
	s_delay_alu instid0(VALU_DEP_1) | instskip(NEXT) | instid1(VALU_DEP_1)
	v_dual_add_f32 v58, v58, v59 :: v_dual_mov_b32 v61, v3
	v_and_b32_e32 v60, 0x7f800000, v58
	v_lshrrev_b32_e32 v57, 24, v58
	s_delay_alu instid0(VALU_DEP_2) | instskip(SKIP_1) | instid1(SALU_CYCLE_1)
	v_cmp_ne_u64_e64 s13, 0x7f800000, v[60:61]
                                        ; implicit-def: $vgpr60
	s_and_saveexec_b32 s14, s13
	s_xor_b32 s15, exec_lo, s14
	s_cbranch_execz .LBB2_3391
; %bb.3378:                             ;   in Loop: Header=BB2_3241 Depth=3
	v_and_b32_e32 v60, 0x7fffffff, v58
	v_mov_b32_e32 v61, v3
	v_and_b32_e32 v57, 0x80, v57
	s_delay_alu instid0(VALU_DEP_2) | instskip(SKIP_1) | instid1(SALU_CYCLE_1)
	v_cmp_gt_u64_e64 s13, 0x43e00001, v[60:61]
                                        ; implicit-def: $vgpr60
	s_and_saveexec_b32 s14, s13
	s_xor_b32 s74, exec_lo, s14
	s_cbranch_execz .LBB2_3388
; %bb.3379:                             ;   in Loop: Header=BB2_3241 Depth=3
	v_mov_b32_e32 v60, 0
	s_mov_b32 s75, exec_lo
	v_cmpx_ne_u32_e32 0, v58
	s_cbranch_execz .LBB2_3387
; %bb.3380:                             ;   in Loop: Header=BB2_3241 Depth=3
	v_bfe_u32 v94, v58, 23, 8
	s_mov_b32 s76, exec_lo
	s_delay_alu instid0(VALU_DEP_1) | instskip(SKIP_1) | instid1(VALU_DEP_1)
	v_dual_mov_b32 v61, v3 :: v_dual_sub_nc_u32 v18, 0x79, v94
	v_cmp_gt_u32_e64 s13, 0x7a, v94
	v_cndmask_b32_e64 v18, 0, v18, s13
	v_cmp_eq_u32_e64 s13, 0, v94
	s_delay_alu instid0(VALU_DEP_1) | instskip(SKIP_1) | instid1(VALU_DEP_2)
	v_cndmask_b32_e64 v95, v18, 0x78, s13
	v_and_b32_e32 v18, 0x7fffff, v58
	v_add_nc_u32_e32 v19, 20, v95
	s_delay_alu instid0(VALU_DEP_2) | instskip(NEXT) | instid1(VALU_DEP_2)
	v_or_b32_e32 v60, 0x800000, v18
	v_lshlrev_b64_e64 v[58:59], v19, -1
	s_delay_alu instid0(VALU_DEP_2) | instskip(NEXT) | instid1(VALU_DEP_1)
	v_dual_add_nc_u32 v19, 19, v95 :: v_dual_cndmask_b32 v60, v60, v18, s13
	v_lshlrev_b64_e64 v[104:105], v19, 1
	s_delay_alu instid0(VALU_DEP_3) | instskip(NEXT) | instid1(VALU_DEP_3)
	v_bfi_b32 v107, v59, 0, 0
	v_bfi_b32 v106, v58, 0, v60
	v_lshrrev_b64 v[58:59], v95, v[60:61]
	s_delay_alu instid0(VALU_DEP_1) | instskip(NEXT) | instid1(VALU_DEP_3)
	v_mov_b64_e32 v[60:61], v[58:59]
	v_cmpx_eq_u64_e64 v[106:107], v[104:105]
; %bb.3381:                             ;   in Loop: Header=BB2_3241 Depth=3
	v_bfe_u32 v60, v58, 20, 1
	v_mov_b32_e32 v61, v3
	s_delay_alu instid0(VALU_DEP_1) | instskip(NEXT) | instid1(VALU_DEP_1)
	v_add_nc_u64_e32 v[60:61], v[58:59], v[60:61]
	v_add_nc_u64_e32 v[60:61], -1, v[60:61]
; %bb.3382:                             ;   in Loop: Header=BB2_3241 Depth=3
	s_or_b32 exec_lo, exec_lo, s76
	v_dual_mov_b32 v59, v3 :: v_dual_add_nc_u32 v18, 0xffffff81, v94
	v_lshrrev_b32_e32 v19, 23, v58
	s_mov_b32 s14, exec_lo
	s_delay_alu instid0(VALU_DEP_2) | instskip(NEXT) | instid1(VALU_DEP_1)
	v_cndmask_b32_e64 v18, v18, 0xffffff82, s13
	v_add3_u32 v61, v95, v18, v19
	v_and_b32_e32 v18, 0xfffff, v60
                                        ; implicit-def: $vgpr60
	s_delay_alu instid0(VALU_DEP_1) | instskip(NEXT) | instid1(VALU_DEP_1)
	v_dual_add_nc_u32 v94, 6, v61 :: v_dual_add_nc_u32 v58, v18, v58
	v_cmpx_ne_u32_e32 0, v94
	s_xor_b32 s14, exec_lo, s14
; %bb.3383:                             ;   in Loop: Header=BB2_3241 Depth=3
	s_delay_alu instid0(VALU_DEP_2) | instskip(SKIP_1) | instid1(VALU_DEP_1)
	v_cmp_lt_u64_e64 s13, 0xffffff, v[58:59]
	v_add_nc_u32_e32 v18, 7, v61
	v_cndmask_b32_e64 v60, v94, v18, s13
	v_cndmask_b32_e64 v18, 0, 1, s13
	s_delay_alu instid0(VALU_DEP_1)
	v_lshrrev_b64 v[58:59], v18, v[58:59]
; %bb.3384:                             ;   in Loop: Header=BB2_3241 Depth=3
	s_and_not1_saveexec_b32 s13, s14
; %bb.3385:                             ;   in Loop: Header=BB2_3241 Depth=3
	s_delay_alu instid0(VALU_DEP_1)
	v_bfe_u32 v60, v58, 23, 1
; %bb.3386:                             ;   in Loop: Header=BB2_3241 Depth=3
	s_or_b32 exec_lo, exec_lo, s13
	s_delay_alu instid0(VALU_DEP_2) | instskip(NEXT) | instid1(VALU_DEP_2)
	v_lshrrev_b64 v[58:59], 20, v[58:59]
	v_cmp_gt_i32_e64 s13, 16, v60
	v_min_i32_e32 v18, 15, v60
	v_cmp_eq_u32_e64 s14, 0, v60
	s_delay_alu instid0(VALU_DEP_2) | instskip(SKIP_1) | instid1(VALU_DEP_2)
	v_dual_cndmask_b32 v59, 0, v59, s13 :: v_dual_lshlrev_b32 v18, 3, v18
	v_cndmask_b32_e64 v58, 7, v58, s13
	v_and_b32_e32 v18, 0xf8, v18
	s_delay_alu instid0(VALU_DEP_2) | instskip(NEXT) | instid1(VALU_DEP_2)
	v_cmp_eq_u64_e64 s13, 0, v[58:59]
	v_and_or_b32 v18, v58, 7, v18
	s_and_b32 s13, s14, s13
	s_delay_alu instid0(VALU_DEP_1) | instid1(SALU_CYCLE_1)
	v_cndmask_b32_e64 v18, v18, 0, s13
	s_delay_alu instid0(VALU_DEP_1)
	v_or_b32_e32 v60, v18, v57
.LBB2_3387:                             ;   in Loop: Header=BB2_3241 Depth=3
	s_or_b32 exec_lo, exec_lo, s75
                                        ; implicit-def: $vgpr57
.LBB2_3388:                             ;   in Loop: Header=BB2_3241 Depth=3
	s_and_not1_saveexec_b32 s13, s74
; %bb.3389:                             ;   in Loop: Header=BB2_3241 Depth=3
	v_or_b32_e32 v60, 0x7e, v57
; %bb.3390:                             ;   in Loop: Header=BB2_3241 Depth=3
	s_or_b32 exec_lo, exec_lo, s13
                                        ; implicit-def: $vgpr57
.LBB2_3391:                             ;   in Loop: Header=BB2_3241 Depth=3
	s_and_not1_saveexec_b32 s13, s15
; %bb.3392:                             ;   in Loop: Header=BB2_3241 Depth=3
	v_or_b32_e32 v60, 0x7f, v57
; %bb.3393:                             ;   in Loop: Header=BB2_3241 Depth=3
	s_or_b32 exec_lo, exec_lo, s13
	v_lshrrev_b16 v58, 8, v2
	v_mov_b32_e32 v57, 0
	s_mov_b32 s14, exec_lo
	s_delay_alu instid0(VALU_DEP_2)
	v_cmpx_ne_u16_e32 0, v58
	s_cbranch_execz .LBB2_3401
; %bb.3394:                             ;   in Loop: Header=BB2_3241 Depth=3
	v_bfrev_b32_e32 v57, 1
	s_mov_b32 s15, exec_lo
	v_cmpx_ne_u16_e32 0x80, v58
	s_cbranch_execz .LBB2_3400
; %bb.3395:                             ;   in Loop: Header=BB2_3241 Depth=3
	v_and_b32_e32 v58, 0xffff, v58
	v_mov_b32_e32 v57, 0x7f800001
	s_mov_b32 s74, exec_lo
	s_delay_alu instid0(VALU_DEP_2) | instskip(NEXT) | instid1(VALU_DEP_1)
	v_and_b32_e32 v61, 0x7f, v58
	v_cmpx_ne_u32_e32 0x7f, v61
	s_cbranch_execz .LBB2_3399
; %bb.3396:                             ;   in Loop: Header=BB2_3241 Depth=3
	v_dual_mov_b32 v59, v3 :: v_dual_bitop2_b32 v58, 7, v58 bitop3:0x40
	v_lshrrev_b32_e32 v57, 3, v61
	s_mov_b32 s75, exec_lo
	v_cmpx_gt_u32_e32 8, v61
; %bb.3397:                             ;   in Loop: Header=BB2_3241 Depth=3
	s_delay_alu instid0(VALU_DEP_3) | instskip(NEXT) | instid1(VALU_DEP_1)
	v_clz_i32_u32_e32 v18, v58
	v_min_u32_e32 v18, 32, v18
	s_delay_alu instid0(VALU_DEP_1) | instskip(SKIP_1) | instid1(VALU_DEP_2)
	v_subrev_nc_u32_e32 v19, 28, v18
	v_sub_nc_u32_e32 v57, 29, v18
	v_lshlrev_b64_e32 v[58:59], v19, v[58:59]
	s_delay_alu instid0(VALU_DEP_1)
	v_and_b32_e32 v58, 7, v58
; %bb.3398:                             ;   in Loop: Header=BB2_3241 Depth=3
	s_or_b32 exec_lo, exec_lo, s75
	v_lshlrev_b32_e32 v2, 16, v2
	s_delay_alu instid0(VALU_DEP_2) | instskip(SKIP_1) | instid1(VALU_DEP_3)
	v_lshlrev_b32_e32 v18, 20, v58
	v_lshl_add_u32 v19, v57, 23, 0x3c000000
	v_and_b32_e32 v2, 0x80000000, v2
	s_delay_alu instid0(VALU_DEP_1)
	v_or3_b32 v57, v18, v2, v19
.LBB2_3399:                             ;   in Loop: Header=BB2_3241 Depth=3
	s_or_b32 exec_lo, exec_lo, s74
.LBB2_3400:                             ;   in Loop: Header=BB2_3241 Depth=3
	s_delay_alu instid0(SALU_CYCLE_1)
	s_or_b32 exec_lo, exec_lo, s15
.LBB2_3401:                             ;   in Loop: Header=BB2_3241 Depth=3
	s_delay_alu instid0(SALU_CYCLE_1) | instskip(SKIP_3) | instid1(VALU_DEP_1)
	s_or_b32 exec_lo, exec_lo, s14
	v_lshrrev_b16 v56, 8, v56
	s_mov_b32 s15, 0
	s_mov_b32 s14, exec_lo
	v_cmpx_lt_i16_e32 0x7f, v56
	s_xor_b32 s14, exec_lo, s14
	s_cbranch_execz .LBB2_3408
; %bb.3402:                             ;   in Loop: Header=BB2_3241 Depth=3
	s_mov_b32 s15, -1
	s_mov_b32 s74, exec_lo
	v_cmpx_eq_u16_e32 0x80, v56
; %bb.3403:                             ;   in Loop: Header=BB2_3241 Depth=3
	s_xor_b32 s15, exec_lo, -1
; %bb.3404:                             ;   in Loop: Header=BB2_3241 Depth=3
	s_or_b32 exec_lo, exec_lo, s74
	s_delay_alu instid0(SALU_CYCLE_1)
	s_and_b32 s15, s15, exec_lo
	s_or_saveexec_b32 s14, s14
	v_bfrev_b32_e32 v58, 1
	s_xor_b32 exec_lo, exec_lo, s14
	s_cbranch_execnz .LBB2_3409
.LBB2_3405:                             ;   in Loop: Header=BB2_3241 Depth=3
	s_or_b32 exec_lo, exec_lo, s14
	s_and_saveexec_b32 s14, s15
	s_cbranch_execnz .LBB2_3410
	s_branch .LBB2_3413
.LBB2_3406:                             ;   in Loop: Header=BB2_3241 Depth=3
	s_or_saveexec_b32 s15, s15
	v_bfrev_b32_e32 v59, 1
	s_xor_b32 exec_lo, exec_lo, s15
	s_cbranch_execz .LBB2_3375
.LBB2_3407:                             ;   in Loop: Header=BB2_3241 Depth=3
	v_cmp_ne_u16_e64 s13, 0, v57
	v_mov_b32_e32 v59, 0
	s_and_not1_b32 s14, s14, exec_lo
	s_and_b32 s13, s13, exec_lo
	s_delay_alu instid0(SALU_CYCLE_1)
	s_or_b32 s14, s14, s13
	s_or_b32 exec_lo, exec_lo, s15
	v_mov_b32_e32 v57, v3
	s_and_saveexec_b32 s15, s14
	s_cbranch_execnz .LBB2_3376
	s_branch .LBB2_3377
.LBB2_3408:                             ;   in Loop: Header=BB2_3241 Depth=3
	s_or_saveexec_b32 s14, s14
	v_bfrev_b32_e32 v58, 1
	s_xor_b32 exec_lo, exec_lo, s14
	s_cbranch_execz .LBB2_3405
.LBB2_3409:                             ;   in Loop: Header=BB2_3241 Depth=3
	v_cmp_ne_u16_e64 s13, 0, v56
	v_mov_b32_e32 v58, 0
	s_and_not1_b32 s15, s15, exec_lo
	s_and_b32 s13, s13, exec_lo
	s_delay_alu instid0(SALU_CYCLE_1)
	s_or_b32 s15, s15, s13
	s_or_b32 exec_lo, exec_lo, s14
	s_and_saveexec_b32 s14, s15
	s_cbranch_execz .LBB2_3413
.LBB2_3410:                             ;   in Loop: Header=BB2_3241 Depth=3
	v_and_b32_e32 v2, 0xffff, v56
	v_mov_b32_e32 v58, 0x7f800001
	s_mov_b32 s15, exec_lo
	s_delay_alu instid0(VALU_DEP_2) | instskip(NEXT) | instid1(VALU_DEP_1)
	v_and_b32_e32 v59, 0x7f, v2
	v_cmpx_ne_u32_e32 0x7f, v59
	s_cbranch_execz .LBB2_3412
; %bb.3411:                             ;   in Loop: Header=BB2_3241 Depth=3
	v_and_b32_e32 v18, 7, v2
	v_cmp_gt_u32_e64 s13, 8, v59
	s_delay_alu instid0(VALU_DEP_2) | instskip(NEXT) | instid1(VALU_DEP_1)
	v_clz_i32_u32_e32 v19, v18
	v_min_u32_e32 v19, 32, v19
	s_delay_alu instid0(VALU_DEP_1) | instskip(NEXT) | instid1(VALU_DEP_1)
	v_subrev_nc_u32_e32 v58, 28, v19
	v_lshlrev_b64_e32 v[94:95], v58, v[2:3]
	v_lshrrev_b32_e32 v2, 3, v59
	s_delay_alu instid0(VALU_DEP_2) | instskip(NEXT) | instid1(VALU_DEP_1)
	v_dual_sub_nc_u32 v19, 29, v19 :: v_dual_bitop2_b32 v58, 7, v94 bitop3:0x40
	v_dual_lshlrev_b32 v56, 24, v56 :: v_dual_cndmask_b32 v2, v2, v19, s13
	s_delay_alu instid0(VALU_DEP_2) | instskip(NEXT) | instid1(VALU_DEP_2)
	v_cndmask_b32_e64 v18, v18, v58, s13
	v_and_b32_e32 v19, 0x80000000, v56
	s_delay_alu instid0(VALU_DEP_3) | instskip(NEXT) | instid1(VALU_DEP_3)
	v_lshl_add_u32 v2, v2, 23, 0x3c000000
	v_lshlrev_b32_e32 v18, 20, v18
	s_delay_alu instid0(VALU_DEP_1)
	v_or3_b32 v58, v18, v19, v2
.LBB2_3412:                             ;   in Loop: Header=BB2_3241 Depth=3
	s_or_b32 exec_lo, exec_lo, s15
.LBB2_3413:                             ;   in Loop: Header=BB2_3241 Depth=3
	s_delay_alu instid0(SALU_CYCLE_1) | instskip(NEXT) | instid1(VALU_DEP_1)
	s_or_b32 exec_lo, exec_lo, s14
	v_add_f32_e32 v56, v57, v58
                                        ; implicit-def: $vgpr61
	s_mov_b32 s14, exec_lo
	s_delay_alu instid0(VALU_DEP_1) | instskip(SKIP_1) | instid1(VALU_DEP_2)
	v_and_b32_e32 v2, 0x7f800000, v56
	v_lshrrev_b32_e32 v57, 24, v56
	v_cmpx_ne_u64_e32 0x7f800000, v[2:3]
	s_xor_b32 s15, exec_lo, s14
	s_cbranch_execz .LBB2_3427
; %bb.3414:                             ;   in Loop: Header=BB2_3241 Depth=3
	v_and_b32_e32 v2, 0x7fffffff, v56
	v_and_b32_e32 v94, 0x80, v57
                                        ; implicit-def: $vgpr61
	s_mov_b32 s14, exec_lo
	s_delay_alu instid0(VALU_DEP_2)
	v_cmpx_gt_u64_e32 0x43e00001, v[2:3]
	s_xor_b32 s74, exec_lo, s14
	s_cbranch_execz .LBB2_3424
; %bb.3415:                             ;   in Loop: Header=BB2_3241 Depth=3
	v_mov_b32_e32 v61, 0
	s_mov_b32 s75, exec_lo
	v_cmpx_ne_u32_e32 0, v56
	s_cbranch_execz .LBB2_3423
; %bb.3416:                             ;   in Loop: Header=BB2_3241 Depth=3
	v_bfe_u32 v61, v56, 23, 8
	s_delay_alu instid0(VALU_DEP_1) | instskip(SKIP_1) | instid1(VALU_DEP_1)
	v_sub_nc_u32_e32 v2, 0x79, v61
	v_cmp_gt_u32_e64 s13, 0x7a, v61
	v_cndmask_b32_e64 v2, 0, v2, s13
	v_cmp_eq_u32_e64 s13, 0, v61
	s_delay_alu instid0(VALU_DEP_1) | instskip(SKIP_1) | instid1(VALU_DEP_2)
	v_cndmask_b32_e64 v95, v2, 0x78, s13
	v_and_b32_e32 v2, 0x7fffff, v56
	v_add_nc_u32_e32 v18, 20, v95
	s_delay_alu instid0(VALU_DEP_2) | instskip(NEXT) | instid1(VALU_DEP_2)
	v_or_b32_e32 v19, 0x800000, v2
	v_lshlrev_b64_e64 v[56:57], v18, -1
	s_delay_alu instid0(VALU_DEP_2) | instskip(NEXT) | instid1(VALU_DEP_1)
	v_dual_add_nc_u32 v18, 19, v95 :: v_dual_cndmask_b32 v2, v19, v2, s13
	v_lshlrev_b64_e64 v[58:59], v18, 1
	s_delay_alu instid0(VALU_DEP_3) | instskip(NEXT) | instid1(VALU_DEP_3)
	v_bfi_b32 v105, v57, 0, 0
	v_bfi_b32 v104, v56, 0, v2
	v_lshrrev_b64 v[56:57], v95, v[2:3]
	s_delay_alu instid0(VALU_DEP_2) | instskip(NEXT) | instid1(VALU_DEP_2)
	v_cmp_eq_u64_e64 s14, v[104:105], v[58:59]
	v_mov_b64_e32 v[58:59], v[56:57]
	s_and_saveexec_b32 s76, s14
; %bb.3417:                             ;   in Loop: Header=BB2_3241 Depth=3
	v_bfe_u32 v2, v56, 20, 1
	s_delay_alu instid0(VALU_DEP_1) | instskip(NEXT) | instid1(VALU_DEP_1)
	v_add_nc_u64_e32 v[58:59], v[56:57], v[2:3]
	v_add_nc_u64_e32 v[58:59], -1, v[58:59]
; %bb.3418:                             ;   in Loop: Header=BB2_3241 Depth=3
	s_or_b32 exec_lo, exec_lo, s76
	v_add_nc_u32_e32 v2, 0xffffff81, v61
	v_lshrrev_b32_e32 v18, 23, v56
	s_mov_b32 s14, exec_lo
	s_delay_alu instid0(VALU_DEP_2) | instskip(NEXT) | instid1(VALU_DEP_1)
	v_cndmask_b32_e64 v2, v2, 0xffffff82, s13
	v_add3_u32 v59, v95, v2, v18
	v_and_b32_e32 v2, 0xfffff, v58
                                        ; implicit-def: $vgpr58
	s_delay_alu instid0(VALU_DEP_1) | instskip(NEXT) | instid1(VALU_DEP_1)
	v_dual_add_nc_u32 v61, 6, v59 :: v_dual_add_nc_u32 v2, v2, v56
                                        ; implicit-def: $vgpr56_vgpr57
	v_cmpx_ne_u32_e32 0, v61
	s_xor_b32 s14, exec_lo, s14
; %bb.3419:                             ;   in Loop: Header=BB2_3241 Depth=3
	s_delay_alu instid0(VALU_DEP_2) | instskip(SKIP_1) | instid1(VALU_DEP_1)
	v_cmp_lt_u64_e64 s13, 0xffffff, v[2:3]
	v_add_nc_u32_e32 v18, 7, v59
	v_cndmask_b32_e64 v58, v61, v18, s13
	v_cndmask_b32_e64 v18, 0, 1, s13
	s_delay_alu instid0(VALU_DEP_1)
	v_lshrrev_b64 v[56:57], v18, v[2:3]
; %bb.3420:                             ;   in Loop: Header=BB2_3241 Depth=3
	s_and_not1_saveexec_b32 s13, s14
; %bb.3421:                             ;   in Loop: Header=BB2_3241 Depth=3
	v_mov_b64_e32 v[56:57], v[2:3]
	v_bfe_u32 v58, v2, 23, 1
; %bb.3422:                             ;   in Loop: Header=BB2_3241 Depth=3
	s_or_b32 exec_lo, exec_lo, s13
	s_delay_alu instid0(VALU_DEP_2) | instskip(NEXT) | instid1(VALU_DEP_2)
	v_lshrrev_b64 v[56:57], 20, v[56:57]
	v_cmp_gt_i32_e64 s13, 16, v58
	v_min_i32_e32 v2, 15, v58
	v_cmp_eq_u32_e64 s14, 0, v58
	s_delay_alu instid0(VALU_DEP_2) | instskip(SKIP_1) | instid1(VALU_DEP_2)
	v_dual_cndmask_b32 v57, 0, v57, s13 :: v_dual_lshlrev_b32 v2, 3, v2
	v_cndmask_b32_e64 v56, 7, v56, s13
	v_and_b32_e32 v2, 0xf8, v2
	s_delay_alu instid0(VALU_DEP_2) | instskip(NEXT) | instid1(VALU_DEP_2)
	v_cmp_eq_u64_e64 s13, 0, v[56:57]
	v_and_or_b32 v2, v56, 7, v2
	s_and_b32 s13, s14, s13
	s_delay_alu instid0(VALU_DEP_1) | instid1(SALU_CYCLE_1)
	v_cndmask_b32_e64 v2, v2, 0, s13
	s_delay_alu instid0(VALU_DEP_1)
	v_or_b32_e32 v61, v2, v94
.LBB2_3423:                             ;   in Loop: Header=BB2_3241 Depth=3
	s_or_b32 exec_lo, exec_lo, s75
                                        ; implicit-def: $vgpr94
.LBB2_3424:                             ;   in Loop: Header=BB2_3241 Depth=3
	s_and_not1_saveexec_b32 s13, s74
; %bb.3425:                             ;   in Loop: Header=BB2_3241 Depth=3
	v_or_b32_e32 v61, 0x7e, v94
; %bb.3426:                             ;   in Loop: Header=BB2_3241 Depth=3
	s_or_b32 exec_lo, exec_lo, s13
                                        ; implicit-def: $vgpr57
.LBB2_3427:                             ;   in Loop: Header=BB2_3241 Depth=3
	s_and_not1_saveexec_b32 s13, s15
; %bb.3428:                             ;   in Loop: Header=BB2_3241 Depth=3
	v_or_b32_e32 v61, 0x7f, v57
; %bb.3429:                             ;   in Loop: Header=BB2_3241 Depth=3
	s_or_b32 exec_lo, exec_lo, s13
	v_dual_mov_b32 v56, 0 :: v_dual_lshrrev_b32 v57, 16, v13
	s_mov_b32 s14, exec_lo
	s_delay_alu instid0(VALU_DEP_1) | instskip(NEXT) | instid1(VALU_DEP_1)
	v_and_b32_e32 v2, 0xff, v57
	v_cmpx_ne_u16_e32 0, v2
	s_cbranch_execz .LBB2_3437
; %bb.3430:                             ;   in Loop: Header=BB2_3241 Depth=3
	v_bfrev_b32_e32 v56, 1
	s_mov_b32 s15, exec_lo
	v_cmpx_ne_u16_e32 0x80, v2
	s_cbranch_execz .LBB2_3436
; %bb.3431:                             ;   in Loop: Header=BB2_3241 Depth=3
	v_bfe_u32 v58, v13, 16, 7
	v_mov_b32_e32 v56, 0x7f800001
	s_mov_b32 s74, exec_lo
	s_delay_alu instid0(VALU_DEP_2)
	v_cmpx_ne_u32_e32 0x7f, v58
	s_cbranch_execz .LBB2_3435
; %bb.3432:                             ;   in Loop: Header=BB2_3241 Depth=3
	v_dual_lshrrev_b32 v56, 3, v58 :: v_dual_bitop2_b32 v2, 7, v57 bitop3:0x40
	s_mov_b32 s75, exec_lo
	v_cmpx_gt_u32_e32 8, v58
; %bb.3433:                             ;   in Loop: Header=BB2_3241 Depth=3
	s_delay_alu instid0(VALU_DEP_2) | instskip(NEXT) | instid1(VALU_DEP_1)
	v_clz_i32_u32_e32 v18, v2
	v_min_u32_e32 v18, 32, v18
	s_delay_alu instid0(VALU_DEP_1) | instskip(SKIP_1) | instid1(VALU_DEP_2)
	v_subrev_nc_u32_e32 v19, 28, v18
	v_sub_nc_u32_e32 v56, 29, v18
	v_lshlrev_b64_e32 v[58:59], v19, v[2:3]
	s_delay_alu instid0(VALU_DEP_1)
	v_and_b32_e32 v2, 7, v58
; %bb.3434:                             ;   in Loop: Header=BB2_3241 Depth=3
	s_or_b32 exec_lo, exec_lo, s75
	s_delay_alu instid0(VALU_DEP_1) | instskip(SKIP_1) | instid1(VALU_DEP_2)
	v_dual_lshlrev_b32 v18, 24, v57 :: v_dual_lshlrev_b32 v2, 20, v2
	v_lshl_add_u32 v19, v56, 23, 0x3c000000
	v_and_b32_e32 v18, 0x80000000, v18
	s_delay_alu instid0(VALU_DEP_1)
	v_or3_b32 v56, v2, v18, v19
.LBB2_3435:                             ;   in Loop: Header=BB2_3241 Depth=3
	s_or_b32 exec_lo, exec_lo, s74
.LBB2_3436:                             ;   in Loop: Header=BB2_3241 Depth=3
	s_delay_alu instid0(SALU_CYCLE_1)
	s_or_b32 exec_lo, exec_lo, s15
.LBB2_3437:                             ;   in Loop: Header=BB2_3241 Depth=3
	s_delay_alu instid0(SALU_CYCLE_1) | instskip(SKIP_3) | instid1(VALU_DEP_1)
	s_or_b32 exec_lo, exec_lo, s14
	v_lshrrev_b32_e32 v2, 16, v9
	s_mov_b32 s15, 0
	s_mov_b32 s14, exec_lo
	v_and_b32_e32 v58, 0xff, v2
	s_delay_alu instid0(VALU_DEP_1)
	v_cmpx_lt_i16_e32 0x7f, v58
	s_xor_b32 s14, exec_lo, s14
	s_cbranch_execz .LBB2_3442
; %bb.3438:                             ;   in Loop: Header=BB2_3241 Depth=3
	s_mov_b32 s15, -1
	s_mov_b32 s74, exec_lo
	v_cmpx_eq_u16_e32 0x80, v58
; %bb.3439:                             ;   in Loop: Header=BB2_3241 Depth=3
	s_xor_b32 s15, exec_lo, -1
; %bb.3440:                             ;   in Loop: Header=BB2_3241 Depth=3
	s_or_b32 exec_lo, exec_lo, s74
	s_delay_alu instid0(SALU_CYCLE_1)
	s_and_b32 s15, s15, exec_lo
                                        ; implicit-def: $vgpr58
	s_or_saveexec_b32 s14, s14
	v_bfrev_b32_e32 v57, 1
	s_xor_b32 exec_lo, exec_lo, s14
	s_cbranch_execnz .LBB2_3443
.LBB2_3441:                             ;   in Loop: Header=BB2_3241 Depth=3
	s_or_b32 exec_lo, exec_lo, s14
	s_and_saveexec_b32 s14, s15
	s_cbranch_execnz .LBB2_3444
	s_branch .LBB2_3447
.LBB2_3442:                             ;   in Loop: Header=BB2_3241 Depth=3
	s_or_saveexec_b32 s14, s14
	v_bfrev_b32_e32 v57, 1
	s_xor_b32 exec_lo, exec_lo, s14
	s_cbranch_execz .LBB2_3441
.LBB2_3443:                             ;   in Loop: Header=BB2_3241 Depth=3
	v_cmp_ne_u16_e64 s13, 0, v58
	v_mov_b32_e32 v57, 0
	s_and_not1_b32 s15, s15, exec_lo
	s_and_b32 s13, s13, exec_lo
	s_delay_alu instid0(SALU_CYCLE_1)
	s_or_b32 s15, s15, s13
	s_or_b32 exec_lo, exec_lo, s14
	s_and_saveexec_b32 s14, s15
	s_cbranch_execz .LBB2_3447
.LBB2_3444:                             ;   in Loop: Header=BB2_3241 Depth=3
	v_and_b32_e32 v58, 0x7f, v2
	v_mov_b32_e32 v57, 0x7f800001
	s_mov_b32 s15, exec_lo
	s_delay_alu instid0(VALU_DEP_2)
	v_cmpx_ne_u32_e32 0x7f, v58
	s_cbranch_execz .LBB2_3446
; %bb.3445:                             ;   in Loop: Header=BB2_3241 Depth=3
	v_and_b32_e32 v18, 7, v2
	v_cmp_gt_u32_e64 s13, 8, v58
	s_delay_alu instid0(VALU_DEP_2) | instskip(NEXT) | instid1(VALU_DEP_1)
	v_clz_i32_u32_e32 v19, v18
	v_min_u32_e32 v19, 32, v19
	s_delay_alu instid0(VALU_DEP_1) | instskip(SKIP_1) | instid1(VALU_DEP_2)
	v_subrev_nc_u32_e32 v57, 28, v19
	v_sub_nc_u32_e32 v19, 29, v19
	v_lshlrev_b64_e32 v[94:95], v57, v[2:3]
	v_lshrrev_b32_e32 v57, 3, v58
	v_lshlrev_b32_e32 v2, 24, v2
	s_delay_alu instid0(VALU_DEP_1) | instskip(NEXT) | instid1(VALU_DEP_4)
	v_and_b32_e32 v2, 0x80000000, v2
	v_and_b32_e32 v58, 7, v94
	s_delay_alu instid0(VALU_DEP_1) | instskip(NEXT) | instid1(VALU_DEP_1)
	v_dual_cndmask_b32 v18, v18, v58, s13 :: v_dual_cndmask_b32 v19, v57, v19, s13
	v_lshlrev_b32_e32 v18, 20, v18
	s_delay_alu instid0(VALU_DEP_2) | instskip(NEXT) | instid1(VALU_DEP_1)
	v_lshl_add_u32 v19, v19, 23, 0x3c000000
	v_or3_b32 v57, v18, v2, v19
.LBB2_3446:                             ;   in Loop: Header=BB2_3241 Depth=3
	s_or_b32 exec_lo, exec_lo, s15
.LBB2_3447:                             ;   in Loop: Header=BB2_3241 Depth=3
	s_delay_alu instid0(SALU_CYCLE_1) | instskip(NEXT) | instid1(VALU_DEP_1)
	s_or_b32 exec_lo, exec_lo, s14
	v_add_f32_e32 v56, v56, v57
                                        ; implicit-def: $vgpr58
	s_mov_b32 s14, exec_lo
	s_delay_alu instid0(VALU_DEP_1) | instskip(SKIP_1) | instid1(VALU_DEP_2)
	v_and_b32_e32 v2, 0x7f800000, v56
	v_lshrrev_b32_e32 v57, 24, v56
	v_cmpx_ne_u64_e32 0x7f800000, v[2:3]
	s_xor_b32 s15, exec_lo, s14
	s_cbranch_execz .LBB2_3461
; %bb.3448:                             ;   in Loop: Header=BB2_3241 Depth=3
	v_and_b32_e32 v2, 0x7fffffff, v56
	v_and_b32_e32 v94, 0x80, v57
                                        ; implicit-def: $vgpr58
	s_mov_b32 s14, exec_lo
	s_delay_alu instid0(VALU_DEP_2)
	v_cmpx_gt_u64_e32 0x43e00001, v[2:3]
	s_xor_b32 s74, exec_lo, s14
	s_cbranch_execz .LBB2_3458
; %bb.3449:                             ;   in Loop: Header=BB2_3241 Depth=3
	v_mov_b32_e32 v58, 0
	s_mov_b32 s75, exec_lo
	v_cmpx_ne_u32_e32 0, v56
	s_cbranch_execz .LBB2_3457
; %bb.3450:                             ;   in Loop: Header=BB2_3241 Depth=3
	v_bfe_u32 v95, v56, 23, 8
	s_delay_alu instid0(VALU_DEP_1) | instskip(SKIP_1) | instid1(VALU_DEP_1)
	v_sub_nc_u32_e32 v2, 0x79, v95
	v_cmp_gt_u32_e64 s13, 0x7a, v95
	v_cndmask_b32_e64 v2, 0, v2, s13
	v_cmp_eq_u32_e64 s13, 0, v95
	s_delay_alu instid0(VALU_DEP_1) | instskip(SKIP_1) | instid1(VALU_DEP_2)
	v_cndmask_b32_e64 v104, v2, 0x78, s13
	v_and_b32_e32 v2, 0x7fffff, v56
	v_add_nc_u32_e32 v18, 20, v104
	s_delay_alu instid0(VALU_DEP_2) | instskip(NEXT) | instid1(VALU_DEP_2)
	v_or_b32_e32 v19, 0x800000, v2
	v_lshlrev_b64_e64 v[56:57], v18, -1
	s_delay_alu instid0(VALU_DEP_2) | instskip(NEXT) | instid1(VALU_DEP_1)
	v_dual_add_nc_u32 v18, 19, v104 :: v_dual_cndmask_b32 v2, v19, v2, s13
	v_lshlrev_b64_e64 v[58:59], v18, 1
	s_delay_alu instid0(VALU_DEP_3) | instskip(NEXT) | instid1(VALU_DEP_3)
	v_bfi_b32 v107, v57, 0, 0
	v_bfi_b32 v106, v56, 0, v2
	v_lshrrev_b64 v[56:57], v104, v[2:3]
	s_delay_alu instid0(VALU_DEP_2) | instskip(NEXT) | instid1(VALU_DEP_2)
	v_cmp_eq_u64_e64 s14, v[106:107], v[58:59]
	v_mov_b64_e32 v[58:59], v[56:57]
	s_and_saveexec_b32 s76, s14
; %bb.3451:                             ;   in Loop: Header=BB2_3241 Depth=3
	v_bfe_u32 v2, v56, 20, 1
	s_delay_alu instid0(VALU_DEP_1) | instskip(NEXT) | instid1(VALU_DEP_1)
	v_add_nc_u64_e32 v[58:59], v[56:57], v[2:3]
	v_add_nc_u64_e32 v[58:59], -1, v[58:59]
; %bb.3452:                             ;   in Loop: Header=BB2_3241 Depth=3
	s_or_b32 exec_lo, exec_lo, s76
	v_add_nc_u32_e32 v2, 0xffffff81, v95
	v_lshrrev_b32_e32 v18, 23, v56
	s_mov_b32 s14, exec_lo
	s_delay_alu instid0(VALU_DEP_2) | instskip(NEXT) | instid1(VALU_DEP_1)
	v_cndmask_b32_e64 v2, v2, 0xffffff82, s13
	v_add3_u32 v59, v104, v2, v18
	v_and_b32_e32 v2, 0xfffff, v58
                                        ; implicit-def: $vgpr58
	s_delay_alu instid0(VALU_DEP_1) | instskip(NEXT) | instid1(VALU_DEP_1)
	v_dual_add_nc_u32 v95, 6, v59 :: v_dual_add_nc_u32 v2, v2, v56
                                        ; implicit-def: $vgpr56_vgpr57
	v_cmpx_ne_u32_e32 0, v95
	s_xor_b32 s14, exec_lo, s14
; %bb.3453:                             ;   in Loop: Header=BB2_3241 Depth=3
	s_delay_alu instid0(VALU_DEP_2) | instskip(SKIP_1) | instid1(VALU_DEP_1)
	v_cmp_lt_u64_e64 s13, 0xffffff, v[2:3]
	v_add_nc_u32_e32 v18, 7, v59
	v_cndmask_b32_e64 v58, v95, v18, s13
	v_cndmask_b32_e64 v18, 0, 1, s13
	s_delay_alu instid0(VALU_DEP_1)
	v_lshrrev_b64 v[56:57], v18, v[2:3]
; %bb.3454:                             ;   in Loop: Header=BB2_3241 Depth=3
	s_and_not1_saveexec_b32 s13, s14
; %bb.3455:                             ;   in Loop: Header=BB2_3241 Depth=3
	v_mov_b64_e32 v[56:57], v[2:3]
	v_bfe_u32 v58, v2, 23, 1
; %bb.3456:                             ;   in Loop: Header=BB2_3241 Depth=3
	s_or_b32 exec_lo, exec_lo, s13
	s_delay_alu instid0(VALU_DEP_2) | instskip(NEXT) | instid1(VALU_DEP_2)
	v_lshrrev_b64 v[56:57], 20, v[56:57]
	v_cmp_gt_i32_e64 s13, 16, v58
	v_min_i32_e32 v2, 15, v58
	v_cmp_eq_u32_e64 s14, 0, v58
	s_delay_alu instid0(VALU_DEP_2) | instskip(SKIP_1) | instid1(VALU_DEP_2)
	v_dual_cndmask_b32 v57, 0, v57, s13 :: v_dual_lshlrev_b32 v2, 3, v2
	v_cndmask_b32_e64 v56, 7, v56, s13
	v_and_b32_e32 v2, 0xf8, v2
	s_delay_alu instid0(VALU_DEP_2) | instskip(NEXT) | instid1(VALU_DEP_2)
	v_cmp_eq_u64_e64 s13, 0, v[56:57]
	v_and_or_b32 v2, v56, 7, v2
	s_and_b32 s13, s14, s13
	s_delay_alu instid0(VALU_DEP_1) | instid1(SALU_CYCLE_1)
	v_cndmask_b32_e64 v2, v2, 0, s13
	s_delay_alu instid0(VALU_DEP_1)
	v_or_b32_e32 v58, v2, v94
.LBB2_3457:                             ;   in Loop: Header=BB2_3241 Depth=3
	s_or_b32 exec_lo, exec_lo, s75
                                        ; implicit-def: $vgpr94
.LBB2_3458:                             ;   in Loop: Header=BB2_3241 Depth=3
	s_and_not1_saveexec_b32 s13, s74
; %bb.3459:                             ;   in Loop: Header=BB2_3241 Depth=3
	v_or_b32_e32 v58, 0x7e, v94
; %bb.3460:                             ;   in Loop: Header=BB2_3241 Depth=3
	s_or_b32 exec_lo, exec_lo, s13
                                        ; implicit-def: $vgpr57
.LBB2_3461:                             ;   in Loop: Header=BB2_3241 Depth=3
	s_and_not1_saveexec_b32 s13, s15
; %bb.3462:                             ;   in Loop: Header=BB2_3241 Depth=3
	v_or_b32_e32 v58, 0x7f, v57
; %bb.3463:                             ;   in Loop: Header=BB2_3241 Depth=3
	s_or_b32 exec_lo, exec_lo, s13
	v_cmp_lt_u64_e64 s13, s[22:23], v[12:13]
	v_mov_b32_e32 v12, 0
	s_and_saveexec_b32 s14, s13
	s_cbranch_execz .LBB2_3471
; %bb.3464:                             ;   in Loop: Header=BB2_3241 Depth=3
	v_lshrrev_b32_e32 v56, 24, v13
	v_bfrev_b32_e32 v12, 1
	s_mov_b32 s15, exec_lo
	s_delay_alu instid0(VALU_DEP_2)
	v_cmpx_ne_u32_e32 0x80, v56
	s_cbranch_execz .LBB2_3470
; %bb.3465:                             ;   in Loop: Header=BB2_3241 Depth=3
	v_bfe_u32 v13, v13, 24, 7
	v_mov_b32_e32 v12, 0x7f800001
	s_mov_b32 s74, exec_lo
	s_delay_alu instid0(VALU_DEP_2)
	v_cmpx_ne_u32_e32 0x7f, v13
	s_cbranch_execz .LBB2_3469
; %bb.3466:                             ;   in Loop: Header=BB2_3241 Depth=3
	v_dual_lshrrev_b32 v12, 3, v13 :: v_dual_bitop2_b32 v2, 7, v56 bitop3:0x40
	s_mov_b32 s75, exec_lo
	v_cmpx_gt_u32_e32 8, v13
; %bb.3467:                             ;   in Loop: Header=BB2_3241 Depth=3
	s_delay_alu instid0(VALU_DEP_2) | instskip(NEXT) | instid1(VALU_DEP_1)
	v_clz_i32_u32_e32 v12, v2
	v_min_u32_e32 v12, 32, v12
	s_delay_alu instid0(VALU_DEP_1) | instskip(NEXT) | instid1(VALU_DEP_1)
	v_subrev_nc_u32_e32 v13, 28, v12
	v_lshlrev_b64_e32 v[94:95], v13, v[2:3]
	s_delay_alu instid0(VALU_DEP_1)
	v_dual_sub_nc_u32 v12, 29, v12 :: v_dual_bitop2_b32 v2, 7, v94 bitop3:0x40
; %bb.3468:                             ;   in Loop: Header=BB2_3241 Depth=3
	s_or_b32 exec_lo, exec_lo, s75
	s_delay_alu instid0(VALU_DEP_1) | instskip(NEXT) | instid1(VALU_DEP_2)
	v_dual_lshlrev_b32 v13, 24, v56 :: v_dual_lshlrev_b32 v2, 20, v2
	v_lshl_add_u32 v12, v12, 23, 0x3c000000
	s_delay_alu instid0(VALU_DEP_2) | instskip(NEXT) | instid1(VALU_DEP_1)
	v_and_b32_e32 v13, 0x80000000, v13
	v_or3_b32 v12, v2, v13, v12
.LBB2_3469:                             ;   in Loop: Header=BB2_3241 Depth=3
	s_or_b32 exec_lo, exec_lo, s74
.LBB2_3470:                             ;   in Loop: Header=BB2_3241 Depth=3
	s_delay_alu instid0(SALU_CYCLE_1)
	s_or_b32 exec_lo, exec_lo, s15
.LBB2_3471:                             ;   in Loop: Header=BB2_3241 Depth=3
	s_delay_alu instid0(SALU_CYCLE_1) | instskip(SKIP_3) | instid1(VALU_DEP_3)
	s_or_b32 exec_lo, exec_lo, s14
	v_lshrrev_b32_e32 v2, 24, v9
	v_bfe_u32 v13, v9, 24, 7
	v_cmp_gt_u64_e64 s15, s[24:25], v[8:9]
	v_cmp_eq_u32_e64 s14, 0x80, v2
	s_delay_alu instid0(VALU_DEP_3) | instskip(NEXT) | instid1(VALU_DEP_2)
	v_cmp_eq_u32_e64 s13, 0x7f, v13
	v_cndmask_b32_e64 v18, 0x7f800001, v77, s14
	s_or_b32 s13, s14, s13
	s_delay_alu instid0(SALU_CYCLE_1) | instskip(NEXT) | instid1(VALU_DEP_1)
	s_nor_b32 s13, s15, s13
	v_cndmask_b32_e64 v8, v18, 0, s15
	s_and_saveexec_b32 s14, s13
	s_cbranch_execz .LBB2_3473
; %bb.3472:                             ;   in Loop: Header=BB2_3241 Depth=3
	v_and_b32_e32 v18, 7, v2
	v_cmp_gt_u32_e64 s13, 8, v13
	s_delay_alu instid0(VALU_DEP_2) | instskip(NEXT) | instid1(VALU_DEP_1)
	v_clz_i32_u32_e32 v8, v18
	v_min_u32_e32 v19, 32, v8
	s_delay_alu instid0(VALU_DEP_1) | instskip(NEXT) | instid1(VALU_DEP_1)
	v_subrev_nc_u32_e32 v8, 28, v19
	v_lshlrev_b64_e32 v[8:9], v8, v[2:3]
	v_dual_lshrrev_b32 v9, 3, v13 :: v_dual_sub_nc_u32 v19, 29, v19
	s_delay_alu instid0(VALU_DEP_2) | instskip(NEXT) | instid1(VALU_DEP_1)
	v_dual_lshlrev_b32 v2, 24, v2 :: v_dual_bitop2_b32 v8, 7, v8 bitop3:0x40
	v_dual_cndmask_b32 v9, v9, v19, s13 :: v_dual_cndmask_b32 v8, v18, v8, s13
	s_delay_alu instid0(VALU_DEP_2) | instskip(NEXT) | instid1(VALU_DEP_2)
	v_and_b32_e32 v2, 0x80000000, v2
	v_lshl_add_u32 v9, v9, 23, 0x3c000000
	s_delay_alu instid0(VALU_DEP_3) | instskip(NEXT) | instid1(VALU_DEP_1)
	v_lshlrev_b32_e32 v8, 20, v8
	v_or3_b32 v8, v8, v2, v9
.LBB2_3473:                             ;   in Loop: Header=BB2_3241 Depth=3
	s_or_b32 exec_lo, exec_lo, s14
	s_delay_alu instid0(VALU_DEP_1) | instskip(SKIP_1) | instid1(VALU_DEP_1)
	v_add_f32_e32 v8, v12, v8
                                        ; implicit-def: $vgpr59
	s_mov_b32 s14, exec_lo
	v_and_b32_e32 v2, 0x7f800000, v8
	v_lshrrev_b32_e32 v9, 24, v8
	s_delay_alu instid0(VALU_DEP_2)
	v_cmpx_ne_u64_e32 0x7f800000, v[2:3]
	s_xor_b32 s15, exec_lo, s14
	s_cbranch_execz .LBB2_3487
; %bb.3474:                             ;   in Loop: Header=BB2_3241 Depth=3
	v_and_b32_e32 v2, 0x7fffffff, v8
	v_and_b32_e32 v56, 0x80, v9
                                        ; implicit-def: $vgpr59
	s_mov_b32 s14, exec_lo
	s_delay_alu instid0(VALU_DEP_2)
	v_cmpx_gt_u64_e32 0x43e00001, v[2:3]
	s_xor_b32 s74, exec_lo, s14
	s_cbranch_execz .LBB2_3484
; %bb.3475:                             ;   in Loop: Header=BB2_3241 Depth=3
	v_mov_b32_e32 v59, 0
	s_mov_b32 s75, exec_lo
	v_cmpx_ne_u32_e32 0, v8
	s_cbranch_execz .LBB2_3483
; %bb.3476:                             ;   in Loop: Header=BB2_3241 Depth=3
	v_bfe_u32 v57, v8, 23, 8
	s_delay_alu instid0(VALU_DEP_1) | instskip(SKIP_1) | instid1(VALU_DEP_1)
	v_sub_nc_u32_e32 v2, 0x79, v57
	v_cmp_gt_u32_e64 s13, 0x7a, v57
	v_cndmask_b32_e64 v2, 0, v2, s13
	v_cmp_eq_u32_e64 s13, 0, v57
	s_delay_alu instid0(VALU_DEP_1) | instskip(SKIP_1) | instid1(VALU_DEP_2)
	v_cndmask_b32_e64 v59, v2, 0x78, s13
	v_and_b32_e32 v2, 0x7fffff, v8
	v_add_nc_u32_e32 v8, 20, v59
	s_delay_alu instid0(VALU_DEP_2) | instskip(SKIP_1) | instid1(VALU_DEP_3)
	v_or_b32_e32 v12, 0x800000, v2
	v_add_nc_u32_e32 v13, 19, v59
	v_lshlrev_b64_e64 v[8:9], v8, -1
	s_delay_alu instid0(VALU_DEP_3) | instskip(NEXT) | instid1(VALU_DEP_3)
	v_cndmask_b32_e64 v2, v12, v2, s13
	v_lshlrev_b64_e64 v[12:13], v13, 1
	s_delay_alu instid0(VALU_DEP_3) | instskip(NEXT) | instid1(VALU_DEP_3)
	v_bfi_b32 v95, v9, 0, 0
	v_bfi_b32 v94, v8, 0, v2
	v_lshrrev_b64 v[8:9], v59, v[2:3]
	s_delay_alu instid0(VALU_DEP_2) | instskip(NEXT) | instid1(VALU_DEP_2)
	v_cmp_eq_u64_e64 s14, v[94:95], v[12:13]
	v_mov_b64_e32 v[12:13], v[8:9]
	s_and_saveexec_b32 s76, s14
; %bb.3477:                             ;   in Loop: Header=BB2_3241 Depth=3
	v_bfe_u32 v2, v8, 20, 1
	s_delay_alu instid0(VALU_DEP_1) | instskip(NEXT) | instid1(VALU_DEP_1)
	v_add_nc_u64_e32 v[12:13], v[8:9], v[2:3]
	v_add_nc_u64_e32 v[12:13], -1, v[12:13]
; %bb.3478:                             ;   in Loop: Header=BB2_3241 Depth=3
	s_or_b32 exec_lo, exec_lo, s76
	v_add_nc_u32_e32 v2, 0xffffff81, v57
	v_lshrrev_b32_e32 v9, 23, v8
	s_mov_b32 s14, exec_lo
	s_delay_alu instid0(VALU_DEP_2) | instskip(NEXT) | instid1(VALU_DEP_1)
	v_cndmask_b32_e64 v2, v2, 0xffffff82, s13
	v_add3_u32 v13, v59, v2, v9
	v_and_b32_e32 v2, 0xfffff, v12
                                        ; implicit-def: $vgpr12
	s_delay_alu instid0(VALU_DEP_1) | instskip(NEXT) | instid1(VALU_DEP_1)
	v_dual_add_nc_u32 v57, 6, v13 :: v_dual_add_nc_u32 v2, v2, v8
                                        ; implicit-def: $vgpr8_vgpr9
	v_cmpx_ne_u32_e32 0, v57
	s_xor_b32 s14, exec_lo, s14
; %bb.3479:                             ;   in Loop: Header=BB2_3241 Depth=3
	s_delay_alu instid0(VALU_DEP_2) | instskip(SKIP_1) | instid1(VALU_DEP_1)
	v_cmp_lt_u64_e64 s13, 0xffffff, v[2:3]
	v_add_nc_u32_e32 v8, 7, v13
	v_cndmask_b32_e64 v12, v57, v8, s13
	v_cndmask_b32_e64 v8, 0, 1, s13
	s_delay_alu instid0(VALU_DEP_1)
	v_lshrrev_b64 v[8:9], v8, v[2:3]
; %bb.3480:                             ;   in Loop: Header=BB2_3241 Depth=3
	s_and_not1_saveexec_b32 s13, s14
; %bb.3481:                             ;   in Loop: Header=BB2_3241 Depth=3
	v_mov_b64_e32 v[8:9], v[2:3]
	v_bfe_u32 v12, v2, 23, 1
; %bb.3482:                             ;   in Loop: Header=BB2_3241 Depth=3
	s_or_b32 exec_lo, exec_lo, s13
	s_delay_alu instid0(VALU_DEP_2) | instskip(NEXT) | instid1(VALU_DEP_2)
	v_lshrrev_b64 v[8:9], 20, v[8:9]
	v_cmp_gt_i32_e64 s13, 16, v12
	v_min_i32_e32 v2, 15, v12
	v_cmp_eq_u32_e64 s14, 0, v12
	s_delay_alu instid0(VALU_DEP_2) | instskip(SKIP_1) | instid1(VALU_DEP_2)
	v_dual_cndmask_b32 v9, 0, v9, s13 :: v_dual_lshlrev_b32 v2, 3, v2
	v_cndmask_b32_e64 v8, 7, v8, s13
	v_and_b32_e32 v2, 0xf8, v2
	s_delay_alu instid0(VALU_DEP_2) | instskip(NEXT) | instid1(VALU_DEP_2)
	v_cmp_eq_u64_e64 s13, 0, v[8:9]
	v_and_or_b32 v2, v8, 7, v2
	s_and_b32 s13, s14, s13
	s_delay_alu instid0(VALU_DEP_1) | instid1(SALU_CYCLE_1)
	v_cndmask_b32_e64 v2, v2, 0, s13
	s_delay_alu instid0(VALU_DEP_1)
	v_or_b32_e32 v59, v2, v56
.LBB2_3483:                             ;   in Loop: Header=BB2_3241 Depth=3
	s_or_b32 exec_lo, exec_lo, s75
                                        ; implicit-def: $vgpr56
.LBB2_3484:                             ;   in Loop: Header=BB2_3241 Depth=3
	s_and_not1_saveexec_b32 s13, s74
; %bb.3485:                             ;   in Loop: Header=BB2_3241 Depth=3
	v_or_b32_e32 v59, 0x7e, v56
; %bb.3486:                             ;   in Loop: Header=BB2_3241 Depth=3
	s_or_b32 exec_lo, exec_lo, s13
                                        ; implicit-def: $vgpr9
.LBB2_3487:                             ;   in Loop: Header=BB2_3241 Depth=3
	s_and_not1_saveexec_b32 s13, s15
; %bb.3488:                             ;   in Loop: Header=BB2_3241 Depth=3
	v_or_b32_e32 v59, 0x7f, v9
; %bb.3489:                             ;   in Loop: Header=BB2_3241 Depth=3
	s_or_b32 exec_lo, exec_lo, s13
	v_and_b32_e32 v8, 0xff, v14
	v_mov_b32_e32 v2, 0
	s_mov_b32 s14, exec_lo
	s_delay_alu instid0(VALU_DEP_2)
	v_cmpx_ne_u16_e32 0, v8
	s_cbranch_execz .LBB2_3495
; %bb.3490:                             ;   in Loop: Header=BB2_3241 Depth=3
	v_bfrev_b32_e32 v2, 1
	s_mov_b32 s15, exec_lo
	v_cmpx_ne_u16_e32 0x80, v8
	s_cbranch_execz .LBB2_3494
; %bb.3491:                             ;   in Loop: Header=BB2_3241 Depth=3
	v_and_b32_e32 v8, 0x7f, v14
	v_mov_b32_e32 v2, 0x7f800001
	s_mov_b32 s74, exec_lo
	s_delay_alu instid0(VALU_DEP_2)
	v_cmpx_ne_u32_e32 0x7f, v8
	s_cbranch_execz .LBB2_3493
; %bb.3492:                             ;   in Loop: Header=BB2_3241 Depth=3
	v_dual_lshrrev_b32 v9, 3, v8 :: v_dual_bitop2_b32 v2, 7, v14 bitop3:0x40
	v_cmp_gt_u32_e64 s13, 8, v8
	s_delay_alu instid0(VALU_DEP_2) | instskip(NEXT) | instid1(VALU_DEP_1)
	v_clz_i32_u32_e32 v2, v2
	v_min_u32_e32 v2, 32, v2
	s_delay_alu instid0(VALU_DEP_1) | instskip(NEXT) | instid1(VALU_DEP_1)
	v_subrev_nc_u32_e32 v12, 28, v2
	v_dual_sub_nc_u32 v2, 29, v2 :: v_dual_cndmask_b32 v8, 0, v12, s13
	s_delay_alu instid0(VALU_DEP_1) | instskip(NEXT) | instid1(VALU_DEP_2)
	v_cndmask_b32_e64 v2, v9, v2, s13
	v_lshlrev_b64_e32 v[8:9], v8, v[14:15]
	v_lshlrev_b32_e32 v9, 24, v14
	s_delay_alu instid0(VALU_DEP_1) | instskip(NEXT) | instid1(VALU_DEP_3)
	v_and_b32_e32 v9, 0x80000000, v9
	v_lshlrev_b32_e32 v8, 20, v8
	v_lshl_add_u32 v2, v2, 23, 0x3c000000
	s_delay_alu instid0(VALU_DEP_2) | instskip(NEXT) | instid1(VALU_DEP_1)
	v_and_b32_e32 v8, 0x700000, v8
	v_or3_b32 v2, v8, v9, v2
.LBB2_3493:                             ;   in Loop: Header=BB2_3241 Depth=3
	s_or_b32 exec_lo, exec_lo, s74
.LBB2_3494:                             ;   in Loop: Header=BB2_3241 Depth=3
	s_delay_alu instid0(SALU_CYCLE_1)
	s_or_b32 exec_lo, exec_lo, s15
.LBB2_3495:                             ;   in Loop: Header=BB2_3241 Depth=3
	s_delay_alu instid0(SALU_CYCLE_1) | instskip(SKIP_3) | instid1(VALU_DEP_1)
	s_or_b32 exec_lo, exec_lo, s14
	v_and_b32_e32 v9, 0xff, v10
	s_mov_b32 s14, 0
	s_mov_b32 s15, exec_lo
	v_cmpx_lt_i16_e32 0x7f, v9
	s_xor_b32 s15, exec_lo, s15
	s_cbranch_execz .LBB2_3530
; %bb.3496:                             ;   in Loop: Header=BB2_3241 Depth=3
	s_mov_b32 s14, -1
	s_mov_b32 s74, exec_lo
	v_cmpx_eq_u16_e32 0x80, v9
; %bb.3497:                             ;   in Loop: Header=BB2_3241 Depth=3
	s_xor_b32 s14, exec_lo, -1
; %bb.3498:                             ;   in Loop: Header=BB2_3241 Depth=3
	s_or_b32 exec_lo, exec_lo, s74
	s_delay_alu instid0(SALU_CYCLE_1)
	s_and_b32 s14, s14, exec_lo
                                        ; implicit-def: $vgpr9
	s_or_saveexec_b32 s15, s15
	v_bfrev_b32_e32 v8, 1
	s_xor_b32 exec_lo, exec_lo, s15
	s_cbranch_execnz .LBB2_3531
.LBB2_3499:                             ;   in Loop: Header=BB2_3241 Depth=3
	s_or_b32 exec_lo, exec_lo, s15
	s_and_saveexec_b32 s15, s14
	s_cbranch_execz .LBB2_3501
.LBB2_3500:                             ;   in Loop: Header=BB2_3241 Depth=3
	v_and_b32_e32 v8, 7, v10
	v_and_b32_e32 v12, 0x7f, v10
	v_bfe_u32 v9, v10, 3, 4
	s_delay_alu instid0(VALU_DEP_3) | instskip(NEXT) | instid1(VALU_DEP_3)
	v_clz_i32_u32_e32 v8, v8
	v_cmp_gt_u32_e64 s13, 8, v12
	s_delay_alu instid0(VALU_DEP_2) | instskip(NEXT) | instid1(VALU_DEP_1)
	v_min_u32_e32 v8, 32, v8
	v_subrev_nc_u32_e32 v13, 28, v8
	v_sub_nc_u32_e32 v8, 29, v8
	s_delay_alu instid0(VALU_DEP_1) | instskip(SKIP_1) | instid1(VALU_DEP_2)
	v_dual_cndmask_b32 v18, v9, v8, s13 :: v_dual_cndmask_b32 v8, 0, v13, s13
	v_cmp_ne_u32_e64 s13, 0x7f, v12
	v_lshl_add_u32 v13, v18, 23, 0x3c000000
	s_delay_alu instid0(VALU_DEP_3) | instskip(SKIP_1) | instid1(VALU_DEP_1)
	v_lshlrev_b64_e32 v[8:9], v8, v[10:11]
	v_lshlrev_b32_e32 v9, 24, v10
	v_and_b32_e32 v9, 0x80000000, v9
	s_delay_alu instid0(VALU_DEP_3) | instskip(NEXT) | instid1(VALU_DEP_1)
	v_lshlrev_b32_e32 v8, 20, v8
	v_and_b32_e32 v8, 0x700000, v8
	s_delay_alu instid0(VALU_DEP_1) | instskip(NEXT) | instid1(VALU_DEP_1)
	v_or3_b32 v8, v8, v9, v13
	v_cndmask_b32_e64 v8, 0x7f800001, v8, s13
.LBB2_3501:                             ;   in Loop: Header=BB2_3241 Depth=3
	s_or_b32 exec_lo, exec_lo, s15
	s_delay_alu instid0(VALU_DEP_1) | instskip(SKIP_1) | instid1(VALU_DEP_1)
	v_add_f32_e32 v8, v2, v8
                                        ; implicit-def: $vgpr94
	s_mov_b32 s14, exec_lo
	v_and_b32_e32 v2, 0x7f800000, v8
	v_lshrrev_b32_e32 v9, 24, v8
	s_delay_alu instid0(VALU_DEP_2)
	v_cmpx_ne_u64_e32 0x7f800000, v[2:3]
	s_xor_b32 s15, exec_lo, s14
	s_cbranch_execz .LBB2_3515
; %bb.3502:                             ;   in Loop: Header=BB2_3241 Depth=3
	v_and_b32_e32 v2, 0x7fffffff, v8
	v_and_b32_e32 v56, 0x80, v9
                                        ; implicit-def: $vgpr94
	s_mov_b32 s14, exec_lo
	s_delay_alu instid0(VALU_DEP_2)
	v_cmpx_gt_u64_e32 0x43e00001, v[2:3]
	s_xor_b32 s74, exec_lo, s14
	s_cbranch_execz .LBB2_3512
; %bb.3503:                             ;   in Loop: Header=BB2_3241 Depth=3
	v_mov_b32_e32 v94, 0
	s_mov_b32 s75, exec_lo
	v_cmpx_ne_u32_e32 0, v8
	s_cbranch_execz .LBB2_3511
; %bb.3504:                             ;   in Loop: Header=BB2_3241 Depth=3
	v_bfe_u32 v57, v8, 23, 8
	s_delay_alu instid0(VALU_DEP_1) | instskip(SKIP_1) | instid1(VALU_DEP_1)
	v_sub_nc_u32_e32 v2, 0x79, v57
	v_cmp_gt_u32_e64 s13, 0x7a, v57
	v_cndmask_b32_e64 v2, 0, v2, s13
	v_cmp_eq_u32_e64 s13, 0, v57
	s_delay_alu instid0(VALU_DEP_1) | instskip(SKIP_1) | instid1(VALU_DEP_2)
	v_cndmask_b32_e64 v94, v2, 0x78, s13
	v_and_b32_e32 v2, 0x7fffff, v8
	v_dual_add_nc_u32 v8, 20, v94 :: v_dual_add_nc_u32 v13, 19, v94
	s_delay_alu instid0(VALU_DEP_2) | instskip(NEXT) | instid1(VALU_DEP_2)
	v_or_b32_e32 v12, 0x800000, v2
	v_lshlrev_b64_e64 v[8:9], v8, -1
	s_delay_alu instid0(VALU_DEP_2) | instskip(NEXT) | instid1(VALU_DEP_4)
	v_cndmask_b32_e64 v2, v12, v2, s13
	v_lshlrev_b64_e64 v[12:13], v13, 1
	s_delay_alu instid0(VALU_DEP_3) | instskip(NEXT) | instid1(VALU_DEP_3)
	v_bfi_b32 v105, v9, 0, 0
	v_bfi_b32 v104, v8, 0, v2
	v_lshrrev_b64 v[8:9], v94, v[2:3]
	s_delay_alu instid0(VALU_DEP_2) | instskip(NEXT) | instid1(VALU_DEP_2)
	v_cmp_eq_u64_e64 s14, v[104:105], v[12:13]
	v_mov_b64_e32 v[12:13], v[8:9]
	s_and_saveexec_b32 s76, s14
; %bb.3505:                             ;   in Loop: Header=BB2_3241 Depth=3
	v_bfe_u32 v2, v8, 20, 1
	s_delay_alu instid0(VALU_DEP_1) | instskip(NEXT) | instid1(VALU_DEP_1)
	v_add_nc_u64_e32 v[12:13], v[8:9], v[2:3]
	v_add_nc_u64_e32 v[12:13], -1, v[12:13]
; %bb.3506:                             ;   in Loop: Header=BB2_3241 Depth=3
	s_or_b32 exec_lo, exec_lo, s76
	v_add_nc_u32_e32 v2, 0xffffff81, v57
	v_lshrrev_b32_e32 v9, 23, v8
	s_mov_b32 s14, exec_lo
	s_delay_alu instid0(VALU_DEP_2) | instskip(NEXT) | instid1(VALU_DEP_1)
	v_cndmask_b32_e64 v2, v2, 0xffffff82, s13
	v_add3_u32 v13, v94, v2, v9
	v_and_b32_e32 v2, 0xfffff, v12
                                        ; implicit-def: $vgpr12
	s_delay_alu instid0(VALU_DEP_1) | instskip(NEXT) | instid1(VALU_DEP_1)
	v_dual_add_nc_u32 v57, 6, v13 :: v_dual_add_nc_u32 v2, v2, v8
                                        ; implicit-def: $vgpr8_vgpr9
	v_cmpx_ne_u32_e32 0, v57
	s_xor_b32 s14, exec_lo, s14
; %bb.3507:                             ;   in Loop: Header=BB2_3241 Depth=3
	s_delay_alu instid0(VALU_DEP_2) | instskip(SKIP_1) | instid1(VALU_DEP_1)
	v_cmp_lt_u64_e64 s13, 0xffffff, v[2:3]
	v_add_nc_u32_e32 v8, 7, v13
	v_cndmask_b32_e64 v12, v57, v8, s13
	v_cndmask_b32_e64 v8, 0, 1, s13
	s_delay_alu instid0(VALU_DEP_1)
	v_lshrrev_b64 v[8:9], v8, v[2:3]
; %bb.3508:                             ;   in Loop: Header=BB2_3241 Depth=3
	s_and_not1_saveexec_b32 s13, s14
; %bb.3509:                             ;   in Loop: Header=BB2_3241 Depth=3
	v_mov_b64_e32 v[8:9], v[2:3]
	v_bfe_u32 v12, v2, 23, 1
; %bb.3510:                             ;   in Loop: Header=BB2_3241 Depth=3
	s_or_b32 exec_lo, exec_lo, s13
	s_delay_alu instid0(VALU_DEP_2) | instskip(NEXT) | instid1(VALU_DEP_2)
	v_lshrrev_b64 v[8:9], 20, v[8:9]
	v_cmp_gt_i32_e64 s13, 16, v12
	v_min_i32_e32 v2, 15, v12
	v_cmp_eq_u32_e64 s14, 0, v12
	s_delay_alu instid0(VALU_DEP_2) | instskip(SKIP_1) | instid1(VALU_DEP_2)
	v_dual_cndmask_b32 v9, 0, v9, s13 :: v_dual_lshlrev_b32 v2, 3, v2
	v_cndmask_b32_e64 v8, 7, v8, s13
	v_and_b32_e32 v2, 0xf8, v2
	s_delay_alu instid0(VALU_DEP_2) | instskip(NEXT) | instid1(VALU_DEP_2)
	v_cmp_eq_u64_e64 s13, 0, v[8:9]
	v_and_or_b32 v2, v8, 7, v2
	s_and_b32 s13, s14, s13
	s_delay_alu instid0(VALU_DEP_1) | instid1(SALU_CYCLE_1)
	v_cndmask_b32_e64 v2, v2, 0, s13
	s_delay_alu instid0(VALU_DEP_1)
	v_or_b32_e32 v94, v2, v56
.LBB2_3511:                             ;   in Loop: Header=BB2_3241 Depth=3
	s_or_b32 exec_lo, exec_lo, s75
                                        ; implicit-def: $vgpr56
.LBB2_3512:                             ;   in Loop: Header=BB2_3241 Depth=3
	s_and_not1_saveexec_b32 s13, s74
; %bb.3513:                             ;   in Loop: Header=BB2_3241 Depth=3
	v_or_b32_e32 v94, 0x7e, v56
; %bb.3514:                             ;   in Loop: Header=BB2_3241 Depth=3
	s_or_b32 exec_lo, exec_lo, s13
                                        ; implicit-def: $vgpr9
.LBB2_3515:                             ;   in Loop: Header=BB2_3241 Depth=3
	s_and_not1_saveexec_b32 s13, s15
; %bb.3516:                             ;   in Loop: Header=BB2_3241 Depth=3
	v_or_b32_e32 v94, 0x7f, v9
; %bb.3517:                             ;   in Loop: Header=BB2_3241 Depth=3
	s_or_b32 exec_lo, exec_lo, s13
	v_lshrrev_b16 v2, 8, v14
	v_mov_b32_e32 v8, 0
	s_mov_b32 s14, exec_lo
	s_delay_alu instid0(VALU_DEP_2)
	v_cmpx_ne_u16_e32 0, v2
	s_cbranch_execz .LBB2_3525
; %bb.3518:                             ;   in Loop: Header=BB2_3241 Depth=3
	v_bfrev_b32_e32 v8, 1
	s_mov_b32 s15, exec_lo
	v_cmpx_ne_u16_e32 0x80, v2
	s_cbranch_execz .LBB2_3524
; %bb.3519:                             ;   in Loop: Header=BB2_3241 Depth=3
	v_and_b32_e32 v2, 0xffff, v2
	v_mov_b32_e32 v8, 0x7f800001
	s_mov_b32 s74, exec_lo
	s_delay_alu instid0(VALU_DEP_2) | instskip(NEXT) | instid1(VALU_DEP_1)
	v_and_b32_e32 v9, 0x7f, v2
	v_cmpx_ne_u32_e32 0x7f, v9
	s_cbranch_execz .LBB2_3523
; %bb.3520:                             ;   in Loop: Header=BB2_3241 Depth=3
	v_dual_lshrrev_b32 v8, 3, v9 :: v_dual_bitop2_b32 v2, 7, v2 bitop3:0x40
	s_mov_b32 s75, exec_lo
	v_cmpx_gt_u32_e32 8, v9
; %bb.3521:                             ;   in Loop: Header=BB2_3241 Depth=3
	s_delay_alu instid0(VALU_DEP_2) | instskip(NEXT) | instid1(VALU_DEP_1)
	v_clz_i32_u32_e32 v8, v2
	v_min_u32_e32 v8, 32, v8
	s_delay_alu instid0(VALU_DEP_1) | instskip(SKIP_1) | instid1(VALU_DEP_2)
	v_subrev_nc_u32_e32 v9, 28, v8
	v_sub_nc_u32_e32 v8, 29, v8
	v_lshlrev_b64_e32 v[12:13], v9, v[2:3]
	s_delay_alu instid0(VALU_DEP_1)
	v_and_b32_e32 v2, 7, v12
; %bb.3522:                             ;   in Loop: Header=BB2_3241 Depth=3
	s_or_b32 exec_lo, exec_lo, s75
	v_lshlrev_b32_e32 v9, 16, v14
	s_delay_alu instid0(VALU_DEP_2) | instskip(SKIP_1) | instid1(VALU_DEP_3)
	v_lshlrev_b32_e32 v2, 20, v2
	v_lshl_add_u32 v8, v8, 23, 0x3c000000
	v_and_b32_e32 v9, 0x80000000, v9
	s_delay_alu instid0(VALU_DEP_1)
	v_or3_b32 v8, v2, v9, v8
.LBB2_3523:                             ;   in Loop: Header=BB2_3241 Depth=3
	s_or_b32 exec_lo, exec_lo, s74
.LBB2_3524:                             ;   in Loop: Header=BB2_3241 Depth=3
	s_delay_alu instid0(SALU_CYCLE_1)
	s_or_b32 exec_lo, exec_lo, s15
.LBB2_3525:                             ;   in Loop: Header=BB2_3241 Depth=3
	s_delay_alu instid0(SALU_CYCLE_1) | instskip(SKIP_3) | instid1(VALU_DEP_1)
	s_or_b32 exec_lo, exec_lo, s14
	v_lshrrev_b16 v9, 8, v10
	s_mov_b32 s15, 0
	s_mov_b32 s14, exec_lo
	v_cmpx_lt_i16_e32 0x7f, v9
	s_xor_b32 s14, exec_lo, s14
	s_cbranch_execz .LBB2_3532
; %bb.3526:                             ;   in Loop: Header=BB2_3241 Depth=3
	s_mov_b32 s15, -1
	s_mov_b32 s74, exec_lo
	v_cmpx_eq_u16_e32 0x80, v9
; %bb.3527:                             ;   in Loop: Header=BB2_3241 Depth=3
	s_xor_b32 s15, exec_lo, -1
; %bb.3528:                             ;   in Loop: Header=BB2_3241 Depth=3
	s_or_b32 exec_lo, exec_lo, s74
	s_delay_alu instid0(SALU_CYCLE_1)
	s_and_b32 s15, s15, exec_lo
	s_or_saveexec_b32 s14, s14
	v_bfrev_b32_e32 v12, 1
	s_xor_b32 exec_lo, exec_lo, s14
	s_cbranch_execnz .LBB2_3533
.LBB2_3529:                             ;   in Loop: Header=BB2_3241 Depth=3
	s_or_b32 exec_lo, exec_lo, s14
	s_and_saveexec_b32 s14, s15
	s_cbranch_execnz .LBB2_3534
	s_branch .LBB2_3537
.LBB2_3530:                             ;   in Loop: Header=BB2_3241 Depth=3
	s_or_saveexec_b32 s15, s15
	v_bfrev_b32_e32 v8, 1
	s_xor_b32 exec_lo, exec_lo, s15
	s_cbranch_execz .LBB2_3499
.LBB2_3531:                             ;   in Loop: Header=BB2_3241 Depth=3
	v_cmp_ne_u16_e64 s13, 0, v9
	v_mov_b32_e32 v8, 0
	s_and_not1_b32 s14, s14, exec_lo
	s_and_b32 s13, s13, exec_lo
	s_delay_alu instid0(SALU_CYCLE_1)
	s_or_b32 s14, s14, s13
	s_or_b32 exec_lo, exec_lo, s15
	s_and_saveexec_b32 s15, s14
	s_cbranch_execnz .LBB2_3500
	s_branch .LBB2_3501
.LBB2_3532:                             ;   in Loop: Header=BB2_3241 Depth=3
	s_or_saveexec_b32 s14, s14
	v_bfrev_b32_e32 v12, 1
	s_xor_b32 exec_lo, exec_lo, s14
	s_cbranch_execz .LBB2_3529
.LBB2_3533:                             ;   in Loop: Header=BB2_3241 Depth=3
	v_cmp_ne_u16_e64 s13, 0, v9
	v_mov_b32_e32 v12, 0
	s_and_not1_b32 s15, s15, exec_lo
	s_and_b32 s13, s13, exec_lo
	s_delay_alu instid0(SALU_CYCLE_1)
	s_or_b32 s15, s15, s13
	s_or_b32 exec_lo, exec_lo, s14
	s_and_saveexec_b32 s14, s15
	s_cbranch_execz .LBB2_3537
.LBB2_3534:                             ;   in Loop: Header=BB2_3241 Depth=3
	v_and_b32_e32 v2, 0xffff, v9
	v_mov_b32_e32 v12, 0x7f800001
	s_mov_b32 s15, exec_lo
	s_delay_alu instid0(VALU_DEP_2) | instskip(NEXT) | instid1(VALU_DEP_1)
	v_and_b32_e32 v13, 0x7f, v2
	v_cmpx_ne_u32_e32 0x7f, v13
	s_cbranch_execz .LBB2_3536
; %bb.3535:                             ;   in Loop: Header=BB2_3241 Depth=3
	v_and_b32_e32 v12, 7, v2
	v_cmp_gt_u32_e64 s13, 8, v13
	s_delay_alu instid0(VALU_DEP_2) | instskip(NEXT) | instid1(VALU_DEP_1)
	v_clz_i32_u32_e32 v18, v12
	v_min_u32_e32 v18, 32, v18
	s_delay_alu instid0(VALU_DEP_1) | instskip(NEXT) | instid1(VALU_DEP_1)
	v_subrev_nc_u32_e32 v19, 28, v18
	v_lshlrev_b64_e32 v[56:57], v19, v[2:3]
	v_dual_lshrrev_b32 v2, 3, v13 :: v_dual_sub_nc_u32 v18, 29, v18
	s_delay_alu instid0(VALU_DEP_2) | instskip(NEXT) | instid1(VALU_DEP_1)
	v_dual_lshlrev_b32 v9, 24, v9 :: v_dual_bitop2_b32 v13, 7, v56 bitop3:0x40
	v_dual_cndmask_b32 v2, v2, v18, s13 :: v_dual_cndmask_b32 v12, v12, v13, s13
	s_delay_alu instid0(VALU_DEP_2) | instskip(NEXT) | instid1(VALU_DEP_2)
	v_and_b32_e32 v9, 0x80000000, v9
	v_lshl_add_u32 v2, v2, 23, 0x3c000000
	s_delay_alu instid0(VALU_DEP_3) | instskip(NEXT) | instid1(VALU_DEP_1)
	v_lshlrev_b32_e32 v12, 20, v12
	v_or3_b32 v12, v12, v9, v2
.LBB2_3536:                             ;   in Loop: Header=BB2_3241 Depth=3
	s_or_b32 exec_lo, exec_lo, s15
.LBB2_3537:                             ;   in Loop: Header=BB2_3241 Depth=3
	s_delay_alu instid0(SALU_CYCLE_1) | instskip(NEXT) | instid1(VALU_DEP_1)
	s_or_b32 exec_lo, exec_lo, s14
	v_add_f32_e32 v8, v8, v12
                                        ; implicit-def: $vgpr95
	s_mov_b32 s14, exec_lo
	s_delay_alu instid0(VALU_DEP_1) | instskip(SKIP_1) | instid1(VALU_DEP_2)
	v_and_b32_e32 v2, 0x7f800000, v8
	v_lshrrev_b32_e32 v9, 24, v8
	v_cmpx_ne_u64_e32 0x7f800000, v[2:3]
	s_xor_b32 s15, exec_lo, s14
	s_cbranch_execz .LBB2_3551
; %bb.3538:                             ;   in Loop: Header=BB2_3241 Depth=3
	v_and_b32_e32 v2, 0x7fffffff, v8
	v_and_b32_e32 v56, 0x80, v9
                                        ; implicit-def: $vgpr95
	s_mov_b32 s14, exec_lo
	s_delay_alu instid0(VALU_DEP_2)
	v_cmpx_gt_u64_e32 0x43e00001, v[2:3]
	s_xor_b32 s74, exec_lo, s14
	s_cbranch_execz .LBB2_3548
; %bb.3539:                             ;   in Loop: Header=BB2_3241 Depth=3
	v_mov_b32_e32 v95, 0
	s_mov_b32 s75, exec_lo
	v_cmpx_ne_u32_e32 0, v8
	s_cbranch_execz .LBB2_3547
; %bb.3540:                             ;   in Loop: Header=BB2_3241 Depth=3
	v_bfe_u32 v57, v8, 23, 8
	s_delay_alu instid0(VALU_DEP_1) | instskip(SKIP_1) | instid1(VALU_DEP_1)
	v_sub_nc_u32_e32 v2, 0x79, v57
	v_cmp_gt_u32_e64 s13, 0x7a, v57
	v_cndmask_b32_e64 v2, 0, v2, s13
	v_cmp_eq_u32_e64 s13, 0, v57
	s_delay_alu instid0(VALU_DEP_1) | instskip(SKIP_1) | instid1(VALU_DEP_2)
	v_cndmask_b32_e64 v95, v2, 0x78, s13
	v_and_b32_e32 v2, 0x7fffff, v8
	v_add_nc_u32_e32 v8, 20, v95
	s_delay_alu instid0(VALU_DEP_2) | instskip(SKIP_1) | instid1(VALU_DEP_3)
	v_or_b32_e32 v12, 0x800000, v2
	v_add_nc_u32_e32 v13, 19, v95
	v_lshlrev_b64_e64 v[8:9], v8, -1
	s_delay_alu instid0(VALU_DEP_3) | instskip(NEXT) | instid1(VALU_DEP_3)
	v_cndmask_b32_e64 v2, v12, v2, s13
	v_lshlrev_b64_e64 v[12:13], v13, 1
	s_delay_alu instid0(VALU_DEP_3) | instskip(NEXT) | instid1(VALU_DEP_3)
	v_bfi_b32 v105, v9, 0, 0
	v_bfi_b32 v104, v8, 0, v2
	v_lshrrev_b64 v[8:9], v95, v[2:3]
	s_delay_alu instid0(VALU_DEP_2) | instskip(NEXT) | instid1(VALU_DEP_2)
	v_cmp_eq_u64_e64 s14, v[104:105], v[12:13]
	v_mov_b64_e32 v[12:13], v[8:9]
	s_and_saveexec_b32 s76, s14
; %bb.3541:                             ;   in Loop: Header=BB2_3241 Depth=3
	v_bfe_u32 v2, v8, 20, 1
	s_delay_alu instid0(VALU_DEP_1) | instskip(NEXT) | instid1(VALU_DEP_1)
	v_add_nc_u64_e32 v[12:13], v[8:9], v[2:3]
	v_add_nc_u64_e32 v[12:13], -1, v[12:13]
; %bb.3542:                             ;   in Loop: Header=BB2_3241 Depth=3
	s_or_b32 exec_lo, exec_lo, s76
	v_add_nc_u32_e32 v2, 0xffffff81, v57
	v_lshrrev_b32_e32 v9, 23, v8
	s_mov_b32 s14, exec_lo
	s_delay_alu instid0(VALU_DEP_2) | instskip(NEXT) | instid1(VALU_DEP_1)
	v_cndmask_b32_e64 v2, v2, 0xffffff82, s13
	v_add3_u32 v13, v95, v2, v9
	v_and_b32_e32 v2, 0xfffff, v12
                                        ; implicit-def: $vgpr12
	s_delay_alu instid0(VALU_DEP_1) | instskip(NEXT) | instid1(VALU_DEP_1)
	v_dual_add_nc_u32 v57, 6, v13 :: v_dual_add_nc_u32 v2, v2, v8
                                        ; implicit-def: $vgpr8_vgpr9
	v_cmpx_ne_u32_e32 0, v57
	s_xor_b32 s14, exec_lo, s14
; %bb.3543:                             ;   in Loop: Header=BB2_3241 Depth=3
	s_delay_alu instid0(VALU_DEP_2) | instskip(SKIP_1) | instid1(VALU_DEP_1)
	v_cmp_lt_u64_e64 s13, 0xffffff, v[2:3]
	v_add_nc_u32_e32 v8, 7, v13
	v_cndmask_b32_e64 v12, v57, v8, s13
	v_cndmask_b32_e64 v8, 0, 1, s13
	s_delay_alu instid0(VALU_DEP_1)
	v_lshrrev_b64 v[8:9], v8, v[2:3]
; %bb.3544:                             ;   in Loop: Header=BB2_3241 Depth=3
	s_and_not1_saveexec_b32 s13, s14
; %bb.3545:                             ;   in Loop: Header=BB2_3241 Depth=3
	v_mov_b64_e32 v[8:9], v[2:3]
	v_bfe_u32 v12, v2, 23, 1
; %bb.3546:                             ;   in Loop: Header=BB2_3241 Depth=3
	s_or_b32 exec_lo, exec_lo, s13
	s_delay_alu instid0(VALU_DEP_2) | instskip(NEXT) | instid1(VALU_DEP_2)
	v_lshrrev_b64 v[8:9], 20, v[8:9]
	v_cmp_gt_i32_e64 s13, 16, v12
	v_min_i32_e32 v2, 15, v12
	v_cmp_eq_u32_e64 s14, 0, v12
	s_delay_alu instid0(VALU_DEP_2) | instskip(SKIP_1) | instid1(VALU_DEP_2)
	v_dual_cndmask_b32 v9, 0, v9, s13 :: v_dual_lshlrev_b32 v2, 3, v2
	v_cndmask_b32_e64 v8, 7, v8, s13
	v_and_b32_e32 v2, 0xf8, v2
	s_delay_alu instid0(VALU_DEP_2) | instskip(NEXT) | instid1(VALU_DEP_2)
	v_cmp_eq_u64_e64 s13, 0, v[8:9]
	v_and_or_b32 v2, v8, 7, v2
	s_and_b32 s13, s14, s13
	s_delay_alu instid0(VALU_DEP_1) | instid1(SALU_CYCLE_1)
	v_cndmask_b32_e64 v2, v2, 0, s13
	s_delay_alu instid0(VALU_DEP_1)
	v_or_b32_e32 v95, v2, v56
.LBB2_3547:                             ;   in Loop: Header=BB2_3241 Depth=3
	s_or_b32 exec_lo, exec_lo, s75
                                        ; implicit-def: $vgpr56
.LBB2_3548:                             ;   in Loop: Header=BB2_3241 Depth=3
	s_and_not1_saveexec_b32 s13, s74
; %bb.3549:                             ;   in Loop: Header=BB2_3241 Depth=3
	v_or_b32_e32 v95, 0x7e, v56
; %bb.3550:                             ;   in Loop: Header=BB2_3241 Depth=3
	s_or_b32 exec_lo, exec_lo, s13
                                        ; implicit-def: $vgpr9
.LBB2_3551:                             ;   in Loop: Header=BB2_3241 Depth=3
	s_and_not1_saveexec_b32 s13, s15
; %bb.3552:                             ;   in Loop: Header=BB2_3241 Depth=3
	v_or_b32_e32 v95, 0x7f, v9
; %bb.3553:                             ;   in Loop: Header=BB2_3241 Depth=3
	s_or_b32 exec_lo, exec_lo, s13
	v_dual_mov_b32 v8, 0 :: v_dual_lshrrev_b32 v9, 16, v14
	s_mov_b32 s14, exec_lo
	s_delay_alu instid0(VALU_DEP_1) | instskip(NEXT) | instid1(VALU_DEP_1)
	v_and_b32_e32 v2, 0xff, v9
	v_cmpx_ne_u16_e32 0, v2
	s_cbranch_execz .LBB2_3561
; %bb.3554:                             ;   in Loop: Header=BB2_3241 Depth=3
	v_bfrev_b32_e32 v8, 1
	s_mov_b32 s15, exec_lo
	v_cmpx_ne_u16_e32 0x80, v2
	s_cbranch_execz .LBB2_3560
; %bb.3555:                             ;   in Loop: Header=BB2_3241 Depth=3
	v_bfe_u32 v12, v14, 16, 7
	v_mov_b32_e32 v8, 0x7f800001
	s_mov_b32 s74, exec_lo
	s_delay_alu instid0(VALU_DEP_2)
	v_cmpx_ne_u32_e32 0x7f, v12
	s_cbranch_execz .LBB2_3559
; %bb.3556:                             ;   in Loop: Header=BB2_3241 Depth=3
	v_dual_lshrrev_b32 v8, 3, v12 :: v_dual_bitop2_b32 v2, 7, v9 bitop3:0x40
	s_mov_b32 s75, exec_lo
	v_cmpx_gt_u32_e32 8, v12
; %bb.3557:                             ;   in Loop: Header=BB2_3241 Depth=3
	s_delay_alu instid0(VALU_DEP_2) | instskip(NEXT) | instid1(VALU_DEP_1)
	v_clz_i32_u32_e32 v8, v2
	v_min_u32_e32 v8, 32, v8
	s_delay_alu instid0(VALU_DEP_1) | instskip(SKIP_1) | instid1(VALU_DEP_2)
	v_subrev_nc_u32_e32 v12, 28, v8
	v_sub_nc_u32_e32 v8, 29, v8
	v_lshlrev_b64_e32 v[12:13], v12, v[2:3]
	s_delay_alu instid0(VALU_DEP_1)
	v_and_b32_e32 v2, 7, v12
; %bb.3558:                             ;   in Loop: Header=BB2_3241 Depth=3
	s_or_b32 exec_lo, exec_lo, s75
	s_delay_alu instid0(VALU_DEP_1) | instskip(SKIP_1) | instid1(VALU_DEP_2)
	v_dual_lshlrev_b32 v9, 24, v9 :: v_dual_lshlrev_b32 v2, 20, v2
	v_lshl_add_u32 v8, v8, 23, 0x3c000000
	v_and_b32_e32 v9, 0x80000000, v9
	s_delay_alu instid0(VALU_DEP_1)
	v_or3_b32 v8, v2, v9, v8
.LBB2_3559:                             ;   in Loop: Header=BB2_3241 Depth=3
	s_or_b32 exec_lo, exec_lo, s74
.LBB2_3560:                             ;   in Loop: Header=BB2_3241 Depth=3
	s_delay_alu instid0(SALU_CYCLE_1)
	s_or_b32 exec_lo, exec_lo, s15
.LBB2_3561:                             ;   in Loop: Header=BB2_3241 Depth=3
	s_delay_alu instid0(SALU_CYCLE_1) | instskip(SKIP_3) | instid1(VALU_DEP_1)
	s_or_b32 exec_lo, exec_lo, s14
	v_lshrrev_b32_e32 v2, 16, v10
	s_mov_b32 s15, 0
	s_mov_b32 s14, exec_lo
	v_and_b32_e32 v12, 0xff, v2
	s_delay_alu instid0(VALU_DEP_1)
	v_cmpx_lt_i16_e32 0x7f, v12
	s_xor_b32 s14, exec_lo, s14
	s_cbranch_execz .LBB2_3566
; %bb.3562:                             ;   in Loop: Header=BB2_3241 Depth=3
	s_mov_b32 s15, -1
	s_mov_b32 s74, exec_lo
	v_cmpx_eq_u16_e32 0x80, v12
; %bb.3563:                             ;   in Loop: Header=BB2_3241 Depth=3
	s_xor_b32 s15, exec_lo, -1
; %bb.3564:                             ;   in Loop: Header=BB2_3241 Depth=3
	s_or_b32 exec_lo, exec_lo, s74
	s_delay_alu instid0(SALU_CYCLE_1)
	s_and_b32 s15, s15, exec_lo
                                        ; implicit-def: $vgpr12
	s_or_saveexec_b32 s14, s14
	v_bfrev_b32_e32 v9, 1
	s_xor_b32 exec_lo, exec_lo, s14
	s_cbranch_execnz .LBB2_3567
.LBB2_3565:                             ;   in Loop: Header=BB2_3241 Depth=3
	s_or_b32 exec_lo, exec_lo, s14
	s_and_saveexec_b32 s14, s15
	s_cbranch_execnz .LBB2_3568
	s_branch .LBB2_3571
.LBB2_3566:                             ;   in Loop: Header=BB2_3241 Depth=3
	s_or_saveexec_b32 s14, s14
	v_bfrev_b32_e32 v9, 1
	s_xor_b32 exec_lo, exec_lo, s14
	s_cbranch_execz .LBB2_3565
.LBB2_3567:                             ;   in Loop: Header=BB2_3241 Depth=3
	v_cmp_ne_u16_e64 s13, 0, v12
	v_mov_b32_e32 v9, 0
	s_and_not1_b32 s15, s15, exec_lo
	s_and_b32 s13, s13, exec_lo
	s_delay_alu instid0(SALU_CYCLE_1)
	s_or_b32 s15, s15, s13
	s_or_b32 exec_lo, exec_lo, s14
	s_and_saveexec_b32 s14, s15
	s_cbranch_execz .LBB2_3571
.LBB2_3568:                             ;   in Loop: Header=BB2_3241 Depth=3
	v_and_b32_e32 v12, 0x7f, v2
	v_mov_b32_e32 v9, 0x7f800001
	s_mov_b32 s15, exec_lo
	s_delay_alu instid0(VALU_DEP_2)
	v_cmpx_ne_u32_e32 0x7f, v12
	s_cbranch_execz .LBB2_3570
; %bb.3569:                             ;   in Loop: Header=BB2_3241 Depth=3
	v_and_b32_e32 v9, 7, v2
	v_cmp_gt_u32_e64 s13, 8, v12
	s_delay_alu instid0(VALU_DEP_2) | instskip(NEXT) | instid1(VALU_DEP_1)
	v_clz_i32_u32_e32 v13, v9
	v_min_u32_e32 v13, 32, v13
	s_delay_alu instid0(VALU_DEP_1) | instskip(NEXT) | instid1(VALU_DEP_1)
	v_subrev_nc_u32_e32 v18, 28, v13
	v_lshlrev_b64_e32 v[56:57], v18, v[2:3]
	v_dual_lshrrev_b32 v18, 3, v12 :: v_dual_sub_nc_u32 v13, 29, v13
	s_delay_alu instid0(VALU_DEP_2) | instskip(NEXT) | instid1(VALU_DEP_1)
	v_dual_lshlrev_b32 v2, 24, v2 :: v_dual_bitop2_b32 v12, 7, v56 bitop3:0x40
	v_dual_cndmask_b32 v13, v18, v13, s13 :: v_dual_cndmask_b32 v9, v9, v12, s13
	s_delay_alu instid0(VALU_DEP_2) | instskip(NEXT) | instid1(VALU_DEP_2)
	v_and_b32_e32 v2, 0x80000000, v2
	v_lshl_add_u32 v12, v13, 23, 0x3c000000
	s_delay_alu instid0(VALU_DEP_3) | instskip(NEXT) | instid1(VALU_DEP_1)
	v_lshlrev_b32_e32 v9, 20, v9
	v_or3_b32 v9, v9, v2, v12
.LBB2_3570:                             ;   in Loop: Header=BB2_3241 Depth=3
	s_or_b32 exec_lo, exec_lo, s15
.LBB2_3571:                             ;   in Loop: Header=BB2_3241 Depth=3
	s_delay_alu instid0(SALU_CYCLE_1) | instskip(NEXT) | instid1(VALU_DEP_1)
	s_or_b32 exec_lo, exec_lo, s14
	v_add_f32_e32 v8, v8, v9
                                        ; implicit-def: $vgpr104
	s_mov_b32 s14, exec_lo
	s_delay_alu instid0(VALU_DEP_1) | instskip(SKIP_1) | instid1(VALU_DEP_2)
	v_and_b32_e32 v2, 0x7f800000, v8
	v_lshrrev_b32_e32 v9, 24, v8
	v_cmpx_ne_u64_e32 0x7f800000, v[2:3]
	s_xor_b32 s15, exec_lo, s14
	s_cbranch_execz .LBB2_3585
; %bb.3572:                             ;   in Loop: Header=BB2_3241 Depth=3
	v_and_b32_e32 v2, 0x7fffffff, v8
	v_and_b32_e32 v56, 0x80, v9
                                        ; implicit-def: $vgpr104
	s_mov_b32 s14, exec_lo
	s_delay_alu instid0(VALU_DEP_2)
	v_cmpx_gt_u64_e32 0x43e00001, v[2:3]
	s_xor_b32 s74, exec_lo, s14
	s_cbranch_execz .LBB2_3582
; %bb.3573:                             ;   in Loop: Header=BB2_3241 Depth=3
	v_mov_b32_e32 v104, 0
	s_mov_b32 s75, exec_lo
	v_cmpx_ne_u32_e32 0, v8
	s_cbranch_execz .LBB2_3581
; %bb.3574:                             ;   in Loop: Header=BB2_3241 Depth=3
	v_bfe_u32 v57, v8, 23, 8
	s_delay_alu instid0(VALU_DEP_1) | instskip(SKIP_1) | instid1(VALU_DEP_1)
	v_sub_nc_u32_e32 v2, 0x79, v57
	v_cmp_gt_u32_e64 s13, 0x7a, v57
	v_cndmask_b32_e64 v2, 0, v2, s13
	v_cmp_eq_u32_e64 s13, 0, v57
	s_delay_alu instid0(VALU_DEP_1) | instskip(SKIP_1) | instid1(VALU_DEP_2)
	v_cndmask_b32_e64 v104, v2, 0x78, s13
	v_and_b32_e32 v2, 0x7fffff, v8
	v_add_nc_u32_e32 v8, 20, v104
	s_delay_alu instid0(VALU_DEP_2) | instskip(SKIP_1) | instid1(VALU_DEP_3)
	v_or_b32_e32 v12, 0x800000, v2
	v_add_nc_u32_e32 v13, 19, v104
	v_lshlrev_b64_e64 v[8:9], v8, -1
	s_delay_alu instid0(VALU_DEP_3) | instskip(NEXT) | instid1(VALU_DEP_3)
	v_cndmask_b32_e64 v2, v12, v2, s13
	v_lshlrev_b64_e64 v[12:13], v13, 1
	s_delay_alu instid0(VALU_DEP_3) | instskip(NEXT) | instid1(VALU_DEP_3)
	v_bfi_b32 v107, v9, 0, 0
	v_bfi_b32 v106, v8, 0, v2
	v_lshrrev_b64 v[8:9], v104, v[2:3]
	s_delay_alu instid0(VALU_DEP_2) | instskip(NEXT) | instid1(VALU_DEP_2)
	v_cmp_eq_u64_e64 s14, v[106:107], v[12:13]
	v_mov_b64_e32 v[12:13], v[8:9]
	s_and_saveexec_b32 s76, s14
; %bb.3575:                             ;   in Loop: Header=BB2_3241 Depth=3
	v_bfe_u32 v2, v8, 20, 1
	s_delay_alu instid0(VALU_DEP_1) | instskip(NEXT) | instid1(VALU_DEP_1)
	v_add_nc_u64_e32 v[12:13], v[8:9], v[2:3]
	v_add_nc_u64_e32 v[12:13], -1, v[12:13]
; %bb.3576:                             ;   in Loop: Header=BB2_3241 Depth=3
	s_or_b32 exec_lo, exec_lo, s76
	v_add_nc_u32_e32 v2, 0xffffff81, v57
	v_lshrrev_b32_e32 v9, 23, v8
	s_mov_b32 s14, exec_lo
	s_delay_alu instid0(VALU_DEP_2) | instskip(NEXT) | instid1(VALU_DEP_1)
	v_cndmask_b32_e64 v2, v2, 0xffffff82, s13
	v_add3_u32 v13, v104, v2, v9
	v_and_b32_e32 v2, 0xfffff, v12
                                        ; implicit-def: $vgpr12
	s_delay_alu instid0(VALU_DEP_1) | instskip(NEXT) | instid1(VALU_DEP_1)
	v_dual_add_nc_u32 v57, 6, v13 :: v_dual_add_nc_u32 v2, v2, v8
                                        ; implicit-def: $vgpr8_vgpr9
	v_cmpx_ne_u32_e32 0, v57
	s_xor_b32 s14, exec_lo, s14
; %bb.3577:                             ;   in Loop: Header=BB2_3241 Depth=3
	s_delay_alu instid0(VALU_DEP_2) | instskip(SKIP_1) | instid1(VALU_DEP_1)
	v_cmp_lt_u64_e64 s13, 0xffffff, v[2:3]
	v_add_nc_u32_e32 v8, 7, v13
	v_cndmask_b32_e64 v12, v57, v8, s13
	v_cndmask_b32_e64 v8, 0, 1, s13
	s_delay_alu instid0(VALU_DEP_1)
	v_lshrrev_b64 v[8:9], v8, v[2:3]
; %bb.3578:                             ;   in Loop: Header=BB2_3241 Depth=3
	s_and_not1_saveexec_b32 s13, s14
; %bb.3579:                             ;   in Loop: Header=BB2_3241 Depth=3
	v_mov_b64_e32 v[8:9], v[2:3]
	v_bfe_u32 v12, v2, 23, 1
; %bb.3580:                             ;   in Loop: Header=BB2_3241 Depth=3
	s_or_b32 exec_lo, exec_lo, s13
	s_delay_alu instid0(VALU_DEP_2) | instskip(NEXT) | instid1(VALU_DEP_2)
	v_lshrrev_b64 v[8:9], 20, v[8:9]
	v_cmp_gt_i32_e64 s13, 16, v12
	v_min_i32_e32 v2, 15, v12
	v_cmp_eq_u32_e64 s14, 0, v12
	s_delay_alu instid0(VALU_DEP_2) | instskip(SKIP_1) | instid1(VALU_DEP_2)
	v_dual_cndmask_b32 v9, 0, v9, s13 :: v_dual_lshlrev_b32 v2, 3, v2
	v_cndmask_b32_e64 v8, 7, v8, s13
	v_and_b32_e32 v2, 0xf8, v2
	s_delay_alu instid0(VALU_DEP_2) | instskip(NEXT) | instid1(VALU_DEP_2)
	v_cmp_eq_u64_e64 s13, 0, v[8:9]
	v_and_or_b32 v2, v8, 7, v2
	s_and_b32 s13, s14, s13
	s_delay_alu instid0(VALU_DEP_1) | instid1(SALU_CYCLE_1)
	v_cndmask_b32_e64 v2, v2, 0, s13
	s_delay_alu instid0(VALU_DEP_1)
	v_or_b32_e32 v104, v2, v56
.LBB2_3581:                             ;   in Loop: Header=BB2_3241 Depth=3
	s_or_b32 exec_lo, exec_lo, s75
                                        ; implicit-def: $vgpr56
.LBB2_3582:                             ;   in Loop: Header=BB2_3241 Depth=3
	s_and_not1_saveexec_b32 s13, s74
; %bb.3583:                             ;   in Loop: Header=BB2_3241 Depth=3
	v_or_b32_e32 v104, 0x7e, v56
; %bb.3584:                             ;   in Loop: Header=BB2_3241 Depth=3
	s_or_b32 exec_lo, exec_lo, s13
                                        ; implicit-def: $vgpr9
.LBB2_3585:                             ;   in Loop: Header=BB2_3241 Depth=3
	s_and_not1_saveexec_b32 s13, s15
; %bb.3586:                             ;   in Loop: Header=BB2_3241 Depth=3
	v_or_b32_e32 v104, 0x7f, v9
; %bb.3587:                             ;   in Loop: Header=BB2_3241 Depth=3
	s_or_b32 exec_lo, exec_lo, s13
	v_mov_b32_e32 v8, 0
	s_mov_b32 s14, exec_lo
	v_cmpx_lt_u32_e32 0xffffff, v14
	s_cbranch_execz .LBB2_3595
; %bb.3588:                             ;   in Loop: Header=BB2_3241 Depth=3
	v_lshrrev_b32_e32 v9, 24, v14
	v_bfrev_b32_e32 v8, 1
	s_mov_b32 s15, exec_lo
	s_delay_alu instid0(VALU_DEP_2)
	v_cmpx_ne_u32_e32 0x80, v9
	s_cbranch_execz .LBB2_3594
; %bb.3589:                             ;   in Loop: Header=BB2_3241 Depth=3
	v_bfe_u32 v12, v14, 24, 7
	v_mov_b32_e32 v8, 0x7f800001
	s_mov_b32 s74, exec_lo
	s_delay_alu instid0(VALU_DEP_2)
	v_cmpx_ne_u32_e32 0x7f, v12
	s_cbranch_execz .LBB2_3593
; %bb.3590:                             ;   in Loop: Header=BB2_3241 Depth=3
	v_dual_lshrrev_b32 v8, 3, v12 :: v_dual_bitop2_b32 v2, 7, v9 bitop3:0x40
	s_mov_b32 s75, exec_lo
	v_cmpx_gt_u32_e32 8, v12
; %bb.3591:                             ;   in Loop: Header=BB2_3241 Depth=3
	s_delay_alu instid0(VALU_DEP_2) | instskip(NEXT) | instid1(VALU_DEP_1)
	v_clz_i32_u32_e32 v8, v2
	v_min_u32_e32 v8, 32, v8
	s_delay_alu instid0(VALU_DEP_1) | instskip(SKIP_1) | instid1(VALU_DEP_2)
	v_subrev_nc_u32_e32 v12, 28, v8
	v_sub_nc_u32_e32 v8, 29, v8
	v_lshlrev_b64_e32 v[12:13], v12, v[2:3]
	s_delay_alu instid0(VALU_DEP_1)
	v_and_b32_e32 v2, 7, v12
; %bb.3592:                             ;   in Loop: Header=BB2_3241 Depth=3
	s_or_b32 exec_lo, exec_lo, s75
	s_delay_alu instid0(VALU_DEP_1) | instskip(SKIP_1) | instid1(VALU_DEP_2)
	v_dual_lshlrev_b32 v9, 24, v9 :: v_dual_lshlrev_b32 v2, 20, v2
	v_lshl_add_u32 v8, v8, 23, 0x3c000000
	v_and_b32_e32 v9, 0x80000000, v9
	s_delay_alu instid0(VALU_DEP_1)
	v_or3_b32 v8, v2, v9, v8
.LBB2_3593:                             ;   in Loop: Header=BB2_3241 Depth=3
	s_or_b32 exec_lo, exec_lo, s74
.LBB2_3594:                             ;   in Loop: Header=BB2_3241 Depth=3
	s_delay_alu instid0(SALU_CYCLE_1)
	s_or_b32 exec_lo, exec_lo, s15
.LBB2_3595:                             ;   in Loop: Header=BB2_3241 Depth=3
	s_delay_alu instid0(SALU_CYCLE_1) | instskip(SKIP_3) | instid1(VALU_DEP_3)
	s_or_b32 exec_lo, exec_lo, s14
	v_lshrrev_b32_e32 v2, 24, v10
	v_bfe_u32 v9, v10, 24, 7
	v_cmp_gt_u32_e64 s15, 0x1000000, v10
	v_cmp_eq_u32_e64 s13, 0x80, v2
	s_delay_alu instid0(VALU_DEP_3) | instskip(NEXT) | instid1(VALU_DEP_2)
	v_cmp_eq_u32_e64 s14, 0x7f, v9
	v_cndmask_b32_e64 v12, 0x7f800001, v77, s13
	s_or_b32 s13, s13, s14
	s_delay_alu instid0(SALU_CYCLE_1) | instskip(NEXT) | instid1(VALU_DEP_1)
	s_nor_b32 s13, s15, s13
	v_cndmask_b32_e64 v12, v12, 0, s15
	s_and_saveexec_b32 s14, s13
	s_cbranch_execz .LBB2_3597
; %bb.3596:                             ;   in Loop: Header=BB2_3241 Depth=3
	v_and_b32_e32 v18, 7, v2
	v_cmp_gt_u32_e64 s13, 8, v9
	s_delay_alu instid0(VALU_DEP_2) | instskip(NEXT) | instid1(VALU_DEP_1)
	v_clz_i32_u32_e32 v12, v18
	v_min_u32_e32 v19, 32, v12
	s_delay_alu instid0(VALU_DEP_1) | instskip(NEXT) | instid1(VALU_DEP_1)
	v_subrev_nc_u32_e32 v12, 28, v19
	v_lshlrev_b64_e32 v[12:13], v12, v[2:3]
	v_dual_lshrrev_b32 v13, 3, v9 :: v_dual_sub_nc_u32 v19, 29, v19
	s_delay_alu instid0(VALU_DEP_2) | instskip(NEXT) | instid1(VALU_DEP_2)
	v_dual_lshlrev_b32 v2, 24, v2 :: v_dual_bitop2_b32 v9, 7, v12 bitop3:0x40
	v_cndmask_b32_e64 v12, v13, v19, s13
	s_delay_alu instid0(VALU_DEP_2) | instskip(NEXT) | instid1(VALU_DEP_3)
	v_and_b32_e32 v2, 0x80000000, v2
	v_cndmask_b32_e64 v9, v18, v9, s13
	s_delay_alu instid0(VALU_DEP_3) | instskip(NEXT) | instid1(VALU_DEP_2)
	v_lshl_add_u32 v12, v12, 23, 0x3c000000
	v_lshlrev_b32_e32 v9, 20, v9
	s_delay_alu instid0(VALU_DEP_1)
	v_or3_b32 v12, v9, v2, v12
.LBB2_3597:                             ;   in Loop: Header=BB2_3241 Depth=3
	s_or_b32 exec_lo, exec_lo, s14
	s_delay_alu instid0(VALU_DEP_1) | instskip(SKIP_1) | instid1(VALU_DEP_1)
	v_add_f32_e32 v8, v8, v12
                                        ; implicit-def: $vgpr105
	s_mov_b32 s14, exec_lo
	v_and_b32_e32 v2, 0x7f800000, v8
	v_lshrrev_b32_e32 v9, 24, v8
	s_delay_alu instid0(VALU_DEP_2)
	v_cmpx_ne_u64_e32 0x7f800000, v[2:3]
	s_xor_b32 s15, exec_lo, s14
	s_cbranch_execz .LBB2_3611
; %bb.3598:                             ;   in Loop: Header=BB2_3241 Depth=3
	v_and_b32_e32 v2, 0x7fffffff, v8
	v_and_b32_e32 v56, 0x80, v9
                                        ; implicit-def: $vgpr105
	s_mov_b32 s14, exec_lo
	s_delay_alu instid0(VALU_DEP_2)
	v_cmpx_gt_u64_e32 0x43e00001, v[2:3]
	s_xor_b32 s74, exec_lo, s14
	s_cbranch_execz .LBB2_3608
; %bb.3599:                             ;   in Loop: Header=BB2_3241 Depth=3
	v_mov_b32_e32 v105, 0
	s_mov_b32 s75, exec_lo
	v_cmpx_ne_u32_e32 0, v8
	s_cbranch_execz .LBB2_3607
; %bb.3600:                             ;   in Loop: Header=BB2_3241 Depth=3
	v_bfe_u32 v57, v8, 23, 8
	s_delay_alu instid0(VALU_DEP_1) | instskip(SKIP_1) | instid1(VALU_DEP_1)
	v_sub_nc_u32_e32 v2, 0x79, v57
	v_cmp_gt_u32_e64 s13, 0x7a, v57
	v_cndmask_b32_e64 v2, 0, v2, s13
	v_cmp_eq_u32_e64 s13, 0, v57
	s_delay_alu instid0(VALU_DEP_1) | instskip(SKIP_1) | instid1(VALU_DEP_2)
	v_cndmask_b32_e64 v105, v2, 0x78, s13
	v_and_b32_e32 v2, 0x7fffff, v8
	v_add_nc_u32_e32 v8, 20, v105
	s_delay_alu instid0(VALU_DEP_2) | instskip(SKIP_1) | instid1(VALU_DEP_3)
	v_or_b32_e32 v12, 0x800000, v2
	v_add_nc_u32_e32 v13, 19, v105
	v_lshlrev_b64_e64 v[8:9], v8, -1
	s_delay_alu instid0(VALU_DEP_3) | instskip(NEXT) | instid1(VALU_DEP_3)
	v_cndmask_b32_e64 v2, v12, v2, s13
	v_lshlrev_b64_e64 v[12:13], v13, 1
	s_delay_alu instid0(VALU_DEP_3) | instskip(NEXT) | instid1(VALU_DEP_3)
	v_bfi_b32 v107, v9, 0, 0
	v_bfi_b32 v106, v8, 0, v2
	v_lshrrev_b64 v[8:9], v105, v[2:3]
	s_delay_alu instid0(VALU_DEP_2) | instskip(NEXT) | instid1(VALU_DEP_2)
	v_cmp_eq_u64_e64 s14, v[106:107], v[12:13]
	v_mov_b64_e32 v[12:13], v[8:9]
	s_and_saveexec_b32 s76, s14
; %bb.3601:                             ;   in Loop: Header=BB2_3241 Depth=3
	v_bfe_u32 v2, v8, 20, 1
	s_delay_alu instid0(VALU_DEP_1) | instskip(NEXT) | instid1(VALU_DEP_1)
	v_add_nc_u64_e32 v[12:13], v[8:9], v[2:3]
	v_add_nc_u64_e32 v[12:13], -1, v[12:13]
; %bb.3602:                             ;   in Loop: Header=BB2_3241 Depth=3
	s_or_b32 exec_lo, exec_lo, s76
	v_add_nc_u32_e32 v2, 0xffffff81, v57
	v_lshrrev_b32_e32 v9, 23, v8
	s_mov_b32 s14, exec_lo
	s_delay_alu instid0(VALU_DEP_2) | instskip(NEXT) | instid1(VALU_DEP_1)
	v_cndmask_b32_e64 v2, v2, 0xffffff82, s13
	v_add3_u32 v13, v105, v2, v9
	v_and_b32_e32 v2, 0xfffff, v12
                                        ; implicit-def: $vgpr12
	s_delay_alu instid0(VALU_DEP_1) | instskip(NEXT) | instid1(VALU_DEP_1)
	v_dual_add_nc_u32 v57, 6, v13 :: v_dual_add_nc_u32 v2, v2, v8
                                        ; implicit-def: $vgpr8_vgpr9
	v_cmpx_ne_u32_e32 0, v57
	s_xor_b32 s14, exec_lo, s14
; %bb.3603:                             ;   in Loop: Header=BB2_3241 Depth=3
	s_delay_alu instid0(VALU_DEP_2) | instskip(SKIP_1) | instid1(VALU_DEP_1)
	v_cmp_lt_u64_e64 s13, 0xffffff, v[2:3]
	v_add_nc_u32_e32 v8, 7, v13
	v_cndmask_b32_e64 v12, v57, v8, s13
	v_cndmask_b32_e64 v8, 0, 1, s13
	s_delay_alu instid0(VALU_DEP_1)
	v_lshrrev_b64 v[8:9], v8, v[2:3]
; %bb.3604:                             ;   in Loop: Header=BB2_3241 Depth=3
	s_and_not1_saveexec_b32 s13, s14
; %bb.3605:                             ;   in Loop: Header=BB2_3241 Depth=3
	v_mov_b64_e32 v[8:9], v[2:3]
	v_bfe_u32 v12, v2, 23, 1
; %bb.3606:                             ;   in Loop: Header=BB2_3241 Depth=3
	s_or_b32 exec_lo, exec_lo, s13
	s_delay_alu instid0(VALU_DEP_2) | instskip(NEXT) | instid1(VALU_DEP_2)
	v_lshrrev_b64 v[8:9], 20, v[8:9]
	v_cmp_gt_i32_e64 s13, 16, v12
	v_min_i32_e32 v2, 15, v12
	v_cmp_eq_u32_e64 s14, 0, v12
	s_delay_alu instid0(VALU_DEP_2) | instskip(SKIP_1) | instid1(VALU_DEP_2)
	v_dual_cndmask_b32 v9, 0, v9, s13 :: v_dual_lshlrev_b32 v2, 3, v2
	v_cndmask_b32_e64 v8, 7, v8, s13
	v_and_b32_e32 v2, 0xf8, v2
	s_delay_alu instid0(VALU_DEP_2) | instskip(NEXT) | instid1(VALU_DEP_2)
	v_cmp_eq_u64_e64 s13, 0, v[8:9]
	v_and_or_b32 v2, v8, 7, v2
	s_and_b32 s13, s14, s13
	s_delay_alu instid0(VALU_DEP_1) | instid1(SALU_CYCLE_1)
	v_cndmask_b32_e64 v2, v2, 0, s13
	s_delay_alu instid0(VALU_DEP_1)
	v_or_b32_e32 v105, v2, v56
.LBB2_3607:                             ;   in Loop: Header=BB2_3241 Depth=3
	s_or_b32 exec_lo, exec_lo, s75
                                        ; implicit-def: $vgpr56
.LBB2_3608:                             ;   in Loop: Header=BB2_3241 Depth=3
	s_and_not1_saveexec_b32 s13, s74
; %bb.3609:                             ;   in Loop: Header=BB2_3241 Depth=3
	v_or_b32_e32 v105, 0x7e, v56
; %bb.3610:                             ;   in Loop: Header=BB2_3241 Depth=3
	s_or_b32 exec_lo, exec_lo, s13
                                        ; implicit-def: $vgpr9
.LBB2_3611:                             ;   in Loop: Header=BB2_3241 Depth=3
	s_and_not1_saveexec_b32 s13, s15
; %bb.3612:                             ;   in Loop: Header=BB2_3241 Depth=3
	v_or_b32_e32 v105, 0x7f, v9
; %bb.3613:                             ;   in Loop: Header=BB2_3241 Depth=3
	s_or_b32 exec_lo, exec_lo, s13
	v_and_b32_e32 v8, 0xff, v15
	v_dual_mov_b32 v2, v15 :: v_dual_mov_b32 v12, 0
	s_mov_b32 s14, exec_lo
	s_delay_alu instid0(VALU_DEP_2)
	v_cmpx_ne_u16_e32 0, v8
	s_cbranch_execz .LBB2_3619
; %bb.3614:                             ;   in Loop: Header=BB2_3241 Depth=3
	v_bfrev_b32_e32 v12, 1
	s_mov_b32 s15, exec_lo
	v_cmpx_ne_u16_e32 0x80, v8
	s_cbranch_execz .LBB2_3618
; %bb.3615:                             ;   in Loop: Header=BB2_3241 Depth=3
	v_and_b32_e32 v8, 0x7f, v15
	v_mov_b32_e32 v12, 0x7f800001
	s_mov_b32 s74, exec_lo
	s_delay_alu instid0(VALU_DEP_2)
	v_cmpx_ne_u32_e32 0x7f, v8
	s_cbranch_execz .LBB2_3617
; %bb.3616:                             ;   in Loop: Header=BB2_3241 Depth=3
	v_dual_lshrrev_b32 v12, 3, v8 :: v_dual_bitop2_b32 v9, 7, v15 bitop3:0x40
	v_cmp_gt_u32_e64 s13, 8, v8
	s_delay_alu instid0(VALU_DEP_2) | instskip(NEXT) | instid1(VALU_DEP_1)
	v_clz_i32_u32_e32 v9, v9
	v_min_u32_e32 v9, 32, v9
	s_delay_alu instid0(VALU_DEP_1) | instskip(SKIP_1) | instid1(VALU_DEP_2)
	v_subrev_nc_u32_e32 v13, 28, v9
	v_sub_nc_u32_e32 v9, 29, v9
	v_cndmask_b32_e64 v8, 0, v13, s13
	s_delay_alu instid0(VALU_DEP_2) | instskip(NEXT) | instid1(VALU_DEP_2)
	v_cndmask_b32_e64 v12, v12, v9, s13
	v_lshlrev_b64_e32 v[8:9], v8, v[2:3]
	v_lshlrev_b32_e32 v9, 24, v2
	s_delay_alu instid0(VALU_DEP_3) | instskip(NEXT) | instid1(VALU_DEP_2)
	v_lshl_add_u32 v12, v12, 23, 0x3c000000
	v_and_b32_e32 v9, 0x80000000, v9
	s_delay_alu instid0(VALU_DEP_4) | instskip(NEXT) | instid1(VALU_DEP_1)
	v_lshlrev_b32_e32 v8, 20, v8
	v_and_b32_e32 v8, 0x700000, v8
	s_delay_alu instid0(VALU_DEP_1)
	v_or3_b32 v12, v8, v9, v12
.LBB2_3617:                             ;   in Loop: Header=BB2_3241 Depth=3
	s_or_b32 exec_lo, exec_lo, s74
.LBB2_3618:                             ;   in Loop: Header=BB2_3241 Depth=3
	s_delay_alu instid0(SALU_CYCLE_1)
	s_or_b32 exec_lo, exec_lo, s15
.LBB2_3619:                             ;   in Loop: Header=BB2_3241 Depth=3
	s_delay_alu instid0(SALU_CYCLE_1) | instskip(SKIP_4) | instid1(VALU_DEP_2)
	s_or_b32 exec_lo, exec_lo, s14
	v_and_b32_e32 v9, 0xff, v11
	v_mov_b32_e32 v8, v11
	s_mov_b32 s14, 0
	s_mov_b32 s15, exec_lo
	v_cmpx_lt_i16_e32 0x7f, v9
	s_xor_b32 s15, exec_lo, s15
	s_cbranch_execz .LBB2_3654
; %bb.3620:                             ;   in Loop: Header=BB2_3241 Depth=3
	s_mov_b32 s14, -1
	s_mov_b32 s74, exec_lo
	v_cmpx_eq_u16_e32 0x80, v9
; %bb.3621:                             ;   in Loop: Header=BB2_3241 Depth=3
	s_xor_b32 s14, exec_lo, -1
; %bb.3622:                             ;   in Loop: Header=BB2_3241 Depth=3
	s_or_b32 exec_lo, exec_lo, s74
	s_delay_alu instid0(SALU_CYCLE_1)
	s_and_b32 s14, s14, exec_lo
                                        ; implicit-def: $vgpr9
	s_or_saveexec_b32 s15, s15
	v_bfrev_b32_e32 v13, 1
	s_xor_b32 exec_lo, exec_lo, s15
	s_cbranch_execnz .LBB2_3655
.LBB2_3623:                             ;   in Loop: Header=BB2_3241 Depth=3
	s_or_b32 exec_lo, exec_lo, s15
	v_mov_b32_e32 v9, v3
	s_and_saveexec_b32 s15, s14
	s_cbranch_execz .LBB2_3625
.LBB2_3624:                             ;   in Loop: Header=BB2_3241 Depth=3
	v_and_b32_e32 v18, 0x7f, v11
	v_bfe_u32 v19, v11, 3, 4
	s_delay_alu instid0(VALU_DEP_2) | instskip(SKIP_1) | instid1(VALU_DEP_1)
	v_cmp_gt_u32_e64 s13, 8, v18
	v_and_b32_e32 v13, 7, v11
	v_clz_i32_u32_e32 v13, v13
	s_delay_alu instid0(VALU_DEP_1) | instskip(NEXT) | instid1(VALU_DEP_1)
	v_min_u32_e32 v13, 32, v13
	v_subrev_nc_u32_e32 v56, 28, v13
	v_sub_nc_u32_e32 v13, 29, v13
	s_delay_alu instid0(VALU_DEP_1) | instskip(SKIP_1) | instid1(VALU_DEP_2)
	v_dual_cndmask_b32 v13, v19, v13, s13 :: v_dual_cndmask_b32 v19, 0, v56, s13
	v_cmp_ne_u32_e64 s13, 0x7f, v18
	v_lshlrev_b64_e32 v[56:57], v19, v[8:9]
	v_lshlrev_b32_e32 v9, 24, v8
	s_delay_alu instid0(VALU_DEP_1) | instskip(NEXT) | instid1(VALU_DEP_3)
	v_and_b32_e32 v9, 0x80000000, v9
	v_lshlrev_b32_e32 v19, 20, v56
	v_lshl_add_u32 v13, v13, 23, 0x3c000000
	s_delay_alu instid0(VALU_DEP_2) | instskip(NEXT) | instid1(VALU_DEP_1)
	v_and_b32_e32 v19, 0x700000, v19
	v_or3_b32 v9, v19, v9, v13
	s_delay_alu instid0(VALU_DEP_1)
	v_cndmask_b32_e64 v13, 0x7f800001, v9, s13
.LBB2_3625:                             ;   in Loop: Header=BB2_3241 Depth=3
	s_or_b32 exec_lo, exec_lo, s15
	s_delay_alu instid0(VALU_DEP_1) | instskip(NEXT) | instid1(VALU_DEP_1)
	v_dual_add_f32 v12, v12, v13 :: v_dual_mov_b32 v57, v3
	v_and_b32_e32 v56, 0x7f800000, v12
	v_lshrrev_b32_e32 v9, 24, v12
	s_delay_alu instid0(VALU_DEP_2) | instskip(SKIP_1) | instid1(SALU_CYCLE_1)
	v_cmp_ne_u64_e64 s13, 0x7f800000, v[56:57]
                                        ; implicit-def: $vgpr56
	s_and_saveexec_b32 s14, s13
	s_xor_b32 s15, exec_lo, s14
	s_cbranch_execz .LBB2_3639
; %bb.3626:                             ;   in Loop: Header=BB2_3241 Depth=3
	v_and_b32_e32 v56, 0x7fffffff, v12
	v_mov_b32_e32 v57, v3
	v_and_b32_e32 v9, 0x80, v9
	s_delay_alu instid0(VALU_DEP_2) | instskip(SKIP_1) | instid1(SALU_CYCLE_1)
	v_cmp_gt_u64_e64 s13, 0x43e00001, v[56:57]
                                        ; implicit-def: $vgpr56
	s_and_saveexec_b32 s14, s13
	s_xor_b32 s74, exec_lo, s14
	s_cbranch_execz .LBB2_3636
; %bb.3627:                             ;   in Loop: Header=BB2_3241 Depth=3
	v_mov_b32_e32 v56, 0
	s_mov_b32 s75, exec_lo
	v_cmpx_ne_u32_e32 0, v12
	s_cbranch_execz .LBB2_3635
; %bb.3628:                             ;   in Loop: Header=BB2_3241 Depth=3
	v_bfe_u32 v106, v12, 23, 8
	v_and_b32_e32 v18, 0x7fffff, v12
	v_mov_b32_e32 v57, v3
	s_mov_b32 s76, exec_lo
	s_delay_alu instid0(VALU_DEP_3) | instskip(SKIP_2) | instid1(VALU_DEP_2)
	v_sub_nc_u32_e32 v13, 0x79, v106
	v_cmp_gt_u32_e64 s13, 0x7a, v106
	v_or_b32_e32 v19, 0x800000, v18
	v_cndmask_b32_e64 v13, 0, v13, s13
	v_cmp_eq_u32_e64 s13, 0, v106
	s_delay_alu instid0(VALU_DEP_1) | instskip(NEXT) | instid1(VALU_DEP_1)
	v_cndmask_b32_e64 v107, v13, 0x78, s13
	v_dual_cndmask_b32 v56, v19, v18, s13 :: v_dual_add_nc_u32 v108, 19, v107
	v_add_nc_u32_e32 v12, 20, v107
	s_delay_alu instid0(VALU_DEP_2) | instskip(NEXT) | instid1(VALU_DEP_2)
	v_lshlrev_b64_e64 v[108:109], v108, 1
	v_lshlrev_b64_e64 v[12:13], v12, -1
	s_delay_alu instid0(VALU_DEP_1) | instskip(NEXT) | instid1(VALU_DEP_2)
	v_bfi_b32 v111, v13, 0, 0
	v_bfi_b32 v110, v12, 0, v56
	v_lshrrev_b64 v[12:13], v107, v[56:57]
	s_delay_alu instid0(VALU_DEP_1) | instskip(NEXT) | instid1(VALU_DEP_3)
	v_mov_b64_e32 v[56:57], v[12:13]
	v_cmpx_eq_u64_e64 v[110:111], v[108:109]
; %bb.3629:                             ;   in Loop: Header=BB2_3241 Depth=3
	v_bfe_u32 v56, v12, 20, 1
	v_mov_b32_e32 v57, v3
	s_delay_alu instid0(VALU_DEP_1) | instskip(NEXT) | instid1(VALU_DEP_1)
	v_add_nc_u64_e32 v[56:57], v[12:13], v[56:57]
	v_add_nc_u64_e32 v[56:57], -1, v[56:57]
; %bb.3630:                             ;   in Loop: Header=BB2_3241 Depth=3
	s_or_b32 exec_lo, exec_lo, s76
	v_add_nc_u32_e32 v13, 0xffffff81, v106
	v_lshrrev_b32_e32 v18, 23, v12
	s_mov_b32 s14, exec_lo
	s_delay_alu instid0(VALU_DEP_2) | instskip(NEXT) | instid1(VALU_DEP_1)
	v_cndmask_b32_e64 v13, v13, 0xffffff82, s13
	v_add3_u32 v57, v107, v13, v18
	v_and_b32_e32 v13, 0xfffff, v56
                                        ; implicit-def: $vgpr56
	s_delay_alu instid0(VALU_DEP_1) | instskip(SKIP_1) | instid1(VALU_DEP_2)
	v_dual_add_nc_u32 v106, 6, v57 :: v_dual_add_nc_u32 v12, v13, v12
	v_mov_b32_e32 v13, v3
	v_cmpx_ne_u32_e32 0, v106
	s_xor_b32 s14, exec_lo, s14
; %bb.3631:                             ;   in Loop: Header=BB2_3241 Depth=3
	s_delay_alu instid0(VALU_DEP_2) | instskip(SKIP_1) | instid1(VALU_DEP_1)
	v_cmp_lt_u64_e64 s13, 0xffffff, v[12:13]
	v_add_nc_u32_e32 v18, 7, v57
	v_cndmask_b32_e64 v56, v106, v18, s13
	v_cndmask_b32_e64 v18, 0, 1, s13
	s_delay_alu instid0(VALU_DEP_1)
	v_lshrrev_b64 v[12:13], v18, v[12:13]
; %bb.3632:                             ;   in Loop: Header=BB2_3241 Depth=3
	s_and_not1_saveexec_b32 s13, s14
; %bb.3633:                             ;   in Loop: Header=BB2_3241 Depth=3
	s_delay_alu instid0(VALU_DEP_1)
	v_bfe_u32 v56, v12, 23, 1
; %bb.3634:                             ;   in Loop: Header=BB2_3241 Depth=3
	s_or_b32 exec_lo, exec_lo, s13
	s_delay_alu instid0(VALU_DEP_2) | instskip(NEXT) | instid1(VALU_DEP_2)
	v_lshrrev_b64 v[12:13], 20, v[12:13]
	v_cmp_gt_i32_e64 s13, 16, v56
	v_min_i32_e32 v18, 15, v56
	v_cmp_eq_u32_e64 s14, 0, v56
	s_delay_alu instid0(VALU_DEP_2) | instskip(SKIP_1) | instid1(VALU_DEP_2)
	v_dual_cndmask_b32 v13, 0, v13, s13 :: v_dual_lshlrev_b32 v18, 3, v18
	v_cndmask_b32_e64 v12, 7, v12, s13
	v_and_b32_e32 v18, 0xf8, v18
	s_delay_alu instid0(VALU_DEP_2) | instskip(NEXT) | instid1(VALU_DEP_2)
	v_cmp_eq_u64_e64 s13, 0, v[12:13]
	v_and_or_b32 v12, v12, 7, v18
	s_and_b32 s13, s14, s13
	s_delay_alu instid0(VALU_DEP_1) | instid1(SALU_CYCLE_1)
	v_cndmask_b32_e64 v12, v12, 0, s13
	s_delay_alu instid0(VALU_DEP_1)
	v_or_b32_e32 v56, v12, v9
.LBB2_3635:                             ;   in Loop: Header=BB2_3241 Depth=3
	s_or_b32 exec_lo, exec_lo, s75
                                        ; implicit-def: $vgpr9
.LBB2_3636:                             ;   in Loop: Header=BB2_3241 Depth=3
	s_and_not1_saveexec_b32 s13, s74
; %bb.3637:                             ;   in Loop: Header=BB2_3241 Depth=3
	v_or_b32_e32 v56, 0x7e, v9
; %bb.3638:                             ;   in Loop: Header=BB2_3241 Depth=3
	s_or_b32 exec_lo, exec_lo, s13
                                        ; implicit-def: $vgpr9
.LBB2_3639:                             ;   in Loop: Header=BB2_3241 Depth=3
	s_and_not1_saveexec_b32 s13, s15
; %bb.3640:                             ;   in Loop: Header=BB2_3241 Depth=3
	v_or_b32_e32 v56, 0x7f, v9
; %bb.3641:                             ;   in Loop: Header=BB2_3241 Depth=3
	s_or_b32 exec_lo, exec_lo, s13
	v_lshrrev_b16 v12, 8, v2
	v_mov_b32_e32 v9, 0
	s_mov_b32 s14, exec_lo
	s_delay_alu instid0(VALU_DEP_2)
	v_cmpx_ne_u16_e32 0, v12
	s_cbranch_execz .LBB2_3649
; %bb.3642:                             ;   in Loop: Header=BB2_3241 Depth=3
	v_bfrev_b32_e32 v9, 1
	s_mov_b32 s15, exec_lo
	v_cmpx_ne_u16_e32 0x80, v12
	s_cbranch_execz .LBB2_3648
; %bb.3643:                             ;   in Loop: Header=BB2_3241 Depth=3
	v_and_b32_e32 v12, 0xffff, v12
	v_mov_b32_e32 v9, 0x7f800001
	s_mov_b32 s74, exec_lo
	s_delay_alu instid0(VALU_DEP_2) | instskip(NEXT) | instid1(VALU_DEP_1)
	v_and_b32_e32 v57, 0x7f, v12
	v_cmpx_ne_u32_e32 0x7f, v57
	s_cbranch_execz .LBB2_3647
; %bb.3644:                             ;   in Loop: Header=BB2_3241 Depth=3
	v_dual_mov_b32 v13, v3 :: v_dual_bitop2_b32 v12, 7, v12 bitop3:0x40
	v_lshrrev_b32_e32 v9, 3, v57
	s_mov_b32 s75, exec_lo
	v_cmpx_gt_u32_e32 8, v57
; %bb.3645:                             ;   in Loop: Header=BB2_3241 Depth=3
	s_delay_alu instid0(VALU_DEP_3) | instskip(NEXT) | instid1(VALU_DEP_1)
	v_clz_i32_u32_e32 v9, v12
	v_min_u32_e32 v9, 32, v9
	s_delay_alu instid0(VALU_DEP_1) | instskip(NEXT) | instid1(VALU_DEP_1)
	v_subrev_nc_u32_e32 v18, 28, v9
	v_lshlrev_b64_e32 v[12:13], v18, v[12:13]
	s_delay_alu instid0(VALU_DEP_1)
	v_dual_sub_nc_u32 v9, 29, v9 :: v_dual_bitop2_b32 v12, 7, v12 bitop3:0x40
; %bb.3646:                             ;   in Loop: Header=BB2_3241 Depth=3
	s_or_b32 exec_lo, exec_lo, s75
	s_delay_alu instid0(VALU_DEP_1) | instskip(NEXT) | instid1(VALU_DEP_2)
	v_dual_lshlrev_b32 v2, 16, v2 :: v_dual_lshlrev_b32 v12, 20, v12
	v_lshl_add_u32 v9, v9, 23, 0x3c000000
	s_delay_alu instid0(VALU_DEP_2) | instskip(NEXT) | instid1(VALU_DEP_1)
	v_and_b32_e32 v2, 0x80000000, v2
	v_or3_b32 v9, v12, v2, v9
.LBB2_3647:                             ;   in Loop: Header=BB2_3241 Depth=3
	s_or_b32 exec_lo, exec_lo, s74
.LBB2_3648:                             ;   in Loop: Header=BB2_3241 Depth=3
	s_delay_alu instid0(SALU_CYCLE_1)
	s_or_b32 exec_lo, exec_lo, s15
.LBB2_3649:                             ;   in Loop: Header=BB2_3241 Depth=3
	s_delay_alu instid0(SALU_CYCLE_1) | instskip(SKIP_3) | instid1(VALU_DEP_1)
	s_or_b32 exec_lo, exec_lo, s14
	v_lshrrev_b16 v8, 8, v8
	s_mov_b32 s15, 0
	s_mov_b32 s14, exec_lo
	v_cmpx_lt_i16_e32 0x7f, v8
	s_xor_b32 s14, exec_lo, s14
	s_cbranch_execz .LBB2_3656
; %bb.3650:                             ;   in Loop: Header=BB2_3241 Depth=3
	s_mov_b32 s15, -1
	s_mov_b32 s74, exec_lo
	v_cmpx_eq_u16_e32 0x80, v8
; %bb.3651:                             ;   in Loop: Header=BB2_3241 Depth=3
	s_xor_b32 s15, exec_lo, -1
; %bb.3652:                             ;   in Loop: Header=BB2_3241 Depth=3
	s_or_b32 exec_lo, exec_lo, s74
	s_delay_alu instid0(SALU_CYCLE_1)
	s_and_b32 s15, s15, exec_lo
	s_or_saveexec_b32 s14, s14
	v_bfrev_b32_e32 v12, 1
	s_xor_b32 exec_lo, exec_lo, s14
	s_cbranch_execnz .LBB2_3657
.LBB2_3653:                             ;   in Loop: Header=BB2_3241 Depth=3
	s_or_b32 exec_lo, exec_lo, s14
	s_and_saveexec_b32 s14, s15
	s_cbranch_execnz .LBB2_3658
	s_branch .LBB2_3661
.LBB2_3654:                             ;   in Loop: Header=BB2_3241 Depth=3
	s_or_saveexec_b32 s15, s15
	v_bfrev_b32_e32 v13, 1
	s_xor_b32 exec_lo, exec_lo, s15
	s_cbranch_execz .LBB2_3623
.LBB2_3655:                             ;   in Loop: Header=BB2_3241 Depth=3
	v_cmp_ne_u16_e64 s13, 0, v9
	v_mov_b32_e32 v13, 0
	s_and_not1_b32 s14, s14, exec_lo
	s_and_b32 s13, s13, exec_lo
	s_delay_alu instid0(SALU_CYCLE_1)
	s_or_b32 s14, s14, s13
	s_or_b32 exec_lo, exec_lo, s15
	v_mov_b32_e32 v9, v3
	s_and_saveexec_b32 s15, s14
	s_cbranch_execnz .LBB2_3624
	s_branch .LBB2_3625
.LBB2_3656:                             ;   in Loop: Header=BB2_3241 Depth=3
	s_or_saveexec_b32 s14, s14
	v_bfrev_b32_e32 v12, 1
	s_xor_b32 exec_lo, exec_lo, s14
	s_cbranch_execz .LBB2_3653
.LBB2_3657:                             ;   in Loop: Header=BB2_3241 Depth=3
	v_cmp_ne_u16_e64 s13, 0, v8
	v_mov_b32_e32 v12, 0
	s_and_not1_b32 s15, s15, exec_lo
	s_and_b32 s13, s13, exec_lo
	s_delay_alu instid0(SALU_CYCLE_1)
	s_or_b32 s15, s15, s13
	s_or_b32 exec_lo, exec_lo, s14
	s_and_saveexec_b32 s14, s15
	s_cbranch_execz .LBB2_3661
.LBB2_3658:                             ;   in Loop: Header=BB2_3241 Depth=3
	v_and_b32_e32 v2, 0xffff, v8
	v_mov_b32_e32 v12, 0x7f800001
	s_mov_b32 s15, exec_lo
	s_delay_alu instid0(VALU_DEP_2) | instskip(NEXT) | instid1(VALU_DEP_1)
	v_and_b32_e32 v13, 0x7f, v2
	v_cmpx_ne_u32_e32 0x7f, v13
	s_cbranch_execz .LBB2_3660
; %bb.3659:                             ;   in Loop: Header=BB2_3241 Depth=3
	v_and_b32_e32 v12, 7, v2
	v_cmp_gt_u32_e64 s13, 8, v13
	v_lshlrev_b32_e32 v8, 24, v8
	s_delay_alu instid0(VALU_DEP_3) | instskip(NEXT) | instid1(VALU_DEP_2)
	v_clz_i32_u32_e32 v18, v12
	v_and_b32_e32 v8, 0x80000000, v8
	s_delay_alu instid0(VALU_DEP_2) | instskip(NEXT) | instid1(VALU_DEP_1)
	v_min_u32_e32 v18, 32, v18
	v_subrev_nc_u32_e32 v19, 28, v18
	v_sub_nc_u32_e32 v18, 29, v18
	s_delay_alu instid0(VALU_DEP_2) | instskip(NEXT) | instid1(VALU_DEP_1)
	v_lshlrev_b64_e32 v[106:107], v19, v[2:3]
	v_dual_lshrrev_b32 v2, 3, v13 :: v_dual_bitop2_b32 v13, 7, v106 bitop3:0x40
	s_delay_alu instid0(VALU_DEP_1) | instskip(NEXT) | instid1(VALU_DEP_1)
	v_dual_cndmask_b32 v2, v2, v18, s13 :: v_dual_cndmask_b32 v12, v12, v13, s13
	v_lshl_add_u32 v2, v2, 23, 0x3c000000
	s_delay_alu instid0(VALU_DEP_2) | instskip(NEXT) | instid1(VALU_DEP_1)
	v_lshlrev_b32_e32 v12, 20, v12
	v_or3_b32 v12, v12, v8, v2
.LBB2_3660:                             ;   in Loop: Header=BB2_3241 Depth=3
	s_or_b32 exec_lo, exec_lo, s15
.LBB2_3661:                             ;   in Loop: Header=BB2_3241 Depth=3
	s_delay_alu instid0(SALU_CYCLE_1) | instskip(NEXT) | instid1(VALU_DEP_1)
	s_or_b32 exec_lo, exec_lo, s14
	v_add_f32_e32 v8, v9, v12
                                        ; implicit-def: $vgpr57
	s_mov_b32 s14, exec_lo
	s_delay_alu instid0(VALU_DEP_1) | instskip(SKIP_1) | instid1(VALU_DEP_2)
	v_and_b32_e32 v2, 0x7f800000, v8
	v_lshrrev_b32_e32 v9, 24, v8
	v_cmpx_ne_u64_e32 0x7f800000, v[2:3]
	s_xor_b32 s15, exec_lo, s14
	s_cbranch_execz .LBB2_3675
; %bb.3662:                             ;   in Loop: Header=BB2_3241 Depth=3
	v_and_b32_e32 v2, 0x7fffffff, v8
	v_and_b32_e32 v106, 0x80, v9
                                        ; implicit-def: $vgpr57
	s_mov_b32 s14, exec_lo
	s_delay_alu instid0(VALU_DEP_2)
	v_cmpx_gt_u64_e32 0x43e00001, v[2:3]
	s_xor_b32 s74, exec_lo, s14
	s_cbranch_execz .LBB2_3672
; %bb.3663:                             ;   in Loop: Header=BB2_3241 Depth=3
	v_mov_b32_e32 v57, 0
	s_mov_b32 s75, exec_lo
	v_cmpx_ne_u32_e32 0, v8
	s_cbranch_execz .LBB2_3671
; %bb.3664:                             ;   in Loop: Header=BB2_3241 Depth=3
	v_bfe_u32 v57, v8, 23, 8
	s_delay_alu instid0(VALU_DEP_1) | instskip(SKIP_1) | instid1(VALU_DEP_1)
	v_sub_nc_u32_e32 v2, 0x79, v57
	v_cmp_gt_u32_e64 s13, 0x7a, v57
	v_cndmask_b32_e64 v2, 0, v2, s13
	v_cmp_eq_u32_e64 s13, 0, v57
	s_delay_alu instid0(VALU_DEP_1) | instskip(SKIP_1) | instid1(VALU_DEP_2)
	v_cndmask_b32_e64 v107, v2, 0x78, s13
	v_and_b32_e32 v2, 0x7fffff, v8
	v_add_nc_u32_e32 v8, 20, v107
	s_delay_alu instid0(VALU_DEP_2) | instskip(SKIP_1) | instid1(VALU_DEP_3)
	v_or_b32_e32 v12, 0x800000, v2
	v_add_nc_u32_e32 v13, 19, v107
	v_lshlrev_b64_e64 v[8:9], v8, -1
	s_delay_alu instid0(VALU_DEP_3) | instskip(NEXT) | instid1(VALU_DEP_3)
	v_cndmask_b32_e64 v2, v12, v2, s13
	v_lshlrev_b64_e64 v[12:13], v13, 1
	s_delay_alu instid0(VALU_DEP_3) | instskip(NEXT) | instid1(VALU_DEP_3)
	v_bfi_b32 v109, v9, 0, 0
	v_bfi_b32 v108, v8, 0, v2
	v_lshrrev_b64 v[8:9], v107, v[2:3]
	s_delay_alu instid0(VALU_DEP_2) | instskip(NEXT) | instid1(VALU_DEP_2)
	v_cmp_eq_u64_e64 s14, v[108:109], v[12:13]
	v_mov_b64_e32 v[12:13], v[8:9]
	s_and_saveexec_b32 s76, s14
; %bb.3665:                             ;   in Loop: Header=BB2_3241 Depth=3
	v_bfe_u32 v2, v8, 20, 1
	s_delay_alu instid0(VALU_DEP_1) | instskip(NEXT) | instid1(VALU_DEP_1)
	v_add_nc_u64_e32 v[12:13], v[8:9], v[2:3]
	v_add_nc_u64_e32 v[12:13], -1, v[12:13]
; %bb.3666:                             ;   in Loop: Header=BB2_3241 Depth=3
	s_or_b32 exec_lo, exec_lo, s76
	v_add_nc_u32_e32 v2, 0xffffff81, v57
	v_lshrrev_b32_e32 v9, 23, v8
	s_mov_b32 s14, exec_lo
	s_delay_alu instid0(VALU_DEP_2) | instskip(NEXT) | instid1(VALU_DEP_1)
	v_cndmask_b32_e64 v2, v2, 0xffffff82, s13
	v_add3_u32 v13, v107, v2, v9
	v_and_b32_e32 v2, 0xfffff, v12
                                        ; implicit-def: $vgpr12
	s_delay_alu instid0(VALU_DEP_1) | instskip(NEXT) | instid1(VALU_DEP_1)
	v_dual_add_nc_u32 v57, 6, v13 :: v_dual_add_nc_u32 v2, v2, v8
                                        ; implicit-def: $vgpr8_vgpr9
	v_cmpx_ne_u32_e32 0, v57
	s_xor_b32 s14, exec_lo, s14
; %bb.3667:                             ;   in Loop: Header=BB2_3241 Depth=3
	s_delay_alu instid0(VALU_DEP_2) | instskip(SKIP_1) | instid1(VALU_DEP_1)
	v_cmp_lt_u64_e64 s13, 0xffffff, v[2:3]
	v_add_nc_u32_e32 v8, 7, v13
	v_cndmask_b32_e64 v12, v57, v8, s13
	v_cndmask_b32_e64 v8, 0, 1, s13
	s_delay_alu instid0(VALU_DEP_1)
	v_lshrrev_b64 v[8:9], v8, v[2:3]
; %bb.3668:                             ;   in Loop: Header=BB2_3241 Depth=3
	s_and_not1_saveexec_b32 s13, s14
; %bb.3669:                             ;   in Loop: Header=BB2_3241 Depth=3
	v_mov_b64_e32 v[8:9], v[2:3]
	v_bfe_u32 v12, v2, 23, 1
; %bb.3670:                             ;   in Loop: Header=BB2_3241 Depth=3
	s_or_b32 exec_lo, exec_lo, s13
	s_delay_alu instid0(VALU_DEP_2) | instskip(NEXT) | instid1(VALU_DEP_2)
	v_lshrrev_b64 v[8:9], 20, v[8:9]
	v_cmp_gt_i32_e64 s13, 16, v12
	v_min_i32_e32 v2, 15, v12
	v_cmp_eq_u32_e64 s14, 0, v12
	s_delay_alu instid0(VALU_DEP_2) | instskip(SKIP_1) | instid1(VALU_DEP_2)
	v_dual_cndmask_b32 v9, 0, v9, s13 :: v_dual_lshlrev_b32 v2, 3, v2
	v_cndmask_b32_e64 v8, 7, v8, s13
	v_and_b32_e32 v2, 0xf8, v2
	s_delay_alu instid0(VALU_DEP_2) | instskip(NEXT) | instid1(VALU_DEP_2)
	v_cmp_eq_u64_e64 s13, 0, v[8:9]
	v_and_or_b32 v2, v8, 7, v2
	s_and_b32 s13, s14, s13
	s_delay_alu instid0(VALU_DEP_1) | instid1(SALU_CYCLE_1)
	v_cndmask_b32_e64 v2, v2, 0, s13
	s_delay_alu instid0(VALU_DEP_1)
	v_or_b32_e32 v57, v2, v106
.LBB2_3671:                             ;   in Loop: Header=BB2_3241 Depth=3
	s_or_b32 exec_lo, exec_lo, s75
                                        ; implicit-def: $vgpr106
.LBB2_3672:                             ;   in Loop: Header=BB2_3241 Depth=3
	s_and_not1_saveexec_b32 s13, s74
; %bb.3673:                             ;   in Loop: Header=BB2_3241 Depth=3
	v_or_b32_e32 v57, 0x7e, v106
; %bb.3674:                             ;   in Loop: Header=BB2_3241 Depth=3
	s_or_b32 exec_lo, exec_lo, s13
                                        ; implicit-def: $vgpr9
.LBB2_3675:                             ;   in Loop: Header=BB2_3241 Depth=3
	s_and_not1_saveexec_b32 s13, s15
; %bb.3676:                             ;   in Loop: Header=BB2_3241 Depth=3
	v_or_b32_e32 v57, 0x7f, v9
; %bb.3677:                             ;   in Loop: Header=BB2_3241 Depth=3
	s_or_b32 exec_lo, exec_lo, s13
	v_dual_mov_b32 v8, 0 :: v_dual_lshrrev_b32 v9, 16, v15
	s_mov_b32 s14, exec_lo
	s_delay_alu instid0(VALU_DEP_1) | instskip(NEXT) | instid1(VALU_DEP_1)
	v_and_b32_e32 v2, 0xff, v9
	v_cmpx_ne_u16_e32 0, v2
	s_cbranch_execz .LBB2_3685
; %bb.3678:                             ;   in Loop: Header=BB2_3241 Depth=3
	v_bfrev_b32_e32 v8, 1
	s_mov_b32 s15, exec_lo
	v_cmpx_ne_u16_e32 0x80, v2
	s_cbranch_execz .LBB2_3684
; %bb.3679:                             ;   in Loop: Header=BB2_3241 Depth=3
	v_bfe_u32 v12, v15, 16, 7
	v_mov_b32_e32 v8, 0x7f800001
	s_mov_b32 s74, exec_lo
	s_delay_alu instid0(VALU_DEP_2)
	v_cmpx_ne_u32_e32 0x7f, v12
	s_cbranch_execz .LBB2_3683
; %bb.3680:                             ;   in Loop: Header=BB2_3241 Depth=3
	v_dual_lshrrev_b32 v8, 3, v12 :: v_dual_bitop2_b32 v2, 7, v9 bitop3:0x40
	s_mov_b32 s75, exec_lo
	v_cmpx_gt_u32_e32 8, v12
; %bb.3681:                             ;   in Loop: Header=BB2_3241 Depth=3
	s_delay_alu instid0(VALU_DEP_2) | instskip(NEXT) | instid1(VALU_DEP_1)
	v_clz_i32_u32_e32 v8, v2
	v_min_u32_e32 v8, 32, v8
	s_delay_alu instid0(VALU_DEP_1) | instskip(SKIP_1) | instid1(VALU_DEP_2)
	v_subrev_nc_u32_e32 v12, 28, v8
	v_sub_nc_u32_e32 v8, 29, v8
	v_lshlrev_b64_e32 v[12:13], v12, v[2:3]
	s_delay_alu instid0(VALU_DEP_1)
	v_and_b32_e32 v2, 7, v12
; %bb.3682:                             ;   in Loop: Header=BB2_3241 Depth=3
	s_or_b32 exec_lo, exec_lo, s75
	s_delay_alu instid0(VALU_DEP_1) | instskip(SKIP_1) | instid1(VALU_DEP_2)
	v_dual_lshlrev_b32 v9, 24, v9 :: v_dual_lshlrev_b32 v2, 20, v2
	v_lshl_add_u32 v8, v8, 23, 0x3c000000
	v_and_b32_e32 v9, 0x80000000, v9
	s_delay_alu instid0(VALU_DEP_1)
	v_or3_b32 v8, v2, v9, v8
.LBB2_3683:                             ;   in Loop: Header=BB2_3241 Depth=3
	s_or_b32 exec_lo, exec_lo, s74
.LBB2_3684:                             ;   in Loop: Header=BB2_3241 Depth=3
	s_delay_alu instid0(SALU_CYCLE_1)
	s_or_b32 exec_lo, exec_lo, s15
.LBB2_3685:                             ;   in Loop: Header=BB2_3241 Depth=3
	s_delay_alu instid0(SALU_CYCLE_1) | instskip(SKIP_3) | instid1(VALU_DEP_1)
	s_or_b32 exec_lo, exec_lo, s14
	v_lshrrev_b32_e32 v2, 16, v11
	s_mov_b32 s15, 0
	s_mov_b32 s14, exec_lo
	v_and_b32_e32 v12, 0xff, v2
	s_delay_alu instid0(VALU_DEP_1)
	v_cmpx_lt_i16_e32 0x7f, v12
	s_xor_b32 s14, exec_lo, s14
	s_cbranch_execz .LBB2_3690
; %bb.3686:                             ;   in Loop: Header=BB2_3241 Depth=3
	s_mov_b32 s15, -1
	s_mov_b32 s74, exec_lo
	v_cmpx_eq_u16_e32 0x80, v12
; %bb.3687:                             ;   in Loop: Header=BB2_3241 Depth=3
	s_xor_b32 s15, exec_lo, -1
; %bb.3688:                             ;   in Loop: Header=BB2_3241 Depth=3
	s_or_b32 exec_lo, exec_lo, s74
	s_delay_alu instid0(SALU_CYCLE_1)
	s_and_b32 s15, s15, exec_lo
                                        ; implicit-def: $vgpr12
	s_or_saveexec_b32 s14, s14
	v_bfrev_b32_e32 v9, 1
	s_xor_b32 exec_lo, exec_lo, s14
	s_cbranch_execnz .LBB2_3691
.LBB2_3689:                             ;   in Loop: Header=BB2_3241 Depth=3
	s_or_b32 exec_lo, exec_lo, s14
	s_and_saveexec_b32 s14, s15
	s_cbranch_execnz .LBB2_3692
	s_branch .LBB2_3695
.LBB2_3690:                             ;   in Loop: Header=BB2_3241 Depth=3
	s_or_saveexec_b32 s14, s14
	v_bfrev_b32_e32 v9, 1
	s_xor_b32 exec_lo, exec_lo, s14
	s_cbranch_execz .LBB2_3689
.LBB2_3691:                             ;   in Loop: Header=BB2_3241 Depth=3
	v_cmp_ne_u16_e64 s13, 0, v12
	v_mov_b32_e32 v9, 0
	s_and_not1_b32 s15, s15, exec_lo
	s_and_b32 s13, s13, exec_lo
	s_delay_alu instid0(SALU_CYCLE_1)
	s_or_b32 s15, s15, s13
	s_or_b32 exec_lo, exec_lo, s14
	s_and_saveexec_b32 s14, s15
	s_cbranch_execz .LBB2_3695
.LBB2_3692:                             ;   in Loop: Header=BB2_3241 Depth=3
	v_and_b32_e32 v12, 0x7f, v2
	v_mov_b32_e32 v9, 0x7f800001
	s_mov_b32 s15, exec_lo
	s_delay_alu instid0(VALU_DEP_2)
	v_cmpx_ne_u32_e32 0x7f, v12
	s_cbranch_execz .LBB2_3694
; %bb.3693:                             ;   in Loop: Header=BB2_3241 Depth=3
	v_and_b32_e32 v9, 7, v2
	v_cmp_gt_u32_e64 s13, 8, v12
	s_delay_alu instid0(VALU_DEP_2) | instskip(NEXT) | instid1(VALU_DEP_1)
	v_clz_i32_u32_e32 v13, v9
	v_min_u32_e32 v13, 32, v13
	s_delay_alu instid0(VALU_DEP_1) | instskip(NEXT) | instid1(VALU_DEP_1)
	v_subrev_nc_u32_e32 v18, 28, v13
	v_lshlrev_b64_e32 v[106:107], v18, v[2:3]
	v_dual_lshrrev_b32 v18, 3, v12 :: v_dual_sub_nc_u32 v13, 29, v13
	s_delay_alu instid0(VALU_DEP_2) | instskip(NEXT) | instid1(VALU_DEP_2)
	v_and_b32_e32 v12, 7, v106
	v_dual_lshlrev_b32 v2, 24, v2 :: v_dual_cndmask_b32 v13, v18, v13, s13
	s_delay_alu instid0(VALU_DEP_2) | instskip(NEXT) | instid1(VALU_DEP_2)
	v_cndmask_b32_e64 v9, v9, v12, s13
	v_and_b32_e32 v2, 0x80000000, v2
	s_delay_alu instid0(VALU_DEP_3) | instskip(NEXT) | instid1(VALU_DEP_3)
	v_lshl_add_u32 v12, v13, 23, 0x3c000000
	v_lshlrev_b32_e32 v9, 20, v9
	s_delay_alu instid0(VALU_DEP_1)
	v_or3_b32 v9, v9, v2, v12
.LBB2_3694:                             ;   in Loop: Header=BB2_3241 Depth=3
	s_or_b32 exec_lo, exec_lo, s15
.LBB2_3695:                             ;   in Loop: Header=BB2_3241 Depth=3
	s_delay_alu instid0(SALU_CYCLE_1) | instskip(NEXT) | instid1(VALU_DEP_1)
	s_or_b32 exec_lo, exec_lo, s14
	v_add_f32_e32 v8, v8, v9
                                        ; implicit-def: $vgpr12
	s_mov_b32 s14, exec_lo
	s_delay_alu instid0(VALU_DEP_1) | instskip(SKIP_1) | instid1(VALU_DEP_2)
	v_and_b32_e32 v2, 0x7f800000, v8
	v_lshrrev_b32_e32 v9, 24, v8
	v_cmpx_ne_u64_e32 0x7f800000, v[2:3]
	s_xor_b32 s15, exec_lo, s14
	s_cbranch_execz .LBB2_3709
; %bb.3696:                             ;   in Loop: Header=BB2_3241 Depth=3
	v_and_b32_e32 v2, 0x7fffffff, v8
	v_and_b32_e32 v106, 0x80, v9
                                        ; implicit-def: $vgpr12
	s_mov_b32 s14, exec_lo
	s_delay_alu instid0(VALU_DEP_2)
	v_cmpx_gt_u64_e32 0x43e00001, v[2:3]
	s_xor_b32 s74, exec_lo, s14
	s_cbranch_execz .LBB2_3706
; %bb.3697:                             ;   in Loop: Header=BB2_3241 Depth=3
	v_mov_b32_e32 v12, 0
	s_mov_b32 s75, exec_lo
	v_cmpx_ne_u32_e32 0, v8
	s_cbranch_execz .LBB2_3705
; %bb.3698:                             ;   in Loop: Header=BB2_3241 Depth=3
	v_bfe_u32 v107, v8, 23, 8
	s_delay_alu instid0(VALU_DEP_1) | instskip(SKIP_1) | instid1(VALU_DEP_1)
	v_sub_nc_u32_e32 v2, 0x79, v107
	v_cmp_gt_u32_e64 s13, 0x7a, v107
	v_cndmask_b32_e64 v2, 0, v2, s13
	v_cmp_eq_u32_e64 s13, 0, v107
	s_delay_alu instid0(VALU_DEP_1) | instskip(SKIP_1) | instid1(VALU_DEP_2)
	v_cndmask_b32_e64 v108, v2, 0x78, s13
	v_and_b32_e32 v2, 0x7fffff, v8
	v_add_nc_u32_e32 v8, 20, v108
	s_delay_alu instid0(VALU_DEP_2) | instskip(SKIP_1) | instid1(VALU_DEP_3)
	v_or_b32_e32 v12, 0x800000, v2
	v_add_nc_u32_e32 v13, 19, v108
	v_lshlrev_b64_e64 v[8:9], v8, -1
	s_delay_alu instid0(VALU_DEP_3) | instskip(NEXT) | instid1(VALU_DEP_3)
	v_cndmask_b32_e64 v2, v12, v2, s13
	v_lshlrev_b64_e64 v[12:13], v13, 1
	s_delay_alu instid0(VALU_DEP_3) | instskip(NEXT) | instid1(VALU_DEP_3)
	v_bfi_b32 v111, v9, 0, 0
	v_bfi_b32 v110, v8, 0, v2
	v_lshrrev_b64 v[8:9], v108, v[2:3]
	s_delay_alu instid0(VALU_DEP_2) | instskip(NEXT) | instid1(VALU_DEP_2)
	v_cmp_eq_u64_e64 s14, v[110:111], v[12:13]
	v_mov_b64_e32 v[12:13], v[8:9]
	s_and_saveexec_b32 s76, s14
; %bb.3699:                             ;   in Loop: Header=BB2_3241 Depth=3
	v_bfe_u32 v2, v8, 20, 1
	s_delay_alu instid0(VALU_DEP_1) | instskip(NEXT) | instid1(VALU_DEP_1)
	v_add_nc_u64_e32 v[12:13], v[8:9], v[2:3]
	v_add_nc_u64_e32 v[12:13], -1, v[12:13]
; %bb.3700:                             ;   in Loop: Header=BB2_3241 Depth=3
	s_or_b32 exec_lo, exec_lo, s76
	v_add_nc_u32_e32 v2, 0xffffff81, v107
	v_lshrrev_b32_e32 v9, 23, v8
	s_mov_b32 s14, exec_lo
	s_delay_alu instid0(VALU_DEP_2) | instskip(NEXT) | instid1(VALU_DEP_1)
	v_cndmask_b32_e64 v2, v2, 0xffffff82, s13
	v_add3_u32 v13, v108, v2, v9
	v_and_b32_e32 v2, 0xfffff, v12
                                        ; implicit-def: $vgpr12
	s_delay_alu instid0(VALU_DEP_1) | instskip(NEXT) | instid1(VALU_DEP_1)
	v_dual_add_nc_u32 v107, 6, v13 :: v_dual_add_nc_u32 v2, v2, v8
                                        ; implicit-def: $vgpr8_vgpr9
	v_cmpx_ne_u32_e32 0, v107
	s_xor_b32 s14, exec_lo, s14
; %bb.3701:                             ;   in Loop: Header=BB2_3241 Depth=3
	s_delay_alu instid0(VALU_DEP_2) | instskip(SKIP_1) | instid1(VALU_DEP_1)
	v_cmp_lt_u64_e64 s13, 0xffffff, v[2:3]
	v_add_nc_u32_e32 v8, 7, v13
	v_cndmask_b32_e64 v12, v107, v8, s13
	v_cndmask_b32_e64 v8, 0, 1, s13
	s_delay_alu instid0(VALU_DEP_1)
	v_lshrrev_b64 v[8:9], v8, v[2:3]
; %bb.3702:                             ;   in Loop: Header=BB2_3241 Depth=3
	s_and_not1_saveexec_b32 s13, s14
; %bb.3703:                             ;   in Loop: Header=BB2_3241 Depth=3
	v_mov_b64_e32 v[8:9], v[2:3]
	v_bfe_u32 v12, v2, 23, 1
; %bb.3704:                             ;   in Loop: Header=BB2_3241 Depth=3
	s_or_b32 exec_lo, exec_lo, s13
	s_delay_alu instid0(VALU_DEP_2) | instskip(NEXT) | instid1(VALU_DEP_2)
	v_lshrrev_b64 v[8:9], 20, v[8:9]
	v_cmp_gt_i32_e64 s13, 16, v12
	v_min_i32_e32 v2, 15, v12
	v_cmp_eq_u32_e64 s14, 0, v12
	s_delay_alu instid0(VALU_DEP_2) | instskip(SKIP_1) | instid1(VALU_DEP_2)
	v_dual_cndmask_b32 v9, 0, v9, s13 :: v_dual_lshlrev_b32 v2, 3, v2
	v_cndmask_b32_e64 v8, 7, v8, s13
	v_and_b32_e32 v2, 0xf8, v2
	s_delay_alu instid0(VALU_DEP_2) | instskip(NEXT) | instid1(VALU_DEP_2)
	v_cmp_eq_u64_e64 s13, 0, v[8:9]
	v_and_or_b32 v2, v8, 7, v2
	s_and_b32 s13, s14, s13
	s_delay_alu instid0(VALU_DEP_1) | instid1(SALU_CYCLE_1)
	v_cndmask_b32_e64 v2, v2, 0, s13
	s_delay_alu instid0(VALU_DEP_1)
	v_or_b32_e32 v12, v2, v106
.LBB2_3705:                             ;   in Loop: Header=BB2_3241 Depth=3
	s_or_b32 exec_lo, exec_lo, s75
                                        ; implicit-def: $vgpr106
.LBB2_3706:                             ;   in Loop: Header=BB2_3241 Depth=3
	s_and_not1_saveexec_b32 s13, s74
; %bb.3707:                             ;   in Loop: Header=BB2_3241 Depth=3
	v_or_b32_e32 v12, 0x7e, v106
; %bb.3708:                             ;   in Loop: Header=BB2_3241 Depth=3
	s_or_b32 exec_lo, exec_lo, s13
                                        ; implicit-def: $vgpr9
.LBB2_3709:                             ;   in Loop: Header=BB2_3241 Depth=3
	s_and_not1_saveexec_b32 s13, s15
; %bb.3710:                             ;   in Loop: Header=BB2_3241 Depth=3
	v_or_b32_e32 v12, 0x7f, v9
; %bb.3711:                             ;   in Loop: Header=BB2_3241 Depth=3
	s_or_b32 exec_lo, exec_lo, s13
	v_mov_b32_e32 v8, 0
	s_mov_b32 s14, exec_lo
	v_cmpx_lt_u64_e64 s[22:23], v[14:15]
	s_cbranch_execz .LBB2_3719
; %bb.3712:                             ;   in Loop: Header=BB2_3241 Depth=3
	v_lshrrev_b32_e32 v9, 24, v15
	v_bfrev_b32_e32 v8, 1
	s_mov_b32 s15, exec_lo
	s_delay_alu instid0(VALU_DEP_2)
	v_cmpx_ne_u32_e32 0x80, v9
	s_cbranch_execz .LBB2_3718
; %bb.3713:                             ;   in Loop: Header=BB2_3241 Depth=3
	v_bfe_u32 v13, v15, 24, 7
	v_mov_b32_e32 v8, 0x7f800001
	s_mov_b32 s74, exec_lo
	s_delay_alu instid0(VALU_DEP_2)
	v_cmpx_ne_u32_e32 0x7f, v13
	s_cbranch_execz .LBB2_3717
; %bb.3714:                             ;   in Loop: Header=BB2_3241 Depth=3
	v_and_b32_e32 v2, 7, v9
	v_lshrrev_b32_e32 v8, 3, v13
	s_mov_b32 s75, exec_lo
	v_cmpx_gt_u32_e32 8, v13
; %bb.3715:                             ;   in Loop: Header=BB2_3241 Depth=3
	s_delay_alu instid0(VALU_DEP_3) | instskip(NEXT) | instid1(VALU_DEP_1)
	v_clz_i32_u32_e32 v8, v2
	v_min_u32_e32 v8, 32, v8
	s_delay_alu instid0(VALU_DEP_1) | instskip(NEXT) | instid1(VALU_DEP_1)
	v_subrev_nc_u32_e32 v13, 28, v8
	v_lshlrev_b64_e32 v[14:15], v13, v[2:3]
	s_delay_alu instid0(VALU_DEP_1)
	v_dual_sub_nc_u32 v8, 29, v8 :: v_dual_bitop2_b32 v2, 7, v14 bitop3:0x40
; %bb.3716:                             ;   in Loop: Header=BB2_3241 Depth=3
	s_or_b32 exec_lo, exec_lo, s75
	s_delay_alu instid0(VALU_DEP_1) | instskip(NEXT) | instid1(VALU_DEP_2)
	v_dual_lshlrev_b32 v9, 24, v9 :: v_dual_lshlrev_b32 v2, 20, v2
	v_lshl_add_u32 v8, v8, 23, 0x3c000000
	s_delay_alu instid0(VALU_DEP_2) | instskip(NEXT) | instid1(VALU_DEP_1)
	v_and_b32_e32 v9, 0x80000000, v9
	v_or3_b32 v8, v2, v9, v8
.LBB2_3717:                             ;   in Loop: Header=BB2_3241 Depth=3
	s_or_b32 exec_lo, exec_lo, s74
.LBB2_3718:                             ;   in Loop: Header=BB2_3241 Depth=3
	s_delay_alu instid0(SALU_CYCLE_1)
	s_or_b32 exec_lo, exec_lo, s15
.LBB2_3719:                             ;   in Loop: Header=BB2_3241 Depth=3
	s_delay_alu instid0(SALU_CYCLE_1) | instskip(SKIP_3) | instid1(VALU_DEP_3)
	s_or_b32 exec_lo, exec_lo, s14
	v_lshrrev_b32_e32 v2, 24, v11
	v_bfe_u32 v9, v11, 24, 7
	v_cmp_gt_u64_e64 s15, s[24:25], v[10:11]
	v_cmp_eq_u32_e64 s14, 0x80, v2
	s_delay_alu instid0(VALU_DEP_3) | instskip(NEXT) | instid1(VALU_DEP_2)
	v_cmp_eq_u32_e64 s13, 0x7f, v9
	v_cndmask_b32_e64 v13, 0x7f800001, v77, s14
	s_or_b32 s13, s14, s13
	s_delay_alu instid0(SALU_CYCLE_1) | instskip(NEXT) | instid1(VALU_DEP_1)
	s_nor_b32 s13, s15, s13
	v_cndmask_b32_e64 v10, v13, 0, s15
	s_and_saveexec_b32 s14, s13
	s_cbranch_execz .LBB2_3721
; %bb.3720:                             ;   in Loop: Header=BB2_3241 Depth=3
	v_and_b32_e32 v13, 7, v2
	v_cmp_gt_u32_e64 s13, 8, v9
	s_delay_alu instid0(VALU_DEP_2) | instskip(NEXT) | instid1(VALU_DEP_1)
	v_clz_i32_u32_e32 v10, v13
	v_min_u32_e32 v14, 32, v10
	s_delay_alu instid0(VALU_DEP_1) | instskip(NEXT) | instid1(VALU_DEP_1)
	v_subrev_nc_u32_e32 v10, 28, v14
	v_lshlrev_b64_e32 v[10:11], v10, v[2:3]
	s_delay_alu instid0(VALU_DEP_1) | instskip(NEXT) | instid1(VALU_DEP_1)
	v_dual_lshrrev_b32 v11, 3, v9 :: v_dual_bitop2_b32 v9, 7, v10 bitop3:0x40
	v_dual_sub_nc_u32 v14, 29, v14 :: v_dual_cndmask_b32 v9, v13, v9, s13
	v_lshlrev_b32_e32 v2, 24, v2
	s_delay_alu instid0(VALU_DEP_2) | instskip(NEXT) | instid1(VALU_DEP_2)
	v_dual_cndmask_b32 v10, v11, v14, s13 :: v_dual_lshlrev_b32 v9, 20, v9
	v_and_b32_e32 v2, 0x80000000, v2
	s_delay_alu instid0(VALU_DEP_2) | instskip(NEXT) | instid1(VALU_DEP_1)
	v_lshl_add_u32 v10, v10, 23, 0x3c000000
	v_or3_b32 v10, v9, v2, v10
.LBB2_3721:                             ;   in Loop: Header=BB2_3241 Depth=3
	s_or_b32 exec_lo, exec_lo, s14
	s_delay_alu instid0(VALU_DEP_1) | instskip(NEXT) | instid1(VALU_DEP_1)
	v_add_f32_e32 v8, v8, v10
	v_and_b32_e32 v2, 0x7f800000, v8
	v_lshrrev_b32_e32 v9, 24, v8
	s_delay_alu instid0(VALU_DEP_2) | instskip(SKIP_1) | instid1(SALU_CYCLE_1)
	v_cmp_ne_u64_e64 s13, 0x7f800000, v[2:3]
                                        ; implicit-def: $vgpr2
	s_and_saveexec_b32 s14, s13
	s_xor_b32 s15, exec_lo, s14
	s_cbranch_execz .LBB2_3735
; %bb.3722:                             ;   in Loop: Header=BB2_3241 Depth=3
	v_and_b32_e32 v2, 0x7fffffff, v8
	v_and_b32_e32 v13, 0x80, v9
	s_delay_alu instid0(VALU_DEP_2) | instskip(SKIP_1) | instid1(SALU_CYCLE_1)
	v_cmp_gt_u64_e64 s13, 0x43e00001, v[2:3]
                                        ; implicit-def: $vgpr2
	s_and_saveexec_b32 s14, s13
	s_xor_b32 s74, exec_lo, s14
	s_cbranch_execz .LBB2_3732
; %bb.3723:                             ;   in Loop: Header=BB2_3241 Depth=3
	v_mov_b32_e32 v2, 0
	s_mov_b32 s75, exec_lo
	v_cmpx_ne_u32_e32 0, v8
	s_cbranch_execz .LBB2_3731
; %bb.3724:                             ;   in Loop: Header=BB2_3241 Depth=3
	v_bfe_u32 v14, v8, 23, 8
	s_delay_alu instid0(VALU_DEP_1) | instskip(SKIP_1) | instid1(VALU_DEP_1)
	v_sub_nc_u32_e32 v2, 0x79, v14
	v_cmp_gt_u32_e64 s13, 0x7a, v14
	v_cndmask_b32_e64 v2, 0, v2, s13
	v_cmp_eq_u32_e64 s13, 0, v14
	s_delay_alu instid0(VALU_DEP_1) | instskip(SKIP_1) | instid1(VALU_DEP_2)
	v_cndmask_b32_e64 v15, v2, 0x78, s13
	v_and_b32_e32 v2, 0x7fffff, v8
	v_add_nc_u32_e32 v8, 20, v15
	s_delay_alu instid0(VALU_DEP_2) | instskip(SKIP_1) | instid1(VALU_DEP_3)
	v_or_b32_e32 v10, 0x800000, v2
	v_add_nc_u32_e32 v11, 19, v15
	v_lshlrev_b64_e64 v[8:9], v8, -1
	s_delay_alu instid0(VALU_DEP_3) | instskip(NEXT) | instid1(VALU_DEP_3)
	v_cndmask_b32_e64 v2, v10, v2, s13
	v_lshlrev_b64_e64 v[10:11], v11, 1
	s_delay_alu instid0(VALU_DEP_3) | instskip(NEXT) | instid1(VALU_DEP_3)
	v_bfi_b32 v107, v9, 0, 0
	v_bfi_b32 v106, v8, 0, v2
	v_lshrrev_b64 v[8:9], v15, v[2:3]
	s_delay_alu instid0(VALU_DEP_2) | instskip(NEXT) | instid1(VALU_DEP_2)
	v_cmp_eq_u64_e64 s14, v[106:107], v[10:11]
	v_mov_b64_e32 v[10:11], v[8:9]
	s_and_saveexec_b32 s76, s14
; %bb.3725:                             ;   in Loop: Header=BB2_3241 Depth=3
	v_bfe_u32 v2, v8, 20, 1
	s_delay_alu instid0(VALU_DEP_1) | instskip(NEXT) | instid1(VALU_DEP_1)
	v_add_nc_u64_e32 v[10:11], v[8:9], v[2:3]
	v_add_nc_u64_e32 v[10:11], -1, v[10:11]
; %bb.3726:                             ;   in Loop: Header=BB2_3241 Depth=3
	s_or_b32 exec_lo, exec_lo, s76
	v_add_nc_u32_e32 v2, 0xffffff81, v14
	v_lshrrev_b32_e32 v9, 23, v8
	s_mov_b32 s14, exec_lo
	s_delay_alu instid0(VALU_DEP_2) | instskip(NEXT) | instid1(VALU_DEP_1)
	v_cndmask_b32_e64 v2, v2, 0xffffff82, s13
	v_add3_u32 v11, v15, v2, v9
	v_and_b32_e32 v2, 0xfffff, v10
                                        ; implicit-def: $vgpr10
	s_delay_alu instid0(VALU_DEP_1) | instskip(NEXT) | instid1(VALU_DEP_1)
	v_dual_add_nc_u32 v14, 6, v11 :: v_dual_add_nc_u32 v2, v2, v8
                                        ; implicit-def: $vgpr8_vgpr9
	v_cmpx_ne_u32_e32 0, v14
	s_xor_b32 s14, exec_lo, s14
; %bb.3727:                             ;   in Loop: Header=BB2_3241 Depth=3
	s_delay_alu instid0(VALU_DEP_2) | instskip(SKIP_1) | instid1(VALU_DEP_1)
	v_cmp_lt_u64_e64 s13, 0xffffff, v[2:3]
	v_add_nc_u32_e32 v8, 7, v11
	v_cndmask_b32_e64 v10, v14, v8, s13
	v_cndmask_b32_e64 v8, 0, 1, s13
	s_delay_alu instid0(VALU_DEP_1)
	v_lshrrev_b64 v[8:9], v8, v[2:3]
; %bb.3728:                             ;   in Loop: Header=BB2_3241 Depth=3
	s_and_not1_saveexec_b32 s13, s14
; %bb.3729:                             ;   in Loop: Header=BB2_3241 Depth=3
	v_mov_b64_e32 v[8:9], v[2:3]
	v_bfe_u32 v10, v2, 23, 1
; %bb.3730:                             ;   in Loop: Header=BB2_3241 Depth=3
	s_or_b32 exec_lo, exec_lo, s13
	s_delay_alu instid0(VALU_DEP_2) | instskip(NEXT) | instid1(VALU_DEP_2)
	v_lshrrev_b64 v[8:9], 20, v[8:9]
	v_cmp_gt_i32_e64 s13, 16, v10
	v_min_i32_e32 v2, 15, v10
	v_cmp_eq_u32_e64 s14, 0, v10
	s_delay_alu instid0(VALU_DEP_2) | instskip(SKIP_1) | instid1(VALU_DEP_2)
	v_dual_cndmask_b32 v9, 0, v9, s13 :: v_dual_lshlrev_b32 v2, 3, v2
	v_cndmask_b32_e64 v8, 7, v8, s13
	v_and_b32_e32 v2, 0xf8, v2
	s_delay_alu instid0(VALU_DEP_2) | instskip(NEXT) | instid1(VALU_DEP_2)
	v_cmp_eq_u64_e64 s13, 0, v[8:9]
	v_and_or_b32 v2, v8, 7, v2
	s_and_b32 s13, s14, s13
	s_delay_alu instid0(VALU_DEP_1) | instid1(SALU_CYCLE_1)
	v_cndmask_b32_e64 v2, v2, 0, s13
	s_delay_alu instid0(VALU_DEP_1)
	v_or_b32_e32 v2, v2, v13
.LBB2_3731:                             ;   in Loop: Header=BB2_3241 Depth=3
	s_or_b32 exec_lo, exec_lo, s75
                                        ; implicit-def: $vgpr13
.LBB2_3732:                             ;   in Loop: Header=BB2_3241 Depth=3
	s_and_not1_saveexec_b32 s13, s74
; %bb.3733:                             ;   in Loop: Header=BB2_3241 Depth=3
	v_or_b32_e32 v2, 0x7e, v13
; %bb.3734:                             ;   in Loop: Header=BB2_3241 Depth=3
	s_or_b32 exec_lo, exec_lo, s13
                                        ; implicit-def: $vgpr9
.LBB2_3735:                             ;   in Loop: Header=BB2_3241 Depth=3
	s_and_not1_saveexec_b32 s13, s15
	s_cbranch_execz .LBB2_3240
; %bb.3736:                             ;   in Loop: Header=BB2_3241 Depth=3
	v_or_b32_e32 v2, 0x7f, v9
	s_branch .LBB2_3240
.LBB2_3737:                             ;   in Loop: Header=BB2_1811 Depth=2
	s_or_b32 exec_lo, exec_lo, s45
.LBB2_3738:                             ;   in Loop: Header=BB2_1811 Depth=2
	s_delay_alu instid0(SALU_CYCLE_1) | instskip(SKIP_3) | instid1(VALU_DEP_1)
	s_or_b32 exec_lo, exec_lo, s44
	v_dual_mov_b32 v42, 0 :: v_dual_bitop2_b32 v8, 15, v113 bitop3:0x40
	s_mov_b32 s15, 0
	s_mov_b32 s44, exec_lo
                                        ; implicit-def: $vgpr43
                                        ; implicit-def: $vgpr44
                                        ; implicit-def: $vgpr2
	v_cndmask_b32_e32 v115, v63, v8, vcc_lo
	s_delay_alu instid0(VALU_DEP_1)
	v_cmpx_ne_u32_e32 0, v115
	s_cbranch_execz .LBB2_4242
; %bb.3739:                             ;   in Loop: Header=BB2_1811 Depth=2
	v_cmp_lt_i32_e64 s13, 0, v72
	s_mov_b32 s45, exec_lo
	v_dual_ashrrev_i32 v10, 31, v115 :: v_dual_sub_nc_u32 v8, v63, v8
	s_delay_alu instid0(VALU_DEP_1) | instskip(NEXT) | instid1(VALU_DEP_1)
	v_dual_cndmask_b32 v2, 0, v36, s13 :: v_dual_lshrrev_b32 v10, 23, v10
	v_sub_nc_u32_e32 v2, v2, v72
	s_delay_alu instid0(VALU_DEP_1) | instskip(NEXT) | instid1(VALU_DEP_1)
	v_lshl_add_u32 v2, v2, 5, v88
	v_ashrrev_i32_e32 v9, 31, v2
	s_delay_alu instid0(VALU_DEP_1) | instskip(NEXT) | instid1(VALU_DEP_1)
	v_lshrrev_b32_e32 v9, 27, v9
	v_dual_add_nc_u32 v9, v2, v9 :: v_dual_add_nc_u32 v10, v115, v10
	s_delay_alu instid0(VALU_DEP_1) | instskip(SKIP_1) | instid1(VALU_DEP_3)
	v_and_b32_e32 v11, 0xffffffe0, v9
	v_ashrrev_i32_e32 v9, 5, v9
	v_and_b32_e32 v72, 0xfffffe00, v10
	s_delay_alu instid0(VALU_DEP_3) | instskip(NEXT) | instid1(VALU_DEP_1)
	v_dual_ashrrev_i32 v10, 9, v10 :: v_dual_sub_nc_u32 v73, v2, v11
	v_dual_sub_nc_u32 v63, v115, v72 :: v_dual_lshlrev_b32 v2, 4, v73
	s_delay_alu instid0(VALU_DEP_1) | instskip(SKIP_1) | instid1(VALU_DEP_3)
	v_lshl_add_u32 v2, v9, 9, v2
	v_cndmask_b32_e32 v8, 0, v8, vcc_lo
	v_cmp_lt_i32_e32 vcc_lo, 15, v63
	s_delay_alu instid0(VALU_DEP_3) | instskip(SKIP_1) | instid1(VALU_DEP_1)
	v_sub_nc_u32_e32 v92, v115, v2
	v_add_co_ci_u32_e64 v10, null, 0, v10, vcc_lo
	v_dual_add_nc_u32 v62, v8, v62 :: v_dual_sub_nc_u32 v91, v10, v9
	s_delay_alu instid0(VALU_DEP_3)
	v_cmpx_lt_i32_e32 15, v92
	s_cbranch_execz .LBB2_4239
; %bb.3740:                             ;   in Loop: Header=BB2_1811 Depth=2
	s_trap 2
	ds_load_b64 v[8:9], v0
	v_add_nc_u32_e32 v10, v2, v62
	s_mov_b32 s74, 0
	s_delay_alu instid0(VALU_DEP_1) | instskip(NEXT) | instid1(VALU_DEP_1)
	v_ashrrev_i32_e32 v11, 31, v10
	v_add_nc_u64_e32 v[42:43], v[10:11], v[118:119]
	v_add_nc_u64_e32 v[46:47], v[10:11], v[40:41]
	s_wait_dscnt 0x0
	v_add_nc_u64_e32 v[44:45], v[8:9], v[10:11]
	s_branch .LBB2_3742
.LBB2_3741:                             ;   in Loop: Header=BB2_3742 Depth=3
	s_or_b32 exec_lo, exec_lo, s13
	v_lshl_or_b32 v8, v61, 8, v60
	v_dual_lshlrev_b32 v9, 16, v58 :: v_dual_lshlrev_b32 v10, 24, v59
	v_lshl_or_b32 v11, v94, 8, v93
	v_dual_lshlrev_b32 v13, 16, v95 :: v_dual_lshlrev_b32 v14, 24, v104
	;; [unrolled: 2-line block ×3, first 2 shown]
	v_dual_lshlrev_b32 v2, 24, v2 :: v_dual_lshlrev_b32 v12, 16, v12
	v_lshl_or_b32 v56, v57, 8, v56
	v_or3_b32 v9, v8, v9, v10
	v_or3_b32 v8, v11, v13, v14
	;; [unrolled: 1-line block ×3, first 2 shown]
	v_dual_sub_nc_u32 v92, v92, v66 :: v_dual_sub_nc_u32 v91, v91, v36
	v_or3_b32 v11, v56, v12, v2
	v_add_nc_u64_e32 v[42:43], v[42:43], v[66:67]
	v_add_nc_u64_e32 v[44:45], v[44:45], v[66:67]
	s_delay_alu instid0(VALU_DEP_4) | instskip(SKIP_4) | instid1(SALU_CYCLE_1)
	v_cmp_gt_i32_e64 s13, 16, v92
	global_store_b128 v[46:47], v[8:11], off th:TH_STORE_NT
	s_wait_xcnt 0x0
	v_add_nc_u64_e32 v[46:47], v[46:47], v[66:67]
	s_or_b32 s74, s13, s74
	s_and_not1_b32 exec_lo, exec_lo, s74
	s_cbranch_execz .LBB2_4238
.LBB2_3742:                             ;   Parent Loop BB2_47 Depth=1
                                        ;     Parent Loop BB2_1811 Depth=2
                                        ; =>    This Inner Loop Header: Depth=3
	global_load_b128 v[12:15], v[42:43], off th:TH_LOAD_NT
	global_load_b128 v[8:11], v[44:45], off th:TH_LOAD_NT
	v_mov_b32_e32 v2, 0
	s_mov_b32 s14, exec_lo
	s_wait_loadcnt 0x1
	v_and_b32_e32 v56, 0xff, v12
	s_wait_xcnt 0x0
	s_delay_alu instid0(VALU_DEP_1)
	v_cmpx_ne_u16_e32 0, v56
	s_cbranch_execz .LBB2_3748
; %bb.3743:                             ;   in Loop: Header=BB2_3742 Depth=3
	v_bfrev_b32_e32 v2, 1
	s_mov_b32 s15, exec_lo
	v_cmpx_ne_u16_e32 0x80, v56
	s_cbranch_execz .LBB2_3747
; %bb.3744:                             ;   in Loop: Header=BB2_3742 Depth=3
	v_and_b32_e32 v56, 0x7f, v12
	v_mov_b32_e32 v2, 0x7f800001
	s_mov_b32 s75, exec_lo
	s_delay_alu instid0(VALU_DEP_2)
	v_cmpx_ne_u32_e32 0x7f, v56
	s_cbranch_execz .LBB2_3746
; %bb.3745:                             ;   in Loop: Header=BB2_3742 Depth=3
	v_cmp_gt_u32_e64 s13, 8, v56
	v_and_b32_e32 v2, 7, v12
	s_delay_alu instid0(VALU_DEP_1) | instskip(NEXT) | instid1(VALU_DEP_1)
	v_clz_i32_u32_e32 v2, v2
	v_min_u32_e32 v2, 32, v2
	v_lshrrev_b32_e32 v18, 3, v56
	s_delay_alu instid0(VALU_DEP_2) | instskip(SKIP_1) | instid1(VALU_DEP_1)
	v_subrev_nc_u32_e32 v19, 28, v2
	v_sub_nc_u32_e32 v2, 29, v2
	v_dual_cndmask_b32 v2, v18, v2, s13 :: v_dual_cndmask_b32 v18, 0, v19, s13
	s_delay_alu instid0(VALU_DEP_1) | instskip(SKIP_1) | instid1(VALU_DEP_3)
	v_lshlrev_b64_e32 v[56:57], v18, v[12:13]
	v_lshlrev_b32_e32 v18, 24, v12
	v_lshl_add_u32 v2, v2, 23, 0x3c000000
	s_delay_alu instid0(VALU_DEP_2) | instskip(NEXT) | instid1(VALU_DEP_4)
	v_and_b32_e32 v18, 0x80000000, v18
	v_lshlrev_b32_e32 v19, 20, v56
	s_delay_alu instid0(VALU_DEP_1) | instskip(NEXT) | instid1(VALU_DEP_1)
	v_and_b32_e32 v19, 0x700000, v19
	v_or3_b32 v2, v19, v18, v2
.LBB2_3746:                             ;   in Loop: Header=BB2_3742 Depth=3
	s_or_b32 exec_lo, exec_lo, s75
.LBB2_3747:                             ;   in Loop: Header=BB2_3742 Depth=3
	s_delay_alu instid0(SALU_CYCLE_1)
	s_or_b32 exec_lo, exec_lo, s15
.LBB2_3748:                             ;   in Loop: Header=BB2_3742 Depth=3
	s_delay_alu instid0(SALU_CYCLE_1) | instskip(SKIP_4) | instid1(VALU_DEP_1)
	s_or_b32 exec_lo, exec_lo, s14
	s_wait_loadcnt 0x0
	v_and_b32_e32 v57, 0xff, v8
	s_mov_b32 s14, 0
	s_mov_b32 s15, exec_lo
	v_cmpx_lt_i16_e32 0x7f, v57
	s_xor_b32 s15, exec_lo, s15
	s_cbranch_execz .LBB2_3783
; %bb.3749:                             ;   in Loop: Header=BB2_3742 Depth=3
	s_mov_b32 s14, -1
	s_mov_b32 s75, exec_lo
	v_cmpx_eq_u16_e32 0x80, v57
; %bb.3750:                             ;   in Loop: Header=BB2_3742 Depth=3
	s_xor_b32 s14, exec_lo, -1
; %bb.3751:                             ;   in Loop: Header=BB2_3742 Depth=3
	s_or_b32 exec_lo, exec_lo, s75
	s_delay_alu instid0(SALU_CYCLE_1)
	s_and_b32 s14, s14, exec_lo
                                        ; implicit-def: $vgpr57
	s_or_saveexec_b32 s15, s15
	v_bfrev_b32_e32 v56, 1
	s_xor_b32 exec_lo, exec_lo, s15
	s_cbranch_execnz .LBB2_3784
.LBB2_3752:                             ;   in Loop: Header=BB2_3742 Depth=3
	s_or_b32 exec_lo, exec_lo, s15
	s_and_saveexec_b32 s15, s14
	s_cbranch_execz .LBB2_3754
.LBB2_3753:                             ;   in Loop: Header=BB2_3742 Depth=3
	v_and_b32_e32 v19, 0x7f, v8
	v_bfe_u32 v56, v8, 3, 4
	s_delay_alu instid0(VALU_DEP_2) | instskip(SKIP_1) | instid1(VALU_DEP_1)
	v_cmp_gt_u32_e64 s13, 8, v19
	v_and_b32_e32 v18, 7, v8
	v_clz_i32_u32_e32 v18, v18
	s_delay_alu instid0(VALU_DEP_1) | instskip(NEXT) | instid1(VALU_DEP_1)
	v_min_u32_e32 v18, 32, v18
	v_subrev_nc_u32_e32 v57, 28, v18
	v_sub_nc_u32_e32 v18, 29, v18
	s_delay_alu instid0(VALU_DEP_1) | instskip(SKIP_1) | instid1(VALU_DEP_2)
	v_dual_cndmask_b32 v18, v56, v18, s13 :: v_dual_cndmask_b32 v56, 0, v57, s13
	v_cmp_ne_u32_e64 s13, 0x7f, v19
	v_lshlrev_b64_e32 v[56:57], v56, v[8:9]
	v_lshlrev_b32_e32 v57, 24, v8
	s_delay_alu instid0(VALU_DEP_1) | instskip(NEXT) | instid1(VALU_DEP_3)
	v_and_b32_e32 v57, 0x80000000, v57
	v_lshlrev_b32_e32 v56, 20, v56
	v_lshl_add_u32 v18, v18, 23, 0x3c000000
	s_delay_alu instid0(VALU_DEP_2) | instskip(NEXT) | instid1(VALU_DEP_1)
	v_and_b32_e32 v56, 0x700000, v56
	v_or3_b32 v18, v56, v57, v18
	s_delay_alu instid0(VALU_DEP_1)
	v_cndmask_b32_e64 v56, 0x7f800001, v18, s13
.LBB2_3754:                             ;   in Loop: Header=BB2_3742 Depth=3
	s_or_b32 exec_lo, exec_lo, s15
	s_delay_alu instid0(VALU_DEP_1) | instskip(SKIP_1) | instid1(VALU_DEP_1)
	v_add_f32_e32 v56, v2, v56
                                        ; implicit-def: $vgpr93
	s_mov_b32 s14, exec_lo
	v_and_b32_e32 v2, 0x7f800000, v56
	v_lshrrev_b32_e32 v57, 24, v56
	s_delay_alu instid0(VALU_DEP_2)
	v_cmpx_ne_u64_e32 0x7f800000, v[2:3]
	s_xor_b32 s15, exec_lo, s14
	s_cbranch_execz .LBB2_3768
; %bb.3755:                             ;   in Loop: Header=BB2_3742 Depth=3
	v_and_b32_e32 v2, 0x7fffffff, v56
	v_and_b32_e32 v60, 0x80, v57
                                        ; implicit-def: $vgpr93
	s_mov_b32 s14, exec_lo
	s_delay_alu instid0(VALU_DEP_2)
	v_cmpx_gt_u64_e32 0x43e00001, v[2:3]
	s_xor_b32 s75, exec_lo, s14
	s_cbranch_execz .LBB2_3765
; %bb.3756:                             ;   in Loop: Header=BB2_3742 Depth=3
	v_mov_b32_e32 v93, 0
	s_mov_b32 s76, exec_lo
	v_cmpx_ne_u32_e32 0, v56
	s_cbranch_execz .LBB2_3764
; %bb.3757:                             ;   in Loop: Header=BB2_3742 Depth=3
	v_bfe_u32 v61, v56, 23, 8
	s_delay_alu instid0(VALU_DEP_1) | instskip(SKIP_1) | instid1(VALU_DEP_1)
	v_sub_nc_u32_e32 v2, 0x79, v61
	v_cmp_gt_u32_e64 s13, 0x7a, v61
	v_cndmask_b32_e64 v2, 0, v2, s13
	v_cmp_eq_u32_e64 s13, 0, v61
	s_delay_alu instid0(VALU_DEP_1) | instskip(SKIP_1) | instid1(VALU_DEP_2)
	v_cndmask_b32_e64 v93, v2, 0x78, s13
	v_and_b32_e32 v2, 0x7fffff, v56
	v_add_nc_u32_e32 v18, 20, v93
	s_delay_alu instid0(VALU_DEP_2) | instskip(NEXT) | instid1(VALU_DEP_2)
	v_or_b32_e32 v19, 0x800000, v2
	v_lshlrev_b64_e64 v[56:57], v18, -1
	s_delay_alu instid0(VALU_DEP_2) | instskip(NEXT) | instid1(VALU_DEP_1)
	v_dual_add_nc_u32 v18, 19, v93 :: v_dual_cndmask_b32 v2, v19, v2, s13
	v_lshlrev_b64_e64 v[58:59], v18, 1
	s_delay_alu instid0(VALU_DEP_3) | instskip(NEXT) | instid1(VALU_DEP_3)
	v_bfi_b32 v95, v57, 0, 0
	v_bfi_b32 v94, v56, 0, v2
	v_lshrrev_b64 v[56:57], v93, v[2:3]
	s_delay_alu instid0(VALU_DEP_2) | instskip(NEXT) | instid1(VALU_DEP_2)
	v_cmp_eq_u64_e64 s14, v[94:95], v[58:59]
	v_mov_b64_e32 v[58:59], v[56:57]
	s_and_saveexec_b32 s77, s14
; %bb.3758:                             ;   in Loop: Header=BB2_3742 Depth=3
	v_bfe_u32 v2, v56, 20, 1
	s_delay_alu instid0(VALU_DEP_1) | instskip(NEXT) | instid1(VALU_DEP_1)
	v_add_nc_u64_e32 v[58:59], v[56:57], v[2:3]
	v_add_nc_u64_e32 v[58:59], -1, v[58:59]
; %bb.3759:                             ;   in Loop: Header=BB2_3742 Depth=3
	s_or_b32 exec_lo, exec_lo, s77
	v_add_nc_u32_e32 v2, 0xffffff81, v61
	v_lshrrev_b32_e32 v18, 23, v56
	s_mov_b32 s14, exec_lo
	s_delay_alu instid0(VALU_DEP_2) | instskip(NEXT) | instid1(VALU_DEP_1)
	v_cndmask_b32_e64 v2, v2, 0xffffff82, s13
	v_add3_u32 v59, v93, v2, v18
	v_and_b32_e32 v2, 0xfffff, v58
                                        ; implicit-def: $vgpr58
	s_delay_alu instid0(VALU_DEP_1) | instskip(NEXT) | instid1(VALU_DEP_1)
	v_dual_add_nc_u32 v61, 6, v59 :: v_dual_add_nc_u32 v2, v2, v56
                                        ; implicit-def: $vgpr56_vgpr57
	v_cmpx_ne_u32_e32 0, v61
	s_xor_b32 s14, exec_lo, s14
; %bb.3760:                             ;   in Loop: Header=BB2_3742 Depth=3
	s_delay_alu instid0(VALU_DEP_2) | instskip(SKIP_1) | instid1(VALU_DEP_1)
	v_cmp_lt_u64_e64 s13, 0xffffff, v[2:3]
	v_add_nc_u32_e32 v18, 7, v59
	v_cndmask_b32_e64 v58, v61, v18, s13
	v_cndmask_b32_e64 v18, 0, 1, s13
	s_delay_alu instid0(VALU_DEP_1)
	v_lshrrev_b64 v[56:57], v18, v[2:3]
; %bb.3761:                             ;   in Loop: Header=BB2_3742 Depth=3
	s_and_not1_saveexec_b32 s13, s14
; %bb.3762:                             ;   in Loop: Header=BB2_3742 Depth=3
	v_mov_b64_e32 v[56:57], v[2:3]
	v_bfe_u32 v58, v2, 23, 1
; %bb.3763:                             ;   in Loop: Header=BB2_3742 Depth=3
	s_or_b32 exec_lo, exec_lo, s13
	s_delay_alu instid0(VALU_DEP_2) | instskip(NEXT) | instid1(VALU_DEP_2)
	v_lshrrev_b64 v[56:57], 20, v[56:57]
	v_cmp_gt_i32_e64 s13, 16, v58
	v_min_i32_e32 v2, 15, v58
	v_cmp_eq_u32_e64 s14, 0, v58
	s_delay_alu instid0(VALU_DEP_2) | instskip(SKIP_1) | instid1(VALU_DEP_2)
	v_dual_cndmask_b32 v57, 0, v57, s13 :: v_dual_lshlrev_b32 v2, 3, v2
	v_cndmask_b32_e64 v56, 7, v56, s13
	v_and_b32_e32 v2, 0xf8, v2
	s_delay_alu instid0(VALU_DEP_2) | instskip(NEXT) | instid1(VALU_DEP_2)
	v_cmp_eq_u64_e64 s13, 0, v[56:57]
	v_and_or_b32 v2, v56, 7, v2
	s_and_b32 s13, s14, s13
	s_delay_alu instid0(VALU_DEP_1) | instid1(SALU_CYCLE_1)
	v_cndmask_b32_e64 v2, v2, 0, s13
	s_delay_alu instid0(VALU_DEP_1)
	v_or_b32_e32 v93, v2, v60
.LBB2_3764:                             ;   in Loop: Header=BB2_3742 Depth=3
	s_or_b32 exec_lo, exec_lo, s76
                                        ; implicit-def: $vgpr60
.LBB2_3765:                             ;   in Loop: Header=BB2_3742 Depth=3
	s_and_not1_saveexec_b32 s13, s75
; %bb.3766:                             ;   in Loop: Header=BB2_3742 Depth=3
	v_or_b32_e32 v93, 0x7e, v60
; %bb.3767:                             ;   in Loop: Header=BB2_3742 Depth=3
	s_or_b32 exec_lo, exec_lo, s13
                                        ; implicit-def: $vgpr57
.LBB2_3768:                             ;   in Loop: Header=BB2_3742 Depth=3
	s_and_not1_saveexec_b32 s13, s15
; %bb.3769:                             ;   in Loop: Header=BB2_3742 Depth=3
	v_or_b32_e32 v93, 0x7f, v57
; %bb.3770:                             ;   in Loop: Header=BB2_3742 Depth=3
	s_or_b32 exec_lo, exec_lo, s13
	v_lshrrev_b16 v2, 8, v12
	v_mov_b32_e32 v56, 0
	s_mov_b32 s14, exec_lo
	s_delay_alu instid0(VALU_DEP_2)
	v_cmpx_ne_u16_e32 0, v2
	s_cbranch_execz .LBB2_3778
; %bb.3771:                             ;   in Loop: Header=BB2_3742 Depth=3
	v_bfrev_b32_e32 v56, 1
	s_mov_b32 s15, exec_lo
	v_cmpx_ne_u16_e32 0x80, v2
	s_cbranch_execz .LBB2_3777
; %bb.3772:                             ;   in Loop: Header=BB2_3742 Depth=3
	v_and_b32_e32 v2, 0xffff, v2
	v_mov_b32_e32 v56, 0x7f800001
	s_mov_b32 s75, exec_lo
	s_delay_alu instid0(VALU_DEP_2) | instskip(NEXT) | instid1(VALU_DEP_1)
	v_and_b32_e32 v57, 0x7f, v2
	v_cmpx_ne_u32_e32 0x7f, v57
	s_cbranch_execz .LBB2_3776
; %bb.3773:                             ;   in Loop: Header=BB2_3742 Depth=3
	v_dual_lshrrev_b32 v56, 3, v57 :: v_dual_bitop2_b32 v2, 7, v2 bitop3:0x40
	s_mov_b32 s76, exec_lo
	v_cmpx_gt_u32_e32 8, v57
; %bb.3774:                             ;   in Loop: Header=BB2_3742 Depth=3
	s_delay_alu instid0(VALU_DEP_2) | instskip(NEXT) | instid1(VALU_DEP_1)
	v_clz_i32_u32_e32 v18, v2
	v_min_u32_e32 v18, 32, v18
	s_delay_alu instid0(VALU_DEP_1) | instskip(SKIP_1) | instid1(VALU_DEP_2)
	v_subrev_nc_u32_e32 v19, 28, v18
	v_sub_nc_u32_e32 v56, 29, v18
	v_lshlrev_b64_e32 v[58:59], v19, v[2:3]
	s_delay_alu instid0(VALU_DEP_1)
	v_and_b32_e32 v2, 7, v58
; %bb.3775:                             ;   in Loop: Header=BB2_3742 Depth=3
	s_or_b32 exec_lo, exec_lo, s76
	s_delay_alu instid0(VALU_DEP_1) | instskip(SKIP_1) | instid1(VALU_DEP_2)
	v_dual_lshlrev_b32 v18, 16, v12 :: v_dual_lshlrev_b32 v2, 20, v2
	v_lshl_add_u32 v19, v56, 23, 0x3c000000
	v_and_b32_e32 v18, 0x80000000, v18
	s_delay_alu instid0(VALU_DEP_1)
	v_or3_b32 v56, v2, v18, v19
.LBB2_3776:                             ;   in Loop: Header=BB2_3742 Depth=3
	s_or_b32 exec_lo, exec_lo, s75
.LBB2_3777:                             ;   in Loop: Header=BB2_3742 Depth=3
	s_delay_alu instid0(SALU_CYCLE_1)
	s_or_b32 exec_lo, exec_lo, s15
.LBB2_3778:                             ;   in Loop: Header=BB2_3742 Depth=3
	s_delay_alu instid0(SALU_CYCLE_1) | instskip(SKIP_3) | instid1(VALU_DEP_1)
	s_or_b32 exec_lo, exec_lo, s14
	v_lshrrev_b16 v57, 8, v8
	s_mov_b32 s15, 0
	s_mov_b32 s14, exec_lo
	v_cmpx_lt_i16_e32 0x7f, v57
	s_xor_b32 s14, exec_lo, s14
	s_cbranch_execz .LBB2_3785
; %bb.3779:                             ;   in Loop: Header=BB2_3742 Depth=3
	s_mov_b32 s15, -1
	s_mov_b32 s75, exec_lo
	v_cmpx_eq_u16_e32 0x80, v57
; %bb.3780:                             ;   in Loop: Header=BB2_3742 Depth=3
	s_xor_b32 s15, exec_lo, -1
; %bb.3781:                             ;   in Loop: Header=BB2_3742 Depth=3
	s_or_b32 exec_lo, exec_lo, s75
	s_delay_alu instid0(SALU_CYCLE_1)
	s_and_b32 s15, s15, exec_lo
	s_or_saveexec_b32 s14, s14
	v_bfrev_b32_e32 v58, 1
	s_xor_b32 exec_lo, exec_lo, s14
	s_cbranch_execnz .LBB2_3786
.LBB2_3782:                             ;   in Loop: Header=BB2_3742 Depth=3
	s_or_b32 exec_lo, exec_lo, s14
	s_and_saveexec_b32 s14, s15
	s_cbranch_execnz .LBB2_3787
	s_branch .LBB2_3790
.LBB2_3783:                             ;   in Loop: Header=BB2_3742 Depth=3
	s_or_saveexec_b32 s15, s15
	v_bfrev_b32_e32 v56, 1
	s_xor_b32 exec_lo, exec_lo, s15
	s_cbranch_execz .LBB2_3752
.LBB2_3784:                             ;   in Loop: Header=BB2_3742 Depth=3
	v_cmp_ne_u16_e64 s13, 0, v57
	v_mov_b32_e32 v56, 0
	s_and_not1_b32 s14, s14, exec_lo
	s_and_b32 s13, s13, exec_lo
	s_delay_alu instid0(SALU_CYCLE_1)
	s_or_b32 s14, s14, s13
	s_or_b32 exec_lo, exec_lo, s15
	s_and_saveexec_b32 s15, s14
	s_cbranch_execnz .LBB2_3753
	s_branch .LBB2_3754
.LBB2_3785:                             ;   in Loop: Header=BB2_3742 Depth=3
	s_or_saveexec_b32 s14, s14
	v_bfrev_b32_e32 v58, 1
	s_xor_b32 exec_lo, exec_lo, s14
	s_cbranch_execz .LBB2_3782
.LBB2_3786:                             ;   in Loop: Header=BB2_3742 Depth=3
	v_cmp_ne_u16_e64 s13, 0, v57
	v_mov_b32_e32 v58, 0
	s_and_not1_b32 s15, s15, exec_lo
	s_and_b32 s13, s13, exec_lo
	s_delay_alu instid0(SALU_CYCLE_1)
	s_or_b32 s15, s15, s13
	s_or_b32 exec_lo, exec_lo, s14
	s_and_saveexec_b32 s14, s15
	s_cbranch_execz .LBB2_3790
.LBB2_3787:                             ;   in Loop: Header=BB2_3742 Depth=3
	v_and_b32_e32 v2, 0xffff, v57
	v_mov_b32_e32 v58, 0x7f800001
	s_mov_b32 s15, exec_lo
	s_delay_alu instid0(VALU_DEP_2) | instskip(NEXT) | instid1(VALU_DEP_1)
	v_and_b32_e32 v59, 0x7f, v2
	v_cmpx_ne_u32_e32 0x7f, v59
	s_cbranch_execz .LBB2_3789
; %bb.3788:                             ;   in Loop: Header=BB2_3742 Depth=3
	v_and_b32_e32 v18, 7, v2
	v_cmp_gt_u32_e64 s13, 8, v59
	s_delay_alu instid0(VALU_DEP_2) | instskip(NEXT) | instid1(VALU_DEP_1)
	v_clz_i32_u32_e32 v19, v18
	v_min_u32_e32 v19, 32, v19
	s_delay_alu instid0(VALU_DEP_1) | instskip(NEXT) | instid1(VALU_DEP_1)
	v_subrev_nc_u32_e32 v58, 28, v19
	v_lshlrev_b64_e32 v[60:61], v58, v[2:3]
	v_lshrrev_b32_e32 v2, 3, v59
	s_delay_alu instid0(VALU_DEP_2) | instskip(NEXT) | instid1(VALU_DEP_1)
	v_dual_sub_nc_u32 v19, 29, v19 :: v_dual_bitop2_b32 v58, 7, v60 bitop3:0x40
	v_dual_lshlrev_b32 v57, 24, v57 :: v_dual_cndmask_b32 v2, v2, v19, s13
	s_delay_alu instid0(VALU_DEP_2) | instskip(NEXT) | instid1(VALU_DEP_2)
	v_cndmask_b32_e64 v18, v18, v58, s13
	v_and_b32_e32 v19, 0x80000000, v57
	s_delay_alu instid0(VALU_DEP_3) | instskip(NEXT) | instid1(VALU_DEP_3)
	v_lshl_add_u32 v2, v2, 23, 0x3c000000
	v_lshlrev_b32_e32 v18, 20, v18
	s_delay_alu instid0(VALU_DEP_1)
	v_or3_b32 v58, v18, v19, v2
.LBB2_3789:                             ;   in Loop: Header=BB2_3742 Depth=3
	s_or_b32 exec_lo, exec_lo, s15
.LBB2_3790:                             ;   in Loop: Header=BB2_3742 Depth=3
	s_delay_alu instid0(SALU_CYCLE_1) | instskip(NEXT) | instid1(VALU_DEP_1)
	s_or_b32 exec_lo, exec_lo, s14
	v_add_f32_e32 v56, v56, v58
                                        ; implicit-def: $vgpr94
	s_mov_b32 s14, exec_lo
	s_delay_alu instid0(VALU_DEP_1) | instskip(SKIP_1) | instid1(VALU_DEP_2)
	v_and_b32_e32 v2, 0x7f800000, v56
	v_lshrrev_b32_e32 v57, 24, v56
	v_cmpx_ne_u64_e32 0x7f800000, v[2:3]
	s_xor_b32 s15, exec_lo, s14
	s_cbranch_execz .LBB2_3804
; %bb.3791:                             ;   in Loop: Header=BB2_3742 Depth=3
	v_and_b32_e32 v2, 0x7fffffff, v56
	v_and_b32_e32 v60, 0x80, v57
                                        ; implicit-def: $vgpr94
	s_mov_b32 s14, exec_lo
	s_delay_alu instid0(VALU_DEP_2)
	v_cmpx_gt_u64_e32 0x43e00001, v[2:3]
	s_xor_b32 s75, exec_lo, s14
	s_cbranch_execz .LBB2_3801
; %bb.3792:                             ;   in Loop: Header=BB2_3742 Depth=3
	v_mov_b32_e32 v94, 0
	s_mov_b32 s76, exec_lo
	v_cmpx_ne_u32_e32 0, v56
	s_cbranch_execz .LBB2_3800
; %bb.3793:                             ;   in Loop: Header=BB2_3742 Depth=3
	v_bfe_u32 v61, v56, 23, 8
	s_delay_alu instid0(VALU_DEP_1) | instskip(SKIP_1) | instid1(VALU_DEP_1)
	v_sub_nc_u32_e32 v2, 0x79, v61
	v_cmp_gt_u32_e64 s13, 0x7a, v61
	v_cndmask_b32_e64 v2, 0, v2, s13
	v_cmp_eq_u32_e64 s13, 0, v61
	s_delay_alu instid0(VALU_DEP_1) | instskip(SKIP_1) | instid1(VALU_DEP_2)
	v_cndmask_b32_e64 v94, v2, 0x78, s13
	v_and_b32_e32 v2, 0x7fffff, v56
	v_add_nc_u32_e32 v18, 20, v94
	s_delay_alu instid0(VALU_DEP_2) | instskip(NEXT) | instid1(VALU_DEP_2)
	v_or_b32_e32 v19, 0x800000, v2
	v_lshlrev_b64_e64 v[56:57], v18, -1
	v_add_nc_u32_e32 v18, 19, v94
	s_delay_alu instid0(VALU_DEP_3) | instskip(NEXT) | instid1(VALU_DEP_2)
	v_cndmask_b32_e64 v2, v19, v2, s13
	v_lshlrev_b64_e64 v[58:59], v18, 1
	s_delay_alu instid0(VALU_DEP_4) | instskip(NEXT) | instid1(VALU_DEP_3)
	v_bfi_b32 v105, v57, 0, 0
	v_bfi_b32 v104, v56, 0, v2
	v_lshrrev_b64 v[56:57], v94, v[2:3]
	s_delay_alu instid0(VALU_DEP_2) | instskip(NEXT) | instid1(VALU_DEP_2)
	v_cmp_eq_u64_e64 s14, v[104:105], v[58:59]
	v_mov_b64_e32 v[58:59], v[56:57]
	s_and_saveexec_b32 s77, s14
; %bb.3794:                             ;   in Loop: Header=BB2_3742 Depth=3
	v_bfe_u32 v2, v56, 20, 1
	s_delay_alu instid0(VALU_DEP_1) | instskip(NEXT) | instid1(VALU_DEP_1)
	v_add_nc_u64_e32 v[58:59], v[56:57], v[2:3]
	v_add_nc_u64_e32 v[58:59], -1, v[58:59]
; %bb.3795:                             ;   in Loop: Header=BB2_3742 Depth=3
	s_or_b32 exec_lo, exec_lo, s77
	v_add_nc_u32_e32 v2, 0xffffff81, v61
	v_lshrrev_b32_e32 v18, 23, v56
	s_mov_b32 s14, exec_lo
	s_delay_alu instid0(VALU_DEP_2) | instskip(NEXT) | instid1(VALU_DEP_1)
	v_cndmask_b32_e64 v2, v2, 0xffffff82, s13
	v_add3_u32 v59, v94, v2, v18
	v_and_b32_e32 v2, 0xfffff, v58
                                        ; implicit-def: $vgpr58
	s_delay_alu instid0(VALU_DEP_1) | instskip(NEXT) | instid1(VALU_DEP_1)
	v_dual_add_nc_u32 v61, 6, v59 :: v_dual_add_nc_u32 v2, v2, v56
                                        ; implicit-def: $vgpr56_vgpr57
	v_cmpx_ne_u32_e32 0, v61
	s_xor_b32 s14, exec_lo, s14
; %bb.3796:                             ;   in Loop: Header=BB2_3742 Depth=3
	s_delay_alu instid0(VALU_DEP_2) | instskip(SKIP_1) | instid1(VALU_DEP_1)
	v_cmp_lt_u64_e64 s13, 0xffffff, v[2:3]
	v_add_nc_u32_e32 v18, 7, v59
	v_cndmask_b32_e64 v58, v61, v18, s13
	v_cndmask_b32_e64 v18, 0, 1, s13
	s_delay_alu instid0(VALU_DEP_1)
	v_lshrrev_b64 v[56:57], v18, v[2:3]
; %bb.3797:                             ;   in Loop: Header=BB2_3742 Depth=3
	s_and_not1_saveexec_b32 s13, s14
; %bb.3798:                             ;   in Loop: Header=BB2_3742 Depth=3
	v_mov_b64_e32 v[56:57], v[2:3]
	v_bfe_u32 v58, v2, 23, 1
; %bb.3799:                             ;   in Loop: Header=BB2_3742 Depth=3
	s_or_b32 exec_lo, exec_lo, s13
	s_delay_alu instid0(VALU_DEP_2) | instskip(NEXT) | instid1(VALU_DEP_2)
	v_lshrrev_b64 v[56:57], 20, v[56:57]
	v_cmp_gt_i32_e64 s13, 16, v58
	v_min_i32_e32 v2, 15, v58
	v_cmp_eq_u32_e64 s14, 0, v58
	s_delay_alu instid0(VALU_DEP_2) | instskip(SKIP_1) | instid1(VALU_DEP_2)
	v_dual_cndmask_b32 v57, 0, v57, s13 :: v_dual_lshlrev_b32 v2, 3, v2
	v_cndmask_b32_e64 v56, 7, v56, s13
	v_and_b32_e32 v2, 0xf8, v2
	s_delay_alu instid0(VALU_DEP_2) | instskip(NEXT) | instid1(VALU_DEP_2)
	v_cmp_eq_u64_e64 s13, 0, v[56:57]
	v_and_or_b32 v2, v56, 7, v2
	s_and_b32 s13, s14, s13
	s_delay_alu instid0(VALU_DEP_1) | instid1(SALU_CYCLE_1)
	v_cndmask_b32_e64 v2, v2, 0, s13
	s_delay_alu instid0(VALU_DEP_1)
	v_or_b32_e32 v94, v2, v60
.LBB2_3800:                             ;   in Loop: Header=BB2_3742 Depth=3
	s_or_b32 exec_lo, exec_lo, s76
                                        ; implicit-def: $vgpr60
.LBB2_3801:                             ;   in Loop: Header=BB2_3742 Depth=3
	s_and_not1_saveexec_b32 s13, s75
; %bb.3802:                             ;   in Loop: Header=BB2_3742 Depth=3
	v_or_b32_e32 v94, 0x7e, v60
; %bb.3803:                             ;   in Loop: Header=BB2_3742 Depth=3
	s_or_b32 exec_lo, exec_lo, s13
                                        ; implicit-def: $vgpr57
.LBB2_3804:                             ;   in Loop: Header=BB2_3742 Depth=3
	s_and_not1_saveexec_b32 s13, s15
; %bb.3805:                             ;   in Loop: Header=BB2_3742 Depth=3
	v_or_b32_e32 v94, 0x7f, v57
; %bb.3806:                             ;   in Loop: Header=BB2_3742 Depth=3
	s_or_b32 exec_lo, exec_lo, s13
	v_dual_mov_b32 v56, 0 :: v_dual_lshrrev_b32 v57, 16, v12
	s_mov_b32 s14, exec_lo
	s_delay_alu instid0(VALU_DEP_1) | instskip(NEXT) | instid1(VALU_DEP_1)
	v_and_b32_e32 v2, 0xff, v57
	v_cmpx_ne_u16_e32 0, v2
	s_cbranch_execz .LBB2_3814
; %bb.3807:                             ;   in Loop: Header=BB2_3742 Depth=3
	v_bfrev_b32_e32 v56, 1
	s_mov_b32 s15, exec_lo
	v_cmpx_ne_u16_e32 0x80, v2
	s_cbranch_execz .LBB2_3813
; %bb.3808:                             ;   in Loop: Header=BB2_3742 Depth=3
	v_bfe_u32 v58, v12, 16, 7
	v_mov_b32_e32 v56, 0x7f800001
	s_mov_b32 s75, exec_lo
	s_delay_alu instid0(VALU_DEP_2)
	v_cmpx_ne_u32_e32 0x7f, v58
	s_cbranch_execz .LBB2_3812
; %bb.3809:                             ;   in Loop: Header=BB2_3742 Depth=3
	v_dual_lshrrev_b32 v56, 3, v58 :: v_dual_bitop2_b32 v2, 7, v57 bitop3:0x40
	s_mov_b32 s76, exec_lo
	v_cmpx_gt_u32_e32 8, v58
; %bb.3810:                             ;   in Loop: Header=BB2_3742 Depth=3
	s_delay_alu instid0(VALU_DEP_2) | instskip(NEXT) | instid1(VALU_DEP_1)
	v_clz_i32_u32_e32 v18, v2
	v_min_u32_e32 v18, 32, v18
	s_delay_alu instid0(VALU_DEP_1) | instskip(SKIP_1) | instid1(VALU_DEP_2)
	v_subrev_nc_u32_e32 v19, 28, v18
	v_sub_nc_u32_e32 v56, 29, v18
	v_lshlrev_b64_e32 v[58:59], v19, v[2:3]
	s_delay_alu instid0(VALU_DEP_1)
	v_and_b32_e32 v2, 7, v58
; %bb.3811:                             ;   in Loop: Header=BB2_3742 Depth=3
	s_or_b32 exec_lo, exec_lo, s76
	s_delay_alu instid0(VALU_DEP_1) | instskip(SKIP_1) | instid1(VALU_DEP_2)
	v_dual_lshlrev_b32 v18, 24, v57 :: v_dual_lshlrev_b32 v2, 20, v2
	v_lshl_add_u32 v19, v56, 23, 0x3c000000
	v_and_b32_e32 v18, 0x80000000, v18
	s_delay_alu instid0(VALU_DEP_1)
	v_or3_b32 v56, v2, v18, v19
.LBB2_3812:                             ;   in Loop: Header=BB2_3742 Depth=3
	s_or_b32 exec_lo, exec_lo, s75
.LBB2_3813:                             ;   in Loop: Header=BB2_3742 Depth=3
	s_delay_alu instid0(SALU_CYCLE_1)
	s_or_b32 exec_lo, exec_lo, s15
.LBB2_3814:                             ;   in Loop: Header=BB2_3742 Depth=3
	s_delay_alu instid0(SALU_CYCLE_1) | instskip(SKIP_3) | instid1(VALU_DEP_1)
	s_or_b32 exec_lo, exec_lo, s14
	v_lshrrev_b32_e32 v2, 16, v8
	s_mov_b32 s15, 0
	s_mov_b32 s14, exec_lo
	v_and_b32_e32 v58, 0xff, v2
	s_delay_alu instid0(VALU_DEP_1)
	v_cmpx_lt_i16_e32 0x7f, v58
	s_xor_b32 s14, exec_lo, s14
	s_cbranch_execz .LBB2_3819
; %bb.3815:                             ;   in Loop: Header=BB2_3742 Depth=3
	s_mov_b32 s15, -1
	s_mov_b32 s75, exec_lo
	v_cmpx_eq_u16_e32 0x80, v58
; %bb.3816:                             ;   in Loop: Header=BB2_3742 Depth=3
	s_xor_b32 s15, exec_lo, -1
; %bb.3817:                             ;   in Loop: Header=BB2_3742 Depth=3
	s_or_b32 exec_lo, exec_lo, s75
	s_delay_alu instid0(SALU_CYCLE_1)
	s_and_b32 s15, s15, exec_lo
                                        ; implicit-def: $vgpr58
	s_or_saveexec_b32 s14, s14
	v_bfrev_b32_e32 v57, 1
	s_xor_b32 exec_lo, exec_lo, s14
	s_cbranch_execnz .LBB2_3820
.LBB2_3818:                             ;   in Loop: Header=BB2_3742 Depth=3
	s_or_b32 exec_lo, exec_lo, s14
	s_and_saveexec_b32 s14, s15
	s_cbranch_execnz .LBB2_3821
	s_branch .LBB2_3824
.LBB2_3819:                             ;   in Loop: Header=BB2_3742 Depth=3
	s_or_saveexec_b32 s14, s14
	v_bfrev_b32_e32 v57, 1
	s_xor_b32 exec_lo, exec_lo, s14
	s_cbranch_execz .LBB2_3818
.LBB2_3820:                             ;   in Loop: Header=BB2_3742 Depth=3
	v_cmp_ne_u16_e64 s13, 0, v58
	v_mov_b32_e32 v57, 0
	s_and_not1_b32 s15, s15, exec_lo
	s_and_b32 s13, s13, exec_lo
	s_delay_alu instid0(SALU_CYCLE_1)
	s_or_b32 s15, s15, s13
	s_or_b32 exec_lo, exec_lo, s14
	s_and_saveexec_b32 s14, s15
	s_cbranch_execz .LBB2_3824
.LBB2_3821:                             ;   in Loop: Header=BB2_3742 Depth=3
	v_and_b32_e32 v58, 0x7f, v2
	v_mov_b32_e32 v57, 0x7f800001
	s_mov_b32 s15, exec_lo
	s_delay_alu instid0(VALU_DEP_2)
	v_cmpx_ne_u32_e32 0x7f, v58
	s_cbranch_execz .LBB2_3823
; %bb.3822:                             ;   in Loop: Header=BB2_3742 Depth=3
	v_and_b32_e32 v18, 7, v2
	v_cmp_gt_u32_e64 s13, 8, v58
	s_delay_alu instid0(VALU_DEP_2) | instskip(NEXT) | instid1(VALU_DEP_1)
	v_clz_i32_u32_e32 v19, v18
	v_min_u32_e32 v19, 32, v19
	s_delay_alu instid0(VALU_DEP_1) | instskip(SKIP_1) | instid1(VALU_DEP_2)
	v_subrev_nc_u32_e32 v57, 28, v19
	v_sub_nc_u32_e32 v19, 29, v19
	v_lshlrev_b64_e32 v[60:61], v57, v[2:3]
	s_delay_alu instid0(VALU_DEP_1) | instskip(NEXT) | instid1(VALU_DEP_1)
	v_dual_lshrrev_b32 v57, 3, v58 :: v_dual_bitop2_b32 v58, 7, v60 bitop3:0x40
	v_dual_lshlrev_b32 v2, 24, v2 :: v_dual_cndmask_b32 v19, v57, v19, s13
	s_delay_alu instid0(VALU_DEP_2) | instskip(NEXT) | instid1(VALU_DEP_2)
	v_cndmask_b32_e64 v18, v18, v58, s13
	v_and_b32_e32 v2, 0x80000000, v2
	s_delay_alu instid0(VALU_DEP_3) | instskip(NEXT) | instid1(VALU_DEP_3)
	v_lshl_add_u32 v19, v19, 23, 0x3c000000
	v_lshlrev_b32_e32 v18, 20, v18
	s_delay_alu instid0(VALU_DEP_1)
	v_or3_b32 v57, v18, v2, v19
.LBB2_3823:                             ;   in Loop: Header=BB2_3742 Depth=3
	s_or_b32 exec_lo, exec_lo, s15
.LBB2_3824:                             ;   in Loop: Header=BB2_3742 Depth=3
	s_delay_alu instid0(SALU_CYCLE_1) | instskip(NEXT) | instid1(VALU_DEP_1)
	s_or_b32 exec_lo, exec_lo, s14
	v_add_f32_e32 v56, v56, v57
                                        ; implicit-def: $vgpr95
	s_mov_b32 s14, exec_lo
	s_delay_alu instid0(VALU_DEP_1) | instskip(SKIP_1) | instid1(VALU_DEP_2)
	v_and_b32_e32 v2, 0x7f800000, v56
	v_lshrrev_b32_e32 v57, 24, v56
	v_cmpx_ne_u64_e32 0x7f800000, v[2:3]
	s_xor_b32 s15, exec_lo, s14
	s_cbranch_execz .LBB2_3838
; %bb.3825:                             ;   in Loop: Header=BB2_3742 Depth=3
	v_and_b32_e32 v2, 0x7fffffff, v56
	v_and_b32_e32 v60, 0x80, v57
                                        ; implicit-def: $vgpr95
	s_mov_b32 s14, exec_lo
	s_delay_alu instid0(VALU_DEP_2)
	v_cmpx_gt_u64_e32 0x43e00001, v[2:3]
	s_xor_b32 s75, exec_lo, s14
	s_cbranch_execz .LBB2_3835
; %bb.3826:                             ;   in Loop: Header=BB2_3742 Depth=3
	v_mov_b32_e32 v95, 0
	s_mov_b32 s76, exec_lo
	v_cmpx_ne_u32_e32 0, v56
	s_cbranch_execz .LBB2_3834
; %bb.3827:                             ;   in Loop: Header=BB2_3742 Depth=3
	v_bfe_u32 v61, v56, 23, 8
	s_delay_alu instid0(VALU_DEP_1) | instskip(SKIP_1) | instid1(VALU_DEP_1)
	v_sub_nc_u32_e32 v2, 0x79, v61
	v_cmp_gt_u32_e64 s13, 0x7a, v61
	v_cndmask_b32_e64 v2, 0, v2, s13
	v_cmp_eq_u32_e64 s13, 0, v61
	s_delay_alu instid0(VALU_DEP_1) | instskip(SKIP_1) | instid1(VALU_DEP_2)
	v_cndmask_b32_e64 v95, v2, 0x78, s13
	v_and_b32_e32 v2, 0x7fffff, v56
	v_add_nc_u32_e32 v18, 20, v95
	s_delay_alu instid0(VALU_DEP_2) | instskip(NEXT) | instid1(VALU_DEP_2)
	v_or_b32_e32 v19, 0x800000, v2
	v_lshlrev_b64_e64 v[56:57], v18, -1
	s_delay_alu instid0(VALU_DEP_2) | instskip(NEXT) | instid1(VALU_DEP_1)
	v_dual_add_nc_u32 v18, 19, v95 :: v_dual_cndmask_b32 v2, v19, v2, s13
	v_lshlrev_b64_e64 v[58:59], v18, 1
	s_delay_alu instid0(VALU_DEP_3) | instskip(NEXT) | instid1(VALU_DEP_3)
	v_bfi_b32 v105, v57, 0, 0
	v_bfi_b32 v104, v56, 0, v2
	v_lshrrev_b64 v[56:57], v95, v[2:3]
	s_delay_alu instid0(VALU_DEP_2) | instskip(NEXT) | instid1(VALU_DEP_2)
	v_cmp_eq_u64_e64 s14, v[104:105], v[58:59]
	v_mov_b64_e32 v[58:59], v[56:57]
	s_and_saveexec_b32 s77, s14
; %bb.3828:                             ;   in Loop: Header=BB2_3742 Depth=3
	v_bfe_u32 v2, v56, 20, 1
	s_delay_alu instid0(VALU_DEP_1) | instskip(NEXT) | instid1(VALU_DEP_1)
	v_add_nc_u64_e32 v[58:59], v[56:57], v[2:3]
	v_add_nc_u64_e32 v[58:59], -1, v[58:59]
; %bb.3829:                             ;   in Loop: Header=BB2_3742 Depth=3
	s_or_b32 exec_lo, exec_lo, s77
	v_add_nc_u32_e32 v2, 0xffffff81, v61
	v_lshrrev_b32_e32 v18, 23, v56
	s_mov_b32 s14, exec_lo
	s_delay_alu instid0(VALU_DEP_2) | instskip(NEXT) | instid1(VALU_DEP_1)
	v_cndmask_b32_e64 v2, v2, 0xffffff82, s13
	v_add3_u32 v59, v95, v2, v18
	v_and_b32_e32 v2, 0xfffff, v58
                                        ; implicit-def: $vgpr58
	s_delay_alu instid0(VALU_DEP_1) | instskip(NEXT) | instid1(VALU_DEP_1)
	v_dual_add_nc_u32 v61, 6, v59 :: v_dual_add_nc_u32 v2, v2, v56
                                        ; implicit-def: $vgpr56_vgpr57
	v_cmpx_ne_u32_e32 0, v61
	s_xor_b32 s14, exec_lo, s14
; %bb.3830:                             ;   in Loop: Header=BB2_3742 Depth=3
	s_delay_alu instid0(VALU_DEP_2) | instskip(SKIP_1) | instid1(VALU_DEP_1)
	v_cmp_lt_u64_e64 s13, 0xffffff, v[2:3]
	v_add_nc_u32_e32 v18, 7, v59
	v_cndmask_b32_e64 v58, v61, v18, s13
	v_cndmask_b32_e64 v18, 0, 1, s13
	s_delay_alu instid0(VALU_DEP_1)
	v_lshrrev_b64 v[56:57], v18, v[2:3]
; %bb.3831:                             ;   in Loop: Header=BB2_3742 Depth=3
	s_and_not1_saveexec_b32 s13, s14
; %bb.3832:                             ;   in Loop: Header=BB2_3742 Depth=3
	v_mov_b64_e32 v[56:57], v[2:3]
	v_bfe_u32 v58, v2, 23, 1
; %bb.3833:                             ;   in Loop: Header=BB2_3742 Depth=3
	s_or_b32 exec_lo, exec_lo, s13
	s_delay_alu instid0(VALU_DEP_2) | instskip(NEXT) | instid1(VALU_DEP_2)
	v_lshrrev_b64 v[56:57], 20, v[56:57]
	v_cmp_gt_i32_e64 s13, 16, v58
	v_min_i32_e32 v2, 15, v58
	v_cmp_eq_u32_e64 s14, 0, v58
	s_delay_alu instid0(VALU_DEP_2) | instskip(SKIP_1) | instid1(VALU_DEP_2)
	v_dual_cndmask_b32 v57, 0, v57, s13 :: v_dual_lshlrev_b32 v2, 3, v2
	v_cndmask_b32_e64 v56, 7, v56, s13
	v_and_b32_e32 v2, 0xf8, v2
	s_delay_alu instid0(VALU_DEP_2) | instskip(NEXT) | instid1(VALU_DEP_2)
	v_cmp_eq_u64_e64 s13, 0, v[56:57]
	v_and_or_b32 v2, v56, 7, v2
	s_and_b32 s13, s14, s13
	s_delay_alu instid0(VALU_DEP_1) | instid1(SALU_CYCLE_1)
	v_cndmask_b32_e64 v2, v2, 0, s13
	s_delay_alu instid0(VALU_DEP_1)
	v_or_b32_e32 v95, v2, v60
.LBB2_3834:                             ;   in Loop: Header=BB2_3742 Depth=3
	s_or_b32 exec_lo, exec_lo, s76
                                        ; implicit-def: $vgpr60
.LBB2_3835:                             ;   in Loop: Header=BB2_3742 Depth=3
	s_and_not1_saveexec_b32 s13, s75
; %bb.3836:                             ;   in Loop: Header=BB2_3742 Depth=3
	v_or_b32_e32 v95, 0x7e, v60
; %bb.3837:                             ;   in Loop: Header=BB2_3742 Depth=3
	s_or_b32 exec_lo, exec_lo, s13
                                        ; implicit-def: $vgpr57
.LBB2_3838:                             ;   in Loop: Header=BB2_3742 Depth=3
	s_and_not1_saveexec_b32 s13, s15
; %bb.3839:                             ;   in Loop: Header=BB2_3742 Depth=3
	v_or_b32_e32 v95, 0x7f, v57
; %bb.3840:                             ;   in Loop: Header=BB2_3742 Depth=3
	s_or_b32 exec_lo, exec_lo, s13
	v_mov_b32_e32 v56, 0
	s_mov_b32 s14, exec_lo
	v_cmpx_lt_u32_e32 0xffffff, v12
	s_cbranch_execz .LBB2_3848
; %bb.3841:                             ;   in Loop: Header=BB2_3742 Depth=3
	v_lshrrev_b32_e32 v57, 24, v12
	v_bfrev_b32_e32 v56, 1
	s_mov_b32 s15, exec_lo
	s_delay_alu instid0(VALU_DEP_2)
	v_cmpx_ne_u32_e32 0x80, v57
	s_cbranch_execz .LBB2_3847
; %bb.3842:                             ;   in Loop: Header=BB2_3742 Depth=3
	v_bfe_u32 v58, v12, 24, 7
	v_mov_b32_e32 v56, 0x7f800001
	s_mov_b32 s75, exec_lo
	s_delay_alu instid0(VALU_DEP_2)
	v_cmpx_ne_u32_e32 0x7f, v58
	s_cbranch_execz .LBB2_3846
; %bb.3843:                             ;   in Loop: Header=BB2_3742 Depth=3
	v_dual_lshrrev_b32 v56, 3, v58 :: v_dual_bitop2_b32 v2, 7, v57 bitop3:0x40
	s_mov_b32 s76, exec_lo
	v_cmpx_gt_u32_e32 8, v58
; %bb.3844:                             ;   in Loop: Header=BB2_3742 Depth=3
	s_delay_alu instid0(VALU_DEP_2) | instskip(NEXT) | instid1(VALU_DEP_1)
	v_clz_i32_u32_e32 v18, v2
	v_min_u32_e32 v18, 32, v18
	s_delay_alu instid0(VALU_DEP_1) | instskip(SKIP_1) | instid1(VALU_DEP_2)
	v_subrev_nc_u32_e32 v19, 28, v18
	v_sub_nc_u32_e32 v56, 29, v18
	v_lshlrev_b64_e32 v[58:59], v19, v[2:3]
	s_delay_alu instid0(VALU_DEP_1)
	v_and_b32_e32 v2, 7, v58
; %bb.3845:                             ;   in Loop: Header=BB2_3742 Depth=3
	s_or_b32 exec_lo, exec_lo, s76
	s_delay_alu instid0(VALU_DEP_1) | instskip(SKIP_1) | instid1(VALU_DEP_2)
	v_dual_lshlrev_b32 v18, 24, v57 :: v_dual_lshlrev_b32 v2, 20, v2
	v_lshl_add_u32 v19, v56, 23, 0x3c000000
	v_and_b32_e32 v18, 0x80000000, v18
	s_delay_alu instid0(VALU_DEP_1)
	v_or3_b32 v56, v2, v18, v19
.LBB2_3846:                             ;   in Loop: Header=BB2_3742 Depth=3
	s_or_b32 exec_lo, exec_lo, s75
.LBB2_3847:                             ;   in Loop: Header=BB2_3742 Depth=3
	s_delay_alu instid0(SALU_CYCLE_1)
	s_or_b32 exec_lo, exec_lo, s15
.LBB2_3848:                             ;   in Loop: Header=BB2_3742 Depth=3
	s_delay_alu instid0(SALU_CYCLE_1) | instskip(SKIP_3) | instid1(VALU_DEP_3)
	s_or_b32 exec_lo, exec_lo, s14
	v_lshrrev_b32_e32 v2, 24, v8
	v_bfe_u32 v57, v8, 24, 7
	v_cmp_gt_u32_e64 s15, 0x1000000, v8
	v_cmp_eq_u32_e64 s13, 0x80, v2
	s_delay_alu instid0(VALU_DEP_3) | instskip(NEXT) | instid1(VALU_DEP_2)
	v_cmp_eq_u32_e64 s14, 0x7f, v57
	v_cndmask_b32_e64 v18, 0x7f800001, v77, s13
	s_or_b32 s13, s13, s14
	s_delay_alu instid0(SALU_CYCLE_1) | instskip(NEXT) | instid1(VALU_DEP_1)
	s_nor_b32 s13, s15, s13
	v_cndmask_b32_e64 v58, v18, 0, s15
	s_and_saveexec_b32 s14, s13
	s_cbranch_execz .LBB2_3850
; %bb.3849:                             ;   in Loop: Header=BB2_3742 Depth=3
	v_and_b32_e32 v18, 7, v2
	v_cmp_gt_u32_e64 s13, 8, v57
	s_delay_alu instid0(VALU_DEP_2) | instskip(NEXT) | instid1(VALU_DEP_1)
	v_clz_i32_u32_e32 v19, v18
	v_min_u32_e32 v19, 32, v19
	s_delay_alu instid0(VALU_DEP_1) | instskip(NEXT) | instid1(VALU_DEP_1)
	v_subrev_nc_u32_e32 v58, 28, v19
	v_lshlrev_b64_e32 v[58:59], v58, v[2:3]
	v_dual_lshrrev_b32 v59, 3, v57 :: v_dual_sub_nc_u32 v19, 29, v19
	s_delay_alu instid0(VALU_DEP_2) | instskip(NEXT) | instid1(VALU_DEP_2)
	v_and_b32_e32 v57, 7, v58
	v_dual_lshlrev_b32 v2, 24, v2 :: v_dual_cndmask_b32 v19, v59, v19, s13
	s_delay_alu instid0(VALU_DEP_2) | instskip(NEXT) | instid1(VALU_DEP_2)
	v_cndmask_b32_e64 v18, v18, v57, s13
	v_and_b32_e32 v2, 0x80000000, v2
	s_delay_alu instid0(VALU_DEP_3) | instskip(NEXT) | instid1(VALU_DEP_3)
	v_lshl_add_u32 v19, v19, 23, 0x3c000000
	v_lshlrev_b32_e32 v18, 20, v18
	s_delay_alu instid0(VALU_DEP_1)
	v_or3_b32 v58, v18, v2, v19
.LBB2_3850:                             ;   in Loop: Header=BB2_3742 Depth=3
	s_or_b32 exec_lo, exec_lo, s14
	s_delay_alu instid0(VALU_DEP_1) | instskip(SKIP_1) | instid1(VALU_DEP_1)
	v_add_f32_e32 v56, v56, v58
                                        ; implicit-def: $vgpr104
	s_mov_b32 s14, exec_lo
	v_and_b32_e32 v2, 0x7f800000, v56
	v_lshrrev_b32_e32 v57, 24, v56
	s_delay_alu instid0(VALU_DEP_2)
	v_cmpx_ne_u64_e32 0x7f800000, v[2:3]
	s_xor_b32 s15, exec_lo, s14
	s_cbranch_execz .LBB2_3864
; %bb.3851:                             ;   in Loop: Header=BB2_3742 Depth=3
	v_and_b32_e32 v2, 0x7fffffff, v56
	v_and_b32_e32 v60, 0x80, v57
                                        ; implicit-def: $vgpr104
	s_mov_b32 s14, exec_lo
	s_delay_alu instid0(VALU_DEP_2)
	v_cmpx_gt_u64_e32 0x43e00001, v[2:3]
	s_xor_b32 s75, exec_lo, s14
	s_cbranch_execz .LBB2_3861
; %bb.3852:                             ;   in Loop: Header=BB2_3742 Depth=3
	v_mov_b32_e32 v104, 0
	s_mov_b32 s76, exec_lo
	v_cmpx_ne_u32_e32 0, v56
	s_cbranch_execz .LBB2_3860
; %bb.3853:                             ;   in Loop: Header=BB2_3742 Depth=3
	v_bfe_u32 v61, v56, 23, 8
	s_delay_alu instid0(VALU_DEP_1) | instskip(SKIP_1) | instid1(VALU_DEP_1)
	v_sub_nc_u32_e32 v2, 0x79, v61
	v_cmp_gt_u32_e64 s13, 0x7a, v61
	v_cndmask_b32_e64 v2, 0, v2, s13
	v_cmp_eq_u32_e64 s13, 0, v61
	s_delay_alu instid0(VALU_DEP_1) | instskip(SKIP_1) | instid1(VALU_DEP_2)
	v_cndmask_b32_e64 v104, v2, 0x78, s13
	v_and_b32_e32 v2, 0x7fffff, v56
	v_add_nc_u32_e32 v18, 20, v104
	s_delay_alu instid0(VALU_DEP_2) | instskip(NEXT) | instid1(VALU_DEP_2)
	v_or_b32_e32 v19, 0x800000, v2
	v_lshlrev_b64_e64 v[56:57], v18, -1
	s_delay_alu instid0(VALU_DEP_2) | instskip(NEXT) | instid1(VALU_DEP_1)
	v_dual_add_nc_u32 v18, 19, v104 :: v_dual_cndmask_b32 v2, v19, v2, s13
	v_lshlrev_b64_e64 v[58:59], v18, 1
	s_delay_alu instid0(VALU_DEP_3) | instskip(NEXT) | instid1(VALU_DEP_3)
	v_bfi_b32 v107, v57, 0, 0
	v_bfi_b32 v106, v56, 0, v2
	v_lshrrev_b64 v[56:57], v104, v[2:3]
	s_delay_alu instid0(VALU_DEP_2) | instskip(NEXT) | instid1(VALU_DEP_2)
	v_cmp_eq_u64_e64 s14, v[106:107], v[58:59]
	v_mov_b64_e32 v[58:59], v[56:57]
	s_and_saveexec_b32 s77, s14
; %bb.3854:                             ;   in Loop: Header=BB2_3742 Depth=3
	v_bfe_u32 v2, v56, 20, 1
	s_delay_alu instid0(VALU_DEP_1) | instskip(NEXT) | instid1(VALU_DEP_1)
	v_add_nc_u64_e32 v[58:59], v[56:57], v[2:3]
	v_add_nc_u64_e32 v[58:59], -1, v[58:59]
; %bb.3855:                             ;   in Loop: Header=BB2_3742 Depth=3
	s_or_b32 exec_lo, exec_lo, s77
	v_add_nc_u32_e32 v2, 0xffffff81, v61
	v_lshrrev_b32_e32 v18, 23, v56
	s_mov_b32 s14, exec_lo
	s_delay_alu instid0(VALU_DEP_2) | instskip(NEXT) | instid1(VALU_DEP_1)
	v_cndmask_b32_e64 v2, v2, 0xffffff82, s13
	v_add3_u32 v59, v104, v2, v18
	v_and_b32_e32 v2, 0xfffff, v58
                                        ; implicit-def: $vgpr58
	s_delay_alu instid0(VALU_DEP_1) | instskip(NEXT) | instid1(VALU_DEP_1)
	v_dual_add_nc_u32 v61, 6, v59 :: v_dual_add_nc_u32 v2, v2, v56
                                        ; implicit-def: $vgpr56_vgpr57
	v_cmpx_ne_u32_e32 0, v61
	s_xor_b32 s14, exec_lo, s14
; %bb.3856:                             ;   in Loop: Header=BB2_3742 Depth=3
	s_delay_alu instid0(VALU_DEP_2) | instskip(SKIP_1) | instid1(VALU_DEP_1)
	v_cmp_lt_u64_e64 s13, 0xffffff, v[2:3]
	v_add_nc_u32_e32 v18, 7, v59
	v_cndmask_b32_e64 v58, v61, v18, s13
	v_cndmask_b32_e64 v18, 0, 1, s13
	s_delay_alu instid0(VALU_DEP_1)
	v_lshrrev_b64 v[56:57], v18, v[2:3]
; %bb.3857:                             ;   in Loop: Header=BB2_3742 Depth=3
	s_and_not1_saveexec_b32 s13, s14
; %bb.3858:                             ;   in Loop: Header=BB2_3742 Depth=3
	v_mov_b64_e32 v[56:57], v[2:3]
	v_bfe_u32 v58, v2, 23, 1
; %bb.3859:                             ;   in Loop: Header=BB2_3742 Depth=3
	s_or_b32 exec_lo, exec_lo, s13
	s_delay_alu instid0(VALU_DEP_2) | instskip(NEXT) | instid1(VALU_DEP_2)
	v_lshrrev_b64 v[56:57], 20, v[56:57]
	v_cmp_gt_i32_e64 s13, 16, v58
	v_min_i32_e32 v2, 15, v58
	v_cmp_eq_u32_e64 s14, 0, v58
	s_delay_alu instid0(VALU_DEP_2) | instskip(SKIP_1) | instid1(VALU_DEP_2)
	v_dual_cndmask_b32 v57, 0, v57, s13 :: v_dual_lshlrev_b32 v2, 3, v2
	v_cndmask_b32_e64 v56, 7, v56, s13
	v_and_b32_e32 v2, 0xf8, v2
	s_delay_alu instid0(VALU_DEP_2) | instskip(NEXT) | instid1(VALU_DEP_2)
	v_cmp_eq_u64_e64 s13, 0, v[56:57]
	v_and_or_b32 v2, v56, 7, v2
	s_and_b32 s13, s14, s13
	s_delay_alu instid0(VALU_DEP_1) | instid1(SALU_CYCLE_1)
	v_cndmask_b32_e64 v2, v2, 0, s13
	s_delay_alu instid0(VALU_DEP_1)
	v_or_b32_e32 v104, v2, v60
.LBB2_3860:                             ;   in Loop: Header=BB2_3742 Depth=3
	s_or_b32 exec_lo, exec_lo, s76
                                        ; implicit-def: $vgpr60
.LBB2_3861:                             ;   in Loop: Header=BB2_3742 Depth=3
	s_and_not1_saveexec_b32 s13, s75
; %bb.3862:                             ;   in Loop: Header=BB2_3742 Depth=3
	v_or_b32_e32 v104, 0x7e, v60
; %bb.3863:                             ;   in Loop: Header=BB2_3742 Depth=3
	s_or_b32 exec_lo, exec_lo, s13
                                        ; implicit-def: $vgpr57
.LBB2_3864:                             ;   in Loop: Header=BB2_3742 Depth=3
	s_and_not1_saveexec_b32 s13, s15
; %bb.3865:                             ;   in Loop: Header=BB2_3742 Depth=3
	v_or_b32_e32 v104, 0x7f, v57
; %bb.3866:                             ;   in Loop: Header=BB2_3742 Depth=3
	s_or_b32 exec_lo, exec_lo, s13
	v_and_b32_e32 v56, 0xff, v13
	v_dual_mov_b32 v2, v13 :: v_dual_mov_b32 v58, 0
	s_mov_b32 s14, exec_lo
	s_delay_alu instid0(VALU_DEP_2)
	v_cmpx_ne_u16_e32 0, v56
	s_cbranch_execz .LBB2_3872
; %bb.3867:                             ;   in Loop: Header=BB2_3742 Depth=3
	v_bfrev_b32_e32 v58, 1
	s_mov_b32 s15, exec_lo
	v_cmpx_ne_u16_e32 0x80, v56
	s_cbranch_execz .LBB2_3871
; %bb.3868:                             ;   in Loop: Header=BB2_3742 Depth=3
	v_and_b32_e32 v56, 0x7f, v13
	v_mov_b32_e32 v58, 0x7f800001
	s_mov_b32 s75, exec_lo
	s_delay_alu instid0(VALU_DEP_2)
	v_cmpx_ne_u32_e32 0x7f, v56
	s_cbranch_execz .LBB2_3870
; %bb.3869:                             ;   in Loop: Header=BB2_3742 Depth=3
	v_dual_lshrrev_b32 v19, 3, v56 :: v_dual_bitop2_b32 v18, 7, v13 bitop3:0x40
	v_cmp_gt_u32_e64 s13, 8, v56
	s_delay_alu instid0(VALU_DEP_2) | instskip(NEXT) | instid1(VALU_DEP_1)
	v_clz_i32_u32_e32 v18, v18
	v_min_u32_e32 v18, 32, v18
	s_delay_alu instid0(VALU_DEP_1) | instskip(SKIP_1) | instid1(VALU_DEP_1)
	v_subrev_nc_u32_e32 v57, 28, v18
	v_sub_nc_u32_e32 v18, 29, v18
	v_dual_cndmask_b32 v18, v19, v18, s13 :: v_dual_cndmask_b32 v19, 0, v57, s13
	s_delay_alu instid0(VALU_DEP_1) | instskip(SKIP_1) | instid1(VALU_DEP_1)
	v_lshlrev_b64_e32 v[56:57], v19, v[2:3]
	v_lshlrev_b32_e32 v19, 24, v2
	v_and_b32_e32 v19, 0x80000000, v19
	s_delay_alu instid0(VALU_DEP_3) | instskip(SKIP_1) | instid1(VALU_DEP_2)
	v_lshlrev_b32_e32 v56, 20, v56
	v_lshl_add_u32 v18, v18, 23, 0x3c000000
	v_and_b32_e32 v56, 0x700000, v56
	s_delay_alu instid0(VALU_DEP_1)
	v_or3_b32 v58, v56, v19, v18
.LBB2_3870:                             ;   in Loop: Header=BB2_3742 Depth=3
	s_or_b32 exec_lo, exec_lo, s75
.LBB2_3871:                             ;   in Loop: Header=BB2_3742 Depth=3
	s_delay_alu instid0(SALU_CYCLE_1)
	s_or_b32 exec_lo, exec_lo, s15
.LBB2_3872:                             ;   in Loop: Header=BB2_3742 Depth=3
	s_delay_alu instid0(SALU_CYCLE_1) | instskip(SKIP_4) | instid1(VALU_DEP_2)
	s_or_b32 exec_lo, exec_lo, s14
	v_and_b32_e32 v57, 0xff, v9
	v_mov_b32_e32 v56, v9
	s_mov_b32 s14, 0
	s_mov_b32 s15, exec_lo
	v_cmpx_lt_i16_e32 0x7f, v57
	s_xor_b32 s15, exec_lo, s15
	s_cbranch_execz .LBB2_3907
; %bb.3873:                             ;   in Loop: Header=BB2_3742 Depth=3
	s_mov_b32 s14, -1
	s_mov_b32 s75, exec_lo
	v_cmpx_eq_u16_e32 0x80, v57
; %bb.3874:                             ;   in Loop: Header=BB2_3742 Depth=3
	s_xor_b32 s14, exec_lo, -1
; %bb.3875:                             ;   in Loop: Header=BB2_3742 Depth=3
	s_or_b32 exec_lo, exec_lo, s75
	s_delay_alu instid0(SALU_CYCLE_1)
	s_and_b32 s14, s14, exec_lo
                                        ; implicit-def: $vgpr57
	s_or_saveexec_b32 s15, s15
	v_bfrev_b32_e32 v59, 1
	s_xor_b32 exec_lo, exec_lo, s15
	s_cbranch_execnz .LBB2_3908
.LBB2_3876:                             ;   in Loop: Header=BB2_3742 Depth=3
	s_or_b32 exec_lo, exec_lo, s15
	v_mov_b32_e32 v57, v3
	s_and_saveexec_b32 s15, s14
	s_cbranch_execz .LBB2_3878
.LBB2_3877:                             ;   in Loop: Header=BB2_3742 Depth=3
	v_and_b32_e32 v19, 0x7f, v9
	v_bfe_u32 v59, v9, 3, 4
	s_delay_alu instid0(VALU_DEP_2) | instskip(SKIP_1) | instid1(VALU_DEP_1)
	v_cmp_gt_u32_e64 s13, 8, v19
	v_and_b32_e32 v18, 7, v9
	v_clz_i32_u32_e32 v18, v18
	s_delay_alu instid0(VALU_DEP_1) | instskip(NEXT) | instid1(VALU_DEP_1)
	v_min_u32_e32 v18, 32, v18
	v_subrev_nc_u32_e32 v60, 28, v18
	v_sub_nc_u32_e32 v18, 29, v18
	s_delay_alu instid0(VALU_DEP_1) | instskip(SKIP_1) | instid1(VALU_DEP_2)
	v_dual_cndmask_b32 v18, v59, v18, s13 :: v_dual_cndmask_b32 v59, 0, v60, s13
	v_cmp_ne_u32_e64 s13, 0x7f, v19
	v_lshlrev_b64_e32 v[60:61], v59, v[56:57]
	v_lshlrev_b32_e32 v57, 24, v56
	s_delay_alu instid0(VALU_DEP_1) | instskip(NEXT) | instid1(VALU_DEP_3)
	v_and_b32_e32 v57, 0x80000000, v57
	v_lshlrev_b32_e32 v59, 20, v60
	v_lshl_add_u32 v18, v18, 23, 0x3c000000
	s_delay_alu instid0(VALU_DEP_2) | instskip(NEXT) | instid1(VALU_DEP_1)
	v_and_b32_e32 v59, 0x700000, v59
	v_or3_b32 v18, v59, v57, v18
	s_delay_alu instid0(VALU_DEP_1)
	v_cndmask_b32_e64 v59, 0x7f800001, v18, s13
.LBB2_3878:                             ;   in Loop: Header=BB2_3742 Depth=3
	s_or_b32 exec_lo, exec_lo, s15
	s_delay_alu instid0(VALU_DEP_1) | instskip(NEXT) | instid1(VALU_DEP_1)
	v_dual_add_f32 v58, v58, v59 :: v_dual_mov_b32 v61, v3
	v_and_b32_e32 v60, 0x7f800000, v58
	v_lshrrev_b32_e32 v57, 24, v58
	s_delay_alu instid0(VALU_DEP_2) | instskip(SKIP_1) | instid1(SALU_CYCLE_1)
	v_cmp_ne_u64_e64 s13, 0x7f800000, v[60:61]
                                        ; implicit-def: $vgpr60
	s_and_saveexec_b32 s14, s13
	s_xor_b32 s15, exec_lo, s14
	s_cbranch_execz .LBB2_3892
; %bb.3879:                             ;   in Loop: Header=BB2_3742 Depth=3
	v_and_b32_e32 v60, 0x7fffffff, v58
	v_mov_b32_e32 v61, v3
	v_and_b32_e32 v57, 0x80, v57
	s_delay_alu instid0(VALU_DEP_2) | instskip(SKIP_1) | instid1(SALU_CYCLE_1)
	v_cmp_gt_u64_e64 s13, 0x43e00001, v[60:61]
                                        ; implicit-def: $vgpr60
	s_and_saveexec_b32 s14, s13
	s_xor_b32 s75, exec_lo, s14
	s_cbranch_execz .LBB2_3889
; %bb.3880:                             ;   in Loop: Header=BB2_3742 Depth=3
	v_mov_b32_e32 v60, 0
	s_mov_b32 s76, exec_lo
	v_cmpx_ne_u32_e32 0, v58
	s_cbranch_execz .LBB2_3888
; %bb.3881:                             ;   in Loop: Header=BB2_3742 Depth=3
	v_bfe_u32 v105, v58, 23, 8
	s_mov_b32 s77, exec_lo
	s_delay_alu instid0(VALU_DEP_1) | instskip(SKIP_1) | instid1(VALU_DEP_1)
	v_dual_mov_b32 v61, v3 :: v_dual_sub_nc_u32 v18, 0x79, v105
	v_cmp_gt_u32_e64 s13, 0x7a, v105
	v_cndmask_b32_e64 v18, 0, v18, s13
	v_cmp_eq_u32_e64 s13, 0, v105
	s_delay_alu instid0(VALU_DEP_1) | instskip(SKIP_1) | instid1(VALU_DEP_2)
	v_cndmask_b32_e64 v106, v18, 0x78, s13
	v_and_b32_e32 v18, 0x7fffff, v58
	v_add_nc_u32_e32 v19, 20, v106
	s_delay_alu instid0(VALU_DEP_2) | instskip(NEXT) | instid1(VALU_DEP_2)
	v_or_b32_e32 v60, 0x800000, v18
	v_lshlrev_b64_e64 v[58:59], v19, -1
	s_delay_alu instid0(VALU_DEP_2) | instskip(SKIP_1) | instid1(VALU_DEP_1)
	v_cndmask_b32_e64 v60, v60, v18, s13
	v_add_nc_u32_e32 v19, 19, v106
	v_lshlrev_b64_e64 v[108:109], v19, 1
	s_delay_alu instid0(VALU_DEP_4) | instskip(NEXT) | instid1(VALU_DEP_4)
	v_bfi_b32 v111, v59, 0, 0
	v_bfi_b32 v110, v58, 0, v60
	v_lshrrev_b64 v[58:59], v106, v[60:61]
	s_delay_alu instid0(VALU_DEP_1) | instskip(NEXT) | instid1(VALU_DEP_3)
	v_mov_b64_e32 v[60:61], v[58:59]
	v_cmpx_eq_u64_e64 v[110:111], v[108:109]
; %bb.3882:                             ;   in Loop: Header=BB2_3742 Depth=3
	v_bfe_u32 v60, v58, 20, 1
	v_mov_b32_e32 v61, v3
	s_delay_alu instid0(VALU_DEP_1) | instskip(NEXT) | instid1(VALU_DEP_1)
	v_add_nc_u64_e32 v[60:61], v[58:59], v[60:61]
	v_add_nc_u64_e32 v[60:61], -1, v[60:61]
; %bb.3883:                             ;   in Loop: Header=BB2_3742 Depth=3
	s_or_b32 exec_lo, exec_lo, s77
	v_dual_mov_b32 v59, v3 :: v_dual_add_nc_u32 v18, 0xffffff81, v105
	v_lshrrev_b32_e32 v19, 23, v58
	s_mov_b32 s14, exec_lo
	s_delay_alu instid0(VALU_DEP_2) | instskip(NEXT) | instid1(VALU_DEP_1)
	v_cndmask_b32_e64 v18, v18, 0xffffff82, s13
	v_add3_u32 v61, v106, v18, v19
	v_and_b32_e32 v18, 0xfffff, v60
                                        ; implicit-def: $vgpr60
	s_delay_alu instid0(VALU_DEP_1) | instskip(NEXT) | instid1(VALU_DEP_1)
	v_dual_add_nc_u32 v105, 6, v61 :: v_dual_add_nc_u32 v58, v18, v58
	v_cmpx_ne_u32_e32 0, v105
	s_xor_b32 s14, exec_lo, s14
; %bb.3884:                             ;   in Loop: Header=BB2_3742 Depth=3
	s_delay_alu instid0(VALU_DEP_2) | instskip(SKIP_1) | instid1(VALU_DEP_1)
	v_cmp_lt_u64_e64 s13, 0xffffff, v[58:59]
	v_add_nc_u32_e32 v18, 7, v61
	v_cndmask_b32_e64 v60, v105, v18, s13
	v_cndmask_b32_e64 v18, 0, 1, s13
	s_delay_alu instid0(VALU_DEP_1)
	v_lshrrev_b64 v[58:59], v18, v[58:59]
; %bb.3885:                             ;   in Loop: Header=BB2_3742 Depth=3
	s_and_not1_saveexec_b32 s13, s14
; %bb.3886:                             ;   in Loop: Header=BB2_3742 Depth=3
	s_delay_alu instid0(VALU_DEP_1)
	v_bfe_u32 v60, v58, 23, 1
; %bb.3887:                             ;   in Loop: Header=BB2_3742 Depth=3
	s_or_b32 exec_lo, exec_lo, s13
	s_delay_alu instid0(VALU_DEP_2) | instskip(NEXT) | instid1(VALU_DEP_2)
	v_lshrrev_b64 v[58:59], 20, v[58:59]
	v_cmp_gt_i32_e64 s13, 16, v60
	v_min_i32_e32 v18, 15, v60
	v_cmp_eq_u32_e64 s14, 0, v60
	s_delay_alu instid0(VALU_DEP_2) | instskip(SKIP_1) | instid1(VALU_DEP_2)
	v_dual_cndmask_b32 v59, 0, v59, s13 :: v_dual_lshlrev_b32 v18, 3, v18
	v_cndmask_b32_e64 v58, 7, v58, s13
	v_and_b32_e32 v18, 0xf8, v18
	s_delay_alu instid0(VALU_DEP_2) | instskip(NEXT) | instid1(VALU_DEP_2)
	v_cmp_eq_u64_e64 s13, 0, v[58:59]
	v_and_or_b32 v18, v58, 7, v18
	s_and_b32 s13, s14, s13
	s_delay_alu instid0(VALU_DEP_1) | instid1(SALU_CYCLE_1)
	v_cndmask_b32_e64 v18, v18, 0, s13
	s_delay_alu instid0(VALU_DEP_1)
	v_or_b32_e32 v60, v18, v57
.LBB2_3888:                             ;   in Loop: Header=BB2_3742 Depth=3
	s_or_b32 exec_lo, exec_lo, s76
                                        ; implicit-def: $vgpr57
.LBB2_3889:                             ;   in Loop: Header=BB2_3742 Depth=3
	s_and_not1_saveexec_b32 s13, s75
; %bb.3890:                             ;   in Loop: Header=BB2_3742 Depth=3
	v_or_b32_e32 v60, 0x7e, v57
; %bb.3891:                             ;   in Loop: Header=BB2_3742 Depth=3
	s_or_b32 exec_lo, exec_lo, s13
                                        ; implicit-def: $vgpr57
.LBB2_3892:                             ;   in Loop: Header=BB2_3742 Depth=3
	s_and_not1_saveexec_b32 s13, s15
; %bb.3893:                             ;   in Loop: Header=BB2_3742 Depth=3
	v_or_b32_e32 v60, 0x7f, v57
; %bb.3894:                             ;   in Loop: Header=BB2_3742 Depth=3
	s_or_b32 exec_lo, exec_lo, s13
	v_lshrrev_b16 v58, 8, v2
	v_mov_b32_e32 v57, 0
	s_mov_b32 s14, exec_lo
	s_delay_alu instid0(VALU_DEP_2)
	v_cmpx_ne_u16_e32 0, v58
	s_cbranch_execz .LBB2_3902
; %bb.3895:                             ;   in Loop: Header=BB2_3742 Depth=3
	v_bfrev_b32_e32 v57, 1
	s_mov_b32 s15, exec_lo
	v_cmpx_ne_u16_e32 0x80, v58
	s_cbranch_execz .LBB2_3901
; %bb.3896:                             ;   in Loop: Header=BB2_3742 Depth=3
	v_and_b32_e32 v58, 0xffff, v58
	v_mov_b32_e32 v57, 0x7f800001
	s_mov_b32 s75, exec_lo
	s_delay_alu instid0(VALU_DEP_2) | instskip(NEXT) | instid1(VALU_DEP_1)
	v_and_b32_e32 v61, 0x7f, v58
	v_cmpx_ne_u32_e32 0x7f, v61
	s_cbranch_execz .LBB2_3900
; %bb.3897:                             ;   in Loop: Header=BB2_3742 Depth=3
	v_dual_mov_b32 v59, v3 :: v_dual_bitop2_b32 v58, 7, v58 bitop3:0x40
	v_lshrrev_b32_e32 v57, 3, v61
	s_mov_b32 s76, exec_lo
	v_cmpx_gt_u32_e32 8, v61
; %bb.3898:                             ;   in Loop: Header=BB2_3742 Depth=3
	s_delay_alu instid0(VALU_DEP_3) | instskip(NEXT) | instid1(VALU_DEP_1)
	v_clz_i32_u32_e32 v18, v58
	v_min_u32_e32 v18, 32, v18
	s_delay_alu instid0(VALU_DEP_1) | instskip(SKIP_1) | instid1(VALU_DEP_2)
	v_subrev_nc_u32_e32 v19, 28, v18
	v_sub_nc_u32_e32 v57, 29, v18
	v_lshlrev_b64_e32 v[58:59], v19, v[58:59]
	s_delay_alu instid0(VALU_DEP_1)
	v_and_b32_e32 v58, 7, v58
; %bb.3899:                             ;   in Loop: Header=BB2_3742 Depth=3
	s_or_b32 exec_lo, exec_lo, s76
	v_lshlrev_b32_e32 v2, 16, v2
	s_delay_alu instid0(VALU_DEP_2) | instskip(SKIP_1) | instid1(VALU_DEP_3)
	v_lshlrev_b32_e32 v18, 20, v58
	v_lshl_add_u32 v19, v57, 23, 0x3c000000
	v_and_b32_e32 v2, 0x80000000, v2
	s_delay_alu instid0(VALU_DEP_1)
	v_or3_b32 v57, v18, v2, v19
.LBB2_3900:                             ;   in Loop: Header=BB2_3742 Depth=3
	s_or_b32 exec_lo, exec_lo, s75
.LBB2_3901:                             ;   in Loop: Header=BB2_3742 Depth=3
	s_delay_alu instid0(SALU_CYCLE_1)
	s_or_b32 exec_lo, exec_lo, s15
.LBB2_3902:                             ;   in Loop: Header=BB2_3742 Depth=3
	s_delay_alu instid0(SALU_CYCLE_1) | instskip(SKIP_3) | instid1(VALU_DEP_1)
	s_or_b32 exec_lo, exec_lo, s14
	v_lshrrev_b16 v56, 8, v56
	s_mov_b32 s15, 0
	s_mov_b32 s14, exec_lo
	v_cmpx_lt_i16_e32 0x7f, v56
	s_xor_b32 s14, exec_lo, s14
	s_cbranch_execz .LBB2_3909
; %bb.3903:                             ;   in Loop: Header=BB2_3742 Depth=3
	s_mov_b32 s15, -1
	s_mov_b32 s75, exec_lo
	v_cmpx_eq_u16_e32 0x80, v56
; %bb.3904:                             ;   in Loop: Header=BB2_3742 Depth=3
	s_xor_b32 s15, exec_lo, -1
; %bb.3905:                             ;   in Loop: Header=BB2_3742 Depth=3
	s_or_b32 exec_lo, exec_lo, s75
	s_delay_alu instid0(SALU_CYCLE_1)
	s_and_b32 s15, s15, exec_lo
	s_or_saveexec_b32 s14, s14
	v_bfrev_b32_e32 v58, 1
	s_xor_b32 exec_lo, exec_lo, s14
	s_cbranch_execnz .LBB2_3910
.LBB2_3906:                             ;   in Loop: Header=BB2_3742 Depth=3
	s_or_b32 exec_lo, exec_lo, s14
	s_and_saveexec_b32 s14, s15
	s_cbranch_execnz .LBB2_3911
	s_branch .LBB2_3914
.LBB2_3907:                             ;   in Loop: Header=BB2_3742 Depth=3
	s_or_saveexec_b32 s15, s15
	v_bfrev_b32_e32 v59, 1
	s_xor_b32 exec_lo, exec_lo, s15
	s_cbranch_execz .LBB2_3876
.LBB2_3908:                             ;   in Loop: Header=BB2_3742 Depth=3
	v_cmp_ne_u16_e64 s13, 0, v57
	v_mov_b32_e32 v59, 0
	s_and_not1_b32 s14, s14, exec_lo
	s_and_b32 s13, s13, exec_lo
	s_delay_alu instid0(SALU_CYCLE_1)
	s_or_b32 s14, s14, s13
	s_or_b32 exec_lo, exec_lo, s15
	v_mov_b32_e32 v57, v3
	s_and_saveexec_b32 s15, s14
	s_cbranch_execnz .LBB2_3877
	s_branch .LBB2_3878
.LBB2_3909:                             ;   in Loop: Header=BB2_3742 Depth=3
	s_or_saveexec_b32 s14, s14
	v_bfrev_b32_e32 v58, 1
	s_xor_b32 exec_lo, exec_lo, s14
	s_cbranch_execz .LBB2_3906
.LBB2_3910:                             ;   in Loop: Header=BB2_3742 Depth=3
	v_cmp_ne_u16_e64 s13, 0, v56
	v_mov_b32_e32 v58, 0
	s_and_not1_b32 s15, s15, exec_lo
	s_and_b32 s13, s13, exec_lo
	s_delay_alu instid0(SALU_CYCLE_1)
	s_or_b32 s15, s15, s13
	s_or_b32 exec_lo, exec_lo, s14
	s_and_saveexec_b32 s14, s15
	s_cbranch_execz .LBB2_3914
.LBB2_3911:                             ;   in Loop: Header=BB2_3742 Depth=3
	v_and_b32_e32 v2, 0xffff, v56
	v_mov_b32_e32 v58, 0x7f800001
	s_mov_b32 s15, exec_lo
	s_delay_alu instid0(VALU_DEP_2) | instskip(NEXT) | instid1(VALU_DEP_1)
	v_and_b32_e32 v59, 0x7f, v2
	v_cmpx_ne_u32_e32 0x7f, v59
	s_cbranch_execz .LBB2_3913
; %bb.3912:                             ;   in Loop: Header=BB2_3742 Depth=3
	v_and_b32_e32 v18, 7, v2
	v_cmp_gt_u32_e64 s13, 8, v59
	s_delay_alu instid0(VALU_DEP_2) | instskip(NEXT) | instid1(VALU_DEP_1)
	v_clz_i32_u32_e32 v19, v18
	v_min_u32_e32 v19, 32, v19
	s_delay_alu instid0(VALU_DEP_1) | instskip(NEXT) | instid1(VALU_DEP_1)
	v_subrev_nc_u32_e32 v58, 28, v19
	v_lshlrev_b64_e32 v[106:107], v58, v[2:3]
	v_lshrrev_b32_e32 v2, 3, v59
	s_delay_alu instid0(VALU_DEP_2) | instskip(NEXT) | instid1(VALU_DEP_1)
	v_dual_sub_nc_u32 v19, 29, v19 :: v_dual_bitop2_b32 v58, 7, v106 bitop3:0x40
	v_dual_lshlrev_b32 v56, 24, v56 :: v_dual_cndmask_b32 v2, v2, v19, s13
	s_delay_alu instid0(VALU_DEP_2) | instskip(NEXT) | instid1(VALU_DEP_2)
	v_cndmask_b32_e64 v18, v18, v58, s13
	v_and_b32_e32 v19, 0x80000000, v56
	s_delay_alu instid0(VALU_DEP_3) | instskip(NEXT) | instid1(VALU_DEP_3)
	v_lshl_add_u32 v2, v2, 23, 0x3c000000
	v_lshlrev_b32_e32 v18, 20, v18
	s_delay_alu instid0(VALU_DEP_1)
	v_or3_b32 v58, v18, v19, v2
.LBB2_3913:                             ;   in Loop: Header=BB2_3742 Depth=3
	s_or_b32 exec_lo, exec_lo, s15
.LBB2_3914:                             ;   in Loop: Header=BB2_3742 Depth=3
	s_delay_alu instid0(SALU_CYCLE_1) | instskip(NEXT) | instid1(VALU_DEP_1)
	s_or_b32 exec_lo, exec_lo, s14
	v_add_f32_e32 v56, v57, v58
                                        ; implicit-def: $vgpr61
	s_mov_b32 s14, exec_lo
	s_delay_alu instid0(VALU_DEP_1) | instskip(SKIP_1) | instid1(VALU_DEP_2)
	v_and_b32_e32 v2, 0x7f800000, v56
	v_lshrrev_b32_e32 v57, 24, v56
	v_cmpx_ne_u64_e32 0x7f800000, v[2:3]
	s_xor_b32 s15, exec_lo, s14
	s_cbranch_execz .LBB2_3928
; %bb.3915:                             ;   in Loop: Header=BB2_3742 Depth=3
	v_and_b32_e32 v2, 0x7fffffff, v56
	v_and_b32_e32 v105, 0x80, v57
                                        ; implicit-def: $vgpr61
	s_mov_b32 s14, exec_lo
	s_delay_alu instid0(VALU_DEP_2)
	v_cmpx_gt_u64_e32 0x43e00001, v[2:3]
	s_xor_b32 s75, exec_lo, s14
	s_cbranch_execz .LBB2_3925
; %bb.3916:                             ;   in Loop: Header=BB2_3742 Depth=3
	v_mov_b32_e32 v61, 0
	s_mov_b32 s76, exec_lo
	v_cmpx_ne_u32_e32 0, v56
	s_cbranch_execz .LBB2_3924
; %bb.3917:                             ;   in Loop: Header=BB2_3742 Depth=3
	v_bfe_u32 v61, v56, 23, 8
	s_delay_alu instid0(VALU_DEP_1) | instskip(SKIP_1) | instid1(VALU_DEP_1)
	v_sub_nc_u32_e32 v2, 0x79, v61
	v_cmp_gt_u32_e64 s13, 0x7a, v61
	v_cndmask_b32_e64 v2, 0, v2, s13
	v_cmp_eq_u32_e64 s13, 0, v61
	s_delay_alu instid0(VALU_DEP_1) | instskip(SKIP_1) | instid1(VALU_DEP_2)
	v_cndmask_b32_e64 v106, v2, 0x78, s13
	v_and_b32_e32 v2, 0x7fffff, v56
	v_add_nc_u32_e32 v18, 20, v106
	s_delay_alu instid0(VALU_DEP_2) | instskip(NEXT) | instid1(VALU_DEP_2)
	v_or_b32_e32 v19, 0x800000, v2
	v_lshlrev_b64_e64 v[56:57], v18, -1
	v_add_nc_u32_e32 v18, 19, v106
	s_delay_alu instid0(VALU_DEP_3) | instskip(NEXT) | instid1(VALU_DEP_2)
	v_cndmask_b32_e64 v2, v19, v2, s13
	v_lshlrev_b64_e64 v[58:59], v18, 1
	s_delay_alu instid0(VALU_DEP_4) | instskip(NEXT) | instid1(VALU_DEP_3)
	v_bfi_b32 v109, v57, 0, 0
	v_bfi_b32 v108, v56, 0, v2
	v_lshrrev_b64 v[56:57], v106, v[2:3]
	s_delay_alu instid0(VALU_DEP_2) | instskip(NEXT) | instid1(VALU_DEP_2)
	v_cmp_eq_u64_e64 s14, v[108:109], v[58:59]
	v_mov_b64_e32 v[58:59], v[56:57]
	s_and_saveexec_b32 s77, s14
; %bb.3918:                             ;   in Loop: Header=BB2_3742 Depth=3
	v_bfe_u32 v2, v56, 20, 1
	s_delay_alu instid0(VALU_DEP_1) | instskip(NEXT) | instid1(VALU_DEP_1)
	v_add_nc_u64_e32 v[58:59], v[56:57], v[2:3]
	v_add_nc_u64_e32 v[58:59], -1, v[58:59]
; %bb.3919:                             ;   in Loop: Header=BB2_3742 Depth=3
	s_or_b32 exec_lo, exec_lo, s77
	v_add_nc_u32_e32 v2, 0xffffff81, v61
	v_lshrrev_b32_e32 v18, 23, v56
	s_mov_b32 s14, exec_lo
	s_delay_alu instid0(VALU_DEP_2) | instskip(NEXT) | instid1(VALU_DEP_1)
	v_cndmask_b32_e64 v2, v2, 0xffffff82, s13
	v_add3_u32 v59, v106, v2, v18
	v_and_b32_e32 v2, 0xfffff, v58
                                        ; implicit-def: $vgpr58
	s_delay_alu instid0(VALU_DEP_1) | instskip(NEXT) | instid1(VALU_DEP_1)
	v_dual_add_nc_u32 v61, 6, v59 :: v_dual_add_nc_u32 v2, v2, v56
                                        ; implicit-def: $vgpr56_vgpr57
	v_cmpx_ne_u32_e32 0, v61
	s_xor_b32 s14, exec_lo, s14
; %bb.3920:                             ;   in Loop: Header=BB2_3742 Depth=3
	s_delay_alu instid0(VALU_DEP_2) | instskip(SKIP_1) | instid1(VALU_DEP_1)
	v_cmp_lt_u64_e64 s13, 0xffffff, v[2:3]
	v_add_nc_u32_e32 v18, 7, v59
	v_cndmask_b32_e64 v58, v61, v18, s13
	v_cndmask_b32_e64 v18, 0, 1, s13
	s_delay_alu instid0(VALU_DEP_1)
	v_lshrrev_b64 v[56:57], v18, v[2:3]
; %bb.3921:                             ;   in Loop: Header=BB2_3742 Depth=3
	s_and_not1_saveexec_b32 s13, s14
; %bb.3922:                             ;   in Loop: Header=BB2_3742 Depth=3
	v_mov_b64_e32 v[56:57], v[2:3]
	v_bfe_u32 v58, v2, 23, 1
; %bb.3923:                             ;   in Loop: Header=BB2_3742 Depth=3
	s_or_b32 exec_lo, exec_lo, s13
	s_delay_alu instid0(VALU_DEP_2) | instskip(NEXT) | instid1(VALU_DEP_2)
	v_lshrrev_b64 v[56:57], 20, v[56:57]
	v_cmp_gt_i32_e64 s13, 16, v58
	v_min_i32_e32 v2, 15, v58
	v_cmp_eq_u32_e64 s14, 0, v58
	s_delay_alu instid0(VALU_DEP_2) | instskip(SKIP_1) | instid1(VALU_DEP_2)
	v_dual_cndmask_b32 v57, 0, v57, s13 :: v_dual_lshlrev_b32 v2, 3, v2
	v_cndmask_b32_e64 v56, 7, v56, s13
	v_and_b32_e32 v2, 0xf8, v2
	s_delay_alu instid0(VALU_DEP_2) | instskip(NEXT) | instid1(VALU_DEP_2)
	v_cmp_eq_u64_e64 s13, 0, v[56:57]
	v_and_or_b32 v2, v56, 7, v2
	s_and_b32 s13, s14, s13
	s_delay_alu instid0(VALU_DEP_1) | instid1(SALU_CYCLE_1)
	v_cndmask_b32_e64 v2, v2, 0, s13
	s_delay_alu instid0(VALU_DEP_1)
	v_or_b32_e32 v61, v2, v105
.LBB2_3924:                             ;   in Loop: Header=BB2_3742 Depth=3
	s_or_b32 exec_lo, exec_lo, s76
                                        ; implicit-def: $vgpr105
.LBB2_3925:                             ;   in Loop: Header=BB2_3742 Depth=3
	s_and_not1_saveexec_b32 s13, s75
; %bb.3926:                             ;   in Loop: Header=BB2_3742 Depth=3
	v_or_b32_e32 v61, 0x7e, v105
; %bb.3927:                             ;   in Loop: Header=BB2_3742 Depth=3
	s_or_b32 exec_lo, exec_lo, s13
                                        ; implicit-def: $vgpr57
.LBB2_3928:                             ;   in Loop: Header=BB2_3742 Depth=3
	s_and_not1_saveexec_b32 s13, s15
; %bb.3929:                             ;   in Loop: Header=BB2_3742 Depth=3
	v_or_b32_e32 v61, 0x7f, v57
; %bb.3930:                             ;   in Loop: Header=BB2_3742 Depth=3
	s_or_b32 exec_lo, exec_lo, s13
	v_dual_mov_b32 v56, 0 :: v_dual_lshrrev_b32 v57, 16, v13
	s_mov_b32 s14, exec_lo
	s_delay_alu instid0(VALU_DEP_1) | instskip(NEXT) | instid1(VALU_DEP_1)
	v_and_b32_e32 v2, 0xff, v57
	v_cmpx_ne_u16_e32 0, v2
	s_cbranch_execz .LBB2_3938
; %bb.3931:                             ;   in Loop: Header=BB2_3742 Depth=3
	v_bfrev_b32_e32 v56, 1
	s_mov_b32 s15, exec_lo
	v_cmpx_ne_u16_e32 0x80, v2
	s_cbranch_execz .LBB2_3937
; %bb.3932:                             ;   in Loop: Header=BB2_3742 Depth=3
	v_bfe_u32 v58, v13, 16, 7
	v_mov_b32_e32 v56, 0x7f800001
	s_mov_b32 s75, exec_lo
	s_delay_alu instid0(VALU_DEP_2)
	v_cmpx_ne_u32_e32 0x7f, v58
	s_cbranch_execz .LBB2_3936
; %bb.3933:                             ;   in Loop: Header=BB2_3742 Depth=3
	v_dual_lshrrev_b32 v56, 3, v58 :: v_dual_bitop2_b32 v2, 7, v57 bitop3:0x40
	s_mov_b32 s76, exec_lo
	v_cmpx_gt_u32_e32 8, v58
; %bb.3934:                             ;   in Loop: Header=BB2_3742 Depth=3
	s_delay_alu instid0(VALU_DEP_2) | instskip(NEXT) | instid1(VALU_DEP_1)
	v_clz_i32_u32_e32 v18, v2
	v_min_u32_e32 v18, 32, v18
	s_delay_alu instid0(VALU_DEP_1) | instskip(SKIP_1) | instid1(VALU_DEP_2)
	v_subrev_nc_u32_e32 v19, 28, v18
	v_sub_nc_u32_e32 v56, 29, v18
	v_lshlrev_b64_e32 v[58:59], v19, v[2:3]
	s_delay_alu instid0(VALU_DEP_1)
	v_and_b32_e32 v2, 7, v58
; %bb.3935:                             ;   in Loop: Header=BB2_3742 Depth=3
	s_or_b32 exec_lo, exec_lo, s76
	s_delay_alu instid0(VALU_DEP_1) | instskip(SKIP_1) | instid1(VALU_DEP_2)
	v_dual_lshlrev_b32 v18, 24, v57 :: v_dual_lshlrev_b32 v2, 20, v2
	v_lshl_add_u32 v19, v56, 23, 0x3c000000
	v_and_b32_e32 v18, 0x80000000, v18
	s_delay_alu instid0(VALU_DEP_1)
	v_or3_b32 v56, v2, v18, v19
.LBB2_3936:                             ;   in Loop: Header=BB2_3742 Depth=3
	s_or_b32 exec_lo, exec_lo, s75
.LBB2_3937:                             ;   in Loop: Header=BB2_3742 Depth=3
	s_delay_alu instid0(SALU_CYCLE_1)
	s_or_b32 exec_lo, exec_lo, s15
.LBB2_3938:                             ;   in Loop: Header=BB2_3742 Depth=3
	s_delay_alu instid0(SALU_CYCLE_1) | instskip(SKIP_3) | instid1(VALU_DEP_1)
	s_or_b32 exec_lo, exec_lo, s14
	v_lshrrev_b32_e32 v2, 16, v9
	s_mov_b32 s15, 0
	s_mov_b32 s14, exec_lo
	v_and_b32_e32 v58, 0xff, v2
	s_delay_alu instid0(VALU_DEP_1)
	v_cmpx_lt_i16_e32 0x7f, v58
	s_xor_b32 s14, exec_lo, s14
	s_cbranch_execz .LBB2_3943
; %bb.3939:                             ;   in Loop: Header=BB2_3742 Depth=3
	s_mov_b32 s15, -1
	s_mov_b32 s75, exec_lo
	v_cmpx_eq_u16_e32 0x80, v58
; %bb.3940:                             ;   in Loop: Header=BB2_3742 Depth=3
	s_xor_b32 s15, exec_lo, -1
; %bb.3941:                             ;   in Loop: Header=BB2_3742 Depth=3
	s_or_b32 exec_lo, exec_lo, s75
	s_delay_alu instid0(SALU_CYCLE_1)
	s_and_b32 s15, s15, exec_lo
                                        ; implicit-def: $vgpr58
	s_or_saveexec_b32 s14, s14
	v_bfrev_b32_e32 v57, 1
	s_xor_b32 exec_lo, exec_lo, s14
	s_cbranch_execnz .LBB2_3944
.LBB2_3942:                             ;   in Loop: Header=BB2_3742 Depth=3
	s_or_b32 exec_lo, exec_lo, s14
	s_and_saveexec_b32 s14, s15
	s_cbranch_execnz .LBB2_3945
	s_branch .LBB2_3948
.LBB2_3943:                             ;   in Loop: Header=BB2_3742 Depth=3
	s_or_saveexec_b32 s14, s14
	v_bfrev_b32_e32 v57, 1
	s_xor_b32 exec_lo, exec_lo, s14
	s_cbranch_execz .LBB2_3942
.LBB2_3944:                             ;   in Loop: Header=BB2_3742 Depth=3
	v_cmp_ne_u16_e64 s13, 0, v58
	v_mov_b32_e32 v57, 0
	s_and_not1_b32 s15, s15, exec_lo
	s_and_b32 s13, s13, exec_lo
	s_delay_alu instid0(SALU_CYCLE_1)
	s_or_b32 s15, s15, s13
	s_or_b32 exec_lo, exec_lo, s14
	s_and_saveexec_b32 s14, s15
	s_cbranch_execz .LBB2_3948
.LBB2_3945:                             ;   in Loop: Header=BB2_3742 Depth=3
	v_and_b32_e32 v58, 0x7f, v2
	v_mov_b32_e32 v57, 0x7f800001
	s_mov_b32 s15, exec_lo
	s_delay_alu instid0(VALU_DEP_2)
	v_cmpx_ne_u32_e32 0x7f, v58
	s_cbranch_execz .LBB2_3947
; %bb.3946:                             ;   in Loop: Header=BB2_3742 Depth=3
	v_and_b32_e32 v18, 7, v2
	v_cmp_gt_u32_e64 s13, 8, v58
	s_delay_alu instid0(VALU_DEP_2) | instskip(NEXT) | instid1(VALU_DEP_1)
	v_clz_i32_u32_e32 v19, v18
	v_min_u32_e32 v19, 32, v19
	s_delay_alu instid0(VALU_DEP_1) | instskip(SKIP_1) | instid1(VALU_DEP_2)
	v_subrev_nc_u32_e32 v57, 28, v19
	v_sub_nc_u32_e32 v19, 29, v19
	v_lshlrev_b64_e32 v[106:107], v57, v[2:3]
	v_lshrrev_b32_e32 v57, 3, v58
	v_lshlrev_b32_e32 v2, 24, v2
	s_delay_alu instid0(VALU_DEP_1) | instskip(NEXT) | instid1(VALU_DEP_4)
	v_and_b32_e32 v2, 0x80000000, v2
	v_and_b32_e32 v58, 7, v106
	s_delay_alu instid0(VALU_DEP_1) | instskip(NEXT) | instid1(VALU_DEP_1)
	v_dual_cndmask_b32 v18, v18, v58, s13 :: v_dual_cndmask_b32 v19, v57, v19, s13
	v_lshlrev_b32_e32 v18, 20, v18
	s_delay_alu instid0(VALU_DEP_2) | instskip(NEXT) | instid1(VALU_DEP_1)
	v_lshl_add_u32 v19, v19, 23, 0x3c000000
	v_or3_b32 v57, v18, v2, v19
.LBB2_3947:                             ;   in Loop: Header=BB2_3742 Depth=3
	s_or_b32 exec_lo, exec_lo, s15
.LBB2_3948:                             ;   in Loop: Header=BB2_3742 Depth=3
	s_delay_alu instid0(SALU_CYCLE_1) | instskip(NEXT) | instid1(VALU_DEP_1)
	s_or_b32 exec_lo, exec_lo, s14
	v_add_f32_e32 v56, v56, v57
                                        ; implicit-def: $vgpr58
	s_mov_b32 s14, exec_lo
	s_delay_alu instid0(VALU_DEP_1) | instskip(SKIP_1) | instid1(VALU_DEP_2)
	v_and_b32_e32 v2, 0x7f800000, v56
	v_lshrrev_b32_e32 v57, 24, v56
	v_cmpx_ne_u64_e32 0x7f800000, v[2:3]
	s_xor_b32 s15, exec_lo, s14
	s_cbranch_execz .LBB2_3962
; %bb.3949:                             ;   in Loop: Header=BB2_3742 Depth=3
	v_and_b32_e32 v2, 0x7fffffff, v56
	v_and_b32_e32 v105, 0x80, v57
                                        ; implicit-def: $vgpr58
	s_mov_b32 s14, exec_lo
	s_delay_alu instid0(VALU_DEP_2)
	v_cmpx_gt_u64_e32 0x43e00001, v[2:3]
	s_xor_b32 s75, exec_lo, s14
	s_cbranch_execz .LBB2_3959
; %bb.3950:                             ;   in Loop: Header=BB2_3742 Depth=3
	v_mov_b32_e32 v58, 0
	s_mov_b32 s76, exec_lo
	v_cmpx_ne_u32_e32 0, v56
	s_cbranch_execz .LBB2_3958
; %bb.3951:                             ;   in Loop: Header=BB2_3742 Depth=3
	v_bfe_u32 v106, v56, 23, 8
	s_delay_alu instid0(VALU_DEP_1) | instskip(SKIP_1) | instid1(VALU_DEP_1)
	v_sub_nc_u32_e32 v2, 0x79, v106
	v_cmp_gt_u32_e64 s13, 0x7a, v106
	v_cndmask_b32_e64 v2, 0, v2, s13
	v_cmp_eq_u32_e64 s13, 0, v106
	s_delay_alu instid0(VALU_DEP_1) | instskip(SKIP_1) | instid1(VALU_DEP_2)
	v_cndmask_b32_e64 v107, v2, 0x78, s13
	v_and_b32_e32 v2, 0x7fffff, v56
	v_add_nc_u32_e32 v18, 20, v107
	s_delay_alu instid0(VALU_DEP_2) | instskip(NEXT) | instid1(VALU_DEP_2)
	v_or_b32_e32 v19, 0x800000, v2
	v_lshlrev_b64_e64 v[56:57], v18, -1
	s_delay_alu instid0(VALU_DEP_2) | instskip(NEXT) | instid1(VALU_DEP_1)
	v_dual_add_nc_u32 v18, 19, v107 :: v_dual_cndmask_b32 v2, v19, v2, s13
	v_lshlrev_b64_e64 v[58:59], v18, 1
	s_delay_alu instid0(VALU_DEP_3) | instskip(NEXT) | instid1(VALU_DEP_3)
	v_bfi_b32 v109, v57, 0, 0
	v_bfi_b32 v108, v56, 0, v2
	v_lshrrev_b64 v[56:57], v107, v[2:3]
	s_delay_alu instid0(VALU_DEP_2) | instskip(NEXT) | instid1(VALU_DEP_2)
	v_cmp_eq_u64_e64 s14, v[108:109], v[58:59]
	v_mov_b64_e32 v[58:59], v[56:57]
	s_and_saveexec_b32 s77, s14
; %bb.3952:                             ;   in Loop: Header=BB2_3742 Depth=3
	v_bfe_u32 v2, v56, 20, 1
	s_delay_alu instid0(VALU_DEP_1) | instskip(NEXT) | instid1(VALU_DEP_1)
	v_add_nc_u64_e32 v[58:59], v[56:57], v[2:3]
	v_add_nc_u64_e32 v[58:59], -1, v[58:59]
; %bb.3953:                             ;   in Loop: Header=BB2_3742 Depth=3
	s_or_b32 exec_lo, exec_lo, s77
	v_add_nc_u32_e32 v2, 0xffffff81, v106
	v_lshrrev_b32_e32 v18, 23, v56
	s_mov_b32 s14, exec_lo
	s_delay_alu instid0(VALU_DEP_2) | instskip(NEXT) | instid1(VALU_DEP_1)
	v_cndmask_b32_e64 v2, v2, 0xffffff82, s13
	v_add3_u32 v59, v107, v2, v18
	v_and_b32_e32 v2, 0xfffff, v58
                                        ; implicit-def: $vgpr58
	s_delay_alu instid0(VALU_DEP_1) | instskip(NEXT) | instid1(VALU_DEP_1)
	v_dual_add_nc_u32 v106, 6, v59 :: v_dual_add_nc_u32 v2, v2, v56
                                        ; implicit-def: $vgpr56_vgpr57
	v_cmpx_ne_u32_e32 0, v106
	s_xor_b32 s14, exec_lo, s14
; %bb.3954:                             ;   in Loop: Header=BB2_3742 Depth=3
	s_delay_alu instid0(VALU_DEP_2) | instskip(SKIP_1) | instid1(VALU_DEP_1)
	v_cmp_lt_u64_e64 s13, 0xffffff, v[2:3]
	v_add_nc_u32_e32 v18, 7, v59
	v_cndmask_b32_e64 v58, v106, v18, s13
	v_cndmask_b32_e64 v18, 0, 1, s13
	s_delay_alu instid0(VALU_DEP_1)
	v_lshrrev_b64 v[56:57], v18, v[2:3]
; %bb.3955:                             ;   in Loop: Header=BB2_3742 Depth=3
	s_and_not1_saveexec_b32 s13, s14
; %bb.3956:                             ;   in Loop: Header=BB2_3742 Depth=3
	v_mov_b64_e32 v[56:57], v[2:3]
	v_bfe_u32 v58, v2, 23, 1
; %bb.3957:                             ;   in Loop: Header=BB2_3742 Depth=3
	s_or_b32 exec_lo, exec_lo, s13
	s_delay_alu instid0(VALU_DEP_2) | instskip(NEXT) | instid1(VALU_DEP_2)
	v_lshrrev_b64 v[56:57], 20, v[56:57]
	v_cmp_gt_i32_e64 s13, 16, v58
	v_min_i32_e32 v2, 15, v58
	v_cmp_eq_u32_e64 s14, 0, v58
	s_delay_alu instid0(VALU_DEP_2) | instskip(SKIP_1) | instid1(VALU_DEP_2)
	v_dual_cndmask_b32 v57, 0, v57, s13 :: v_dual_lshlrev_b32 v2, 3, v2
	v_cndmask_b32_e64 v56, 7, v56, s13
	v_and_b32_e32 v2, 0xf8, v2
	s_delay_alu instid0(VALU_DEP_2) | instskip(NEXT) | instid1(VALU_DEP_2)
	v_cmp_eq_u64_e64 s13, 0, v[56:57]
	v_and_or_b32 v2, v56, 7, v2
	s_and_b32 s13, s14, s13
	s_delay_alu instid0(VALU_DEP_1) | instid1(SALU_CYCLE_1)
	v_cndmask_b32_e64 v2, v2, 0, s13
	s_delay_alu instid0(VALU_DEP_1)
	v_or_b32_e32 v58, v2, v105
.LBB2_3958:                             ;   in Loop: Header=BB2_3742 Depth=3
	s_or_b32 exec_lo, exec_lo, s76
                                        ; implicit-def: $vgpr105
.LBB2_3959:                             ;   in Loop: Header=BB2_3742 Depth=3
	s_and_not1_saveexec_b32 s13, s75
; %bb.3960:                             ;   in Loop: Header=BB2_3742 Depth=3
	v_or_b32_e32 v58, 0x7e, v105
; %bb.3961:                             ;   in Loop: Header=BB2_3742 Depth=3
	s_or_b32 exec_lo, exec_lo, s13
                                        ; implicit-def: $vgpr57
.LBB2_3962:                             ;   in Loop: Header=BB2_3742 Depth=3
	s_and_not1_saveexec_b32 s13, s15
; %bb.3963:                             ;   in Loop: Header=BB2_3742 Depth=3
	v_or_b32_e32 v58, 0x7f, v57
; %bb.3964:                             ;   in Loop: Header=BB2_3742 Depth=3
	s_or_b32 exec_lo, exec_lo, s13
	v_cmp_lt_u64_e64 s13, s[22:23], v[12:13]
	v_mov_b32_e32 v12, 0
	s_and_saveexec_b32 s14, s13
	s_cbranch_execz .LBB2_3972
; %bb.3965:                             ;   in Loop: Header=BB2_3742 Depth=3
	v_lshrrev_b32_e32 v56, 24, v13
	v_bfrev_b32_e32 v12, 1
	s_mov_b32 s15, exec_lo
	s_delay_alu instid0(VALU_DEP_2)
	v_cmpx_ne_u32_e32 0x80, v56
	s_cbranch_execz .LBB2_3971
; %bb.3966:                             ;   in Loop: Header=BB2_3742 Depth=3
	v_bfe_u32 v13, v13, 24, 7
	v_mov_b32_e32 v12, 0x7f800001
	s_mov_b32 s75, exec_lo
	s_delay_alu instid0(VALU_DEP_2)
	v_cmpx_ne_u32_e32 0x7f, v13
	s_cbranch_execz .LBB2_3970
; %bb.3967:                             ;   in Loop: Header=BB2_3742 Depth=3
	v_dual_lshrrev_b32 v12, 3, v13 :: v_dual_bitop2_b32 v2, 7, v56 bitop3:0x40
	s_mov_b32 s76, exec_lo
	v_cmpx_gt_u32_e32 8, v13
; %bb.3968:                             ;   in Loop: Header=BB2_3742 Depth=3
	s_delay_alu instid0(VALU_DEP_2) | instskip(NEXT) | instid1(VALU_DEP_1)
	v_clz_i32_u32_e32 v12, v2
	v_min_u32_e32 v12, 32, v12
	s_delay_alu instid0(VALU_DEP_1) | instskip(NEXT) | instid1(VALU_DEP_1)
	v_subrev_nc_u32_e32 v13, 28, v12
	v_lshlrev_b64_e32 v[106:107], v13, v[2:3]
	s_delay_alu instid0(VALU_DEP_1)
	v_dual_sub_nc_u32 v12, 29, v12 :: v_dual_bitop2_b32 v2, 7, v106 bitop3:0x40
; %bb.3969:                             ;   in Loop: Header=BB2_3742 Depth=3
	s_or_b32 exec_lo, exec_lo, s76
	s_delay_alu instid0(VALU_DEP_1) | instskip(NEXT) | instid1(VALU_DEP_2)
	v_dual_lshlrev_b32 v13, 24, v56 :: v_dual_lshlrev_b32 v2, 20, v2
	v_lshl_add_u32 v12, v12, 23, 0x3c000000
	s_delay_alu instid0(VALU_DEP_2) | instskip(NEXT) | instid1(VALU_DEP_1)
	v_and_b32_e32 v13, 0x80000000, v13
	v_or3_b32 v12, v2, v13, v12
.LBB2_3970:                             ;   in Loop: Header=BB2_3742 Depth=3
	s_or_b32 exec_lo, exec_lo, s75
.LBB2_3971:                             ;   in Loop: Header=BB2_3742 Depth=3
	s_delay_alu instid0(SALU_CYCLE_1)
	s_or_b32 exec_lo, exec_lo, s15
.LBB2_3972:                             ;   in Loop: Header=BB2_3742 Depth=3
	s_delay_alu instid0(SALU_CYCLE_1) | instskip(SKIP_3) | instid1(VALU_DEP_3)
	s_or_b32 exec_lo, exec_lo, s14
	v_lshrrev_b32_e32 v2, 24, v9
	v_bfe_u32 v13, v9, 24, 7
	v_cmp_gt_u64_e64 s15, s[24:25], v[8:9]
	v_cmp_eq_u32_e64 s14, 0x80, v2
	s_delay_alu instid0(VALU_DEP_3) | instskip(NEXT) | instid1(VALU_DEP_2)
	v_cmp_eq_u32_e64 s13, 0x7f, v13
	v_cndmask_b32_e64 v18, 0x7f800001, v77, s14
	s_or_b32 s13, s14, s13
	s_delay_alu instid0(SALU_CYCLE_1) | instskip(NEXT) | instid1(VALU_DEP_1)
	s_nor_b32 s13, s15, s13
	v_cndmask_b32_e64 v8, v18, 0, s15
	s_and_saveexec_b32 s14, s13
	s_cbranch_execz .LBB2_3974
; %bb.3973:                             ;   in Loop: Header=BB2_3742 Depth=3
	v_and_b32_e32 v18, 7, v2
	v_cmp_gt_u32_e64 s13, 8, v13
	s_delay_alu instid0(VALU_DEP_2) | instskip(NEXT) | instid1(VALU_DEP_1)
	v_clz_i32_u32_e32 v8, v18
	v_min_u32_e32 v19, 32, v8
	s_delay_alu instid0(VALU_DEP_1) | instskip(NEXT) | instid1(VALU_DEP_1)
	v_subrev_nc_u32_e32 v8, 28, v19
	v_lshlrev_b64_e32 v[8:9], v8, v[2:3]
	v_dual_lshrrev_b32 v9, 3, v13 :: v_dual_sub_nc_u32 v19, 29, v19
	s_delay_alu instid0(VALU_DEP_2) | instskip(NEXT) | instid1(VALU_DEP_1)
	v_dual_lshlrev_b32 v2, 24, v2 :: v_dual_bitop2_b32 v8, 7, v8 bitop3:0x40
	v_dual_cndmask_b32 v9, v9, v19, s13 :: v_dual_cndmask_b32 v8, v18, v8, s13
	s_delay_alu instid0(VALU_DEP_2) | instskip(NEXT) | instid1(VALU_DEP_2)
	v_and_b32_e32 v2, 0x80000000, v2
	v_lshl_add_u32 v9, v9, 23, 0x3c000000
	s_delay_alu instid0(VALU_DEP_3) | instskip(NEXT) | instid1(VALU_DEP_1)
	v_lshlrev_b32_e32 v8, 20, v8
	v_or3_b32 v8, v8, v2, v9
.LBB2_3974:                             ;   in Loop: Header=BB2_3742 Depth=3
	s_or_b32 exec_lo, exec_lo, s14
	s_delay_alu instid0(VALU_DEP_1) | instskip(SKIP_1) | instid1(VALU_DEP_1)
	v_add_f32_e32 v8, v12, v8
                                        ; implicit-def: $vgpr59
	s_mov_b32 s14, exec_lo
	v_and_b32_e32 v2, 0x7f800000, v8
	v_lshrrev_b32_e32 v9, 24, v8
	s_delay_alu instid0(VALU_DEP_2)
	v_cmpx_ne_u64_e32 0x7f800000, v[2:3]
	s_xor_b32 s15, exec_lo, s14
	s_cbranch_execz .LBB2_3988
; %bb.3975:                             ;   in Loop: Header=BB2_3742 Depth=3
	v_and_b32_e32 v2, 0x7fffffff, v8
	v_and_b32_e32 v56, 0x80, v9
                                        ; implicit-def: $vgpr59
	s_mov_b32 s14, exec_lo
	s_delay_alu instid0(VALU_DEP_2)
	v_cmpx_gt_u64_e32 0x43e00001, v[2:3]
	s_xor_b32 s75, exec_lo, s14
	s_cbranch_execz .LBB2_3985
; %bb.3976:                             ;   in Loop: Header=BB2_3742 Depth=3
	v_mov_b32_e32 v59, 0
	s_mov_b32 s76, exec_lo
	v_cmpx_ne_u32_e32 0, v8
	s_cbranch_execz .LBB2_3984
; %bb.3977:                             ;   in Loop: Header=BB2_3742 Depth=3
	v_bfe_u32 v57, v8, 23, 8
	s_delay_alu instid0(VALU_DEP_1) | instskip(SKIP_1) | instid1(VALU_DEP_1)
	v_sub_nc_u32_e32 v2, 0x79, v57
	v_cmp_gt_u32_e64 s13, 0x7a, v57
	v_cndmask_b32_e64 v2, 0, v2, s13
	v_cmp_eq_u32_e64 s13, 0, v57
	s_delay_alu instid0(VALU_DEP_1) | instskip(SKIP_1) | instid1(VALU_DEP_2)
	v_cndmask_b32_e64 v59, v2, 0x78, s13
	v_and_b32_e32 v2, 0x7fffff, v8
	v_add_nc_u32_e32 v8, 20, v59
	s_delay_alu instid0(VALU_DEP_2) | instskip(SKIP_1) | instid1(VALU_DEP_3)
	v_or_b32_e32 v12, 0x800000, v2
	v_add_nc_u32_e32 v13, 19, v59
	v_lshlrev_b64_e64 v[8:9], v8, -1
	s_delay_alu instid0(VALU_DEP_3) | instskip(NEXT) | instid1(VALU_DEP_3)
	v_cndmask_b32_e64 v2, v12, v2, s13
	v_lshlrev_b64_e64 v[12:13], v13, 1
	s_delay_alu instid0(VALU_DEP_3) | instskip(NEXT) | instid1(VALU_DEP_3)
	v_bfi_b32 v107, v9, 0, 0
	v_bfi_b32 v106, v8, 0, v2
	v_lshrrev_b64 v[8:9], v59, v[2:3]
	s_delay_alu instid0(VALU_DEP_2) | instskip(NEXT) | instid1(VALU_DEP_2)
	v_cmp_eq_u64_e64 s14, v[106:107], v[12:13]
	v_mov_b64_e32 v[12:13], v[8:9]
	s_and_saveexec_b32 s77, s14
; %bb.3978:                             ;   in Loop: Header=BB2_3742 Depth=3
	v_bfe_u32 v2, v8, 20, 1
	s_delay_alu instid0(VALU_DEP_1) | instskip(NEXT) | instid1(VALU_DEP_1)
	v_add_nc_u64_e32 v[12:13], v[8:9], v[2:3]
	v_add_nc_u64_e32 v[12:13], -1, v[12:13]
; %bb.3979:                             ;   in Loop: Header=BB2_3742 Depth=3
	s_or_b32 exec_lo, exec_lo, s77
	v_add_nc_u32_e32 v2, 0xffffff81, v57
	v_lshrrev_b32_e32 v9, 23, v8
	s_mov_b32 s14, exec_lo
	s_delay_alu instid0(VALU_DEP_2) | instskip(NEXT) | instid1(VALU_DEP_1)
	v_cndmask_b32_e64 v2, v2, 0xffffff82, s13
	v_add3_u32 v13, v59, v2, v9
	v_and_b32_e32 v2, 0xfffff, v12
                                        ; implicit-def: $vgpr12
	s_delay_alu instid0(VALU_DEP_1) | instskip(NEXT) | instid1(VALU_DEP_1)
	v_dual_add_nc_u32 v57, 6, v13 :: v_dual_add_nc_u32 v2, v2, v8
                                        ; implicit-def: $vgpr8_vgpr9
	v_cmpx_ne_u32_e32 0, v57
	s_xor_b32 s14, exec_lo, s14
; %bb.3980:                             ;   in Loop: Header=BB2_3742 Depth=3
	s_delay_alu instid0(VALU_DEP_2) | instskip(SKIP_1) | instid1(VALU_DEP_1)
	v_cmp_lt_u64_e64 s13, 0xffffff, v[2:3]
	v_add_nc_u32_e32 v8, 7, v13
	v_cndmask_b32_e64 v12, v57, v8, s13
	v_cndmask_b32_e64 v8, 0, 1, s13
	s_delay_alu instid0(VALU_DEP_1)
	v_lshrrev_b64 v[8:9], v8, v[2:3]
; %bb.3981:                             ;   in Loop: Header=BB2_3742 Depth=3
	s_and_not1_saveexec_b32 s13, s14
; %bb.3982:                             ;   in Loop: Header=BB2_3742 Depth=3
	v_mov_b64_e32 v[8:9], v[2:3]
	v_bfe_u32 v12, v2, 23, 1
; %bb.3983:                             ;   in Loop: Header=BB2_3742 Depth=3
	s_or_b32 exec_lo, exec_lo, s13
	s_delay_alu instid0(VALU_DEP_2) | instskip(NEXT) | instid1(VALU_DEP_2)
	v_lshrrev_b64 v[8:9], 20, v[8:9]
	v_cmp_gt_i32_e64 s13, 16, v12
	v_min_i32_e32 v2, 15, v12
	v_cmp_eq_u32_e64 s14, 0, v12
	s_delay_alu instid0(VALU_DEP_2) | instskip(SKIP_1) | instid1(VALU_DEP_2)
	v_dual_cndmask_b32 v9, 0, v9, s13 :: v_dual_lshlrev_b32 v2, 3, v2
	v_cndmask_b32_e64 v8, 7, v8, s13
	v_and_b32_e32 v2, 0xf8, v2
	s_delay_alu instid0(VALU_DEP_2) | instskip(NEXT) | instid1(VALU_DEP_2)
	v_cmp_eq_u64_e64 s13, 0, v[8:9]
	v_and_or_b32 v2, v8, 7, v2
	s_and_b32 s13, s14, s13
	s_delay_alu instid0(VALU_DEP_1) | instid1(SALU_CYCLE_1)
	v_cndmask_b32_e64 v2, v2, 0, s13
	s_delay_alu instid0(VALU_DEP_1)
	v_or_b32_e32 v59, v2, v56
.LBB2_3984:                             ;   in Loop: Header=BB2_3742 Depth=3
	s_or_b32 exec_lo, exec_lo, s76
                                        ; implicit-def: $vgpr56
.LBB2_3985:                             ;   in Loop: Header=BB2_3742 Depth=3
	s_and_not1_saveexec_b32 s13, s75
; %bb.3986:                             ;   in Loop: Header=BB2_3742 Depth=3
	v_or_b32_e32 v59, 0x7e, v56
; %bb.3987:                             ;   in Loop: Header=BB2_3742 Depth=3
	s_or_b32 exec_lo, exec_lo, s13
                                        ; implicit-def: $vgpr9
.LBB2_3988:                             ;   in Loop: Header=BB2_3742 Depth=3
	s_and_not1_saveexec_b32 s13, s15
; %bb.3989:                             ;   in Loop: Header=BB2_3742 Depth=3
	v_or_b32_e32 v59, 0x7f, v9
; %bb.3990:                             ;   in Loop: Header=BB2_3742 Depth=3
	s_or_b32 exec_lo, exec_lo, s13
	v_and_b32_e32 v8, 0xff, v14
	v_mov_b32_e32 v2, 0
	s_mov_b32 s14, exec_lo
	s_delay_alu instid0(VALU_DEP_2)
	v_cmpx_ne_u16_e32 0, v8
	s_cbranch_execz .LBB2_3996
; %bb.3991:                             ;   in Loop: Header=BB2_3742 Depth=3
	v_bfrev_b32_e32 v2, 1
	s_mov_b32 s15, exec_lo
	v_cmpx_ne_u16_e32 0x80, v8
	s_cbranch_execz .LBB2_3995
; %bb.3992:                             ;   in Loop: Header=BB2_3742 Depth=3
	v_and_b32_e32 v8, 0x7f, v14
	v_mov_b32_e32 v2, 0x7f800001
	s_mov_b32 s75, exec_lo
	s_delay_alu instid0(VALU_DEP_2)
	v_cmpx_ne_u32_e32 0x7f, v8
	s_cbranch_execz .LBB2_3994
; %bb.3993:                             ;   in Loop: Header=BB2_3742 Depth=3
	v_dual_lshrrev_b32 v9, 3, v8 :: v_dual_bitop2_b32 v2, 7, v14 bitop3:0x40
	v_cmp_gt_u32_e64 s13, 8, v8
	s_delay_alu instid0(VALU_DEP_2) | instskip(NEXT) | instid1(VALU_DEP_1)
	v_clz_i32_u32_e32 v2, v2
	v_min_u32_e32 v2, 32, v2
	s_delay_alu instid0(VALU_DEP_1) | instskip(NEXT) | instid1(VALU_DEP_1)
	v_subrev_nc_u32_e32 v12, 28, v2
	v_dual_sub_nc_u32 v2, 29, v2 :: v_dual_cndmask_b32 v8, 0, v12, s13
	s_delay_alu instid0(VALU_DEP_1) | instskip(NEXT) | instid1(VALU_DEP_2)
	v_cndmask_b32_e64 v2, v9, v2, s13
	v_lshlrev_b64_e32 v[8:9], v8, v[14:15]
	v_lshlrev_b32_e32 v9, 24, v14
	s_delay_alu instid0(VALU_DEP_1) | instskip(NEXT) | instid1(VALU_DEP_3)
	v_and_b32_e32 v9, 0x80000000, v9
	v_lshlrev_b32_e32 v8, 20, v8
	v_lshl_add_u32 v2, v2, 23, 0x3c000000
	s_delay_alu instid0(VALU_DEP_2) | instskip(NEXT) | instid1(VALU_DEP_1)
	v_and_b32_e32 v8, 0x700000, v8
	v_or3_b32 v2, v8, v9, v2
.LBB2_3994:                             ;   in Loop: Header=BB2_3742 Depth=3
	s_or_b32 exec_lo, exec_lo, s75
.LBB2_3995:                             ;   in Loop: Header=BB2_3742 Depth=3
	s_delay_alu instid0(SALU_CYCLE_1)
	s_or_b32 exec_lo, exec_lo, s15
.LBB2_3996:                             ;   in Loop: Header=BB2_3742 Depth=3
	s_delay_alu instid0(SALU_CYCLE_1) | instskip(SKIP_3) | instid1(VALU_DEP_1)
	s_or_b32 exec_lo, exec_lo, s14
	v_and_b32_e32 v9, 0xff, v10
	s_mov_b32 s14, 0
	s_mov_b32 s15, exec_lo
	v_cmpx_lt_i16_e32 0x7f, v9
	s_xor_b32 s15, exec_lo, s15
	s_cbranch_execz .LBB2_4031
; %bb.3997:                             ;   in Loop: Header=BB2_3742 Depth=3
	s_mov_b32 s14, -1
	s_mov_b32 s75, exec_lo
	v_cmpx_eq_u16_e32 0x80, v9
; %bb.3998:                             ;   in Loop: Header=BB2_3742 Depth=3
	s_xor_b32 s14, exec_lo, -1
; %bb.3999:                             ;   in Loop: Header=BB2_3742 Depth=3
	s_or_b32 exec_lo, exec_lo, s75
	s_delay_alu instid0(SALU_CYCLE_1)
	s_and_b32 s14, s14, exec_lo
                                        ; implicit-def: $vgpr9
	s_or_saveexec_b32 s15, s15
	v_bfrev_b32_e32 v8, 1
	s_xor_b32 exec_lo, exec_lo, s15
	s_cbranch_execnz .LBB2_4032
.LBB2_4000:                             ;   in Loop: Header=BB2_3742 Depth=3
	s_or_b32 exec_lo, exec_lo, s15
	s_and_saveexec_b32 s15, s14
	s_cbranch_execz .LBB2_4002
.LBB2_4001:                             ;   in Loop: Header=BB2_3742 Depth=3
	v_and_b32_e32 v8, 7, v10
	v_and_b32_e32 v12, 0x7f, v10
	v_bfe_u32 v9, v10, 3, 4
	s_delay_alu instid0(VALU_DEP_3) | instskip(NEXT) | instid1(VALU_DEP_3)
	v_clz_i32_u32_e32 v8, v8
	v_cmp_gt_u32_e64 s13, 8, v12
	s_delay_alu instid0(VALU_DEP_2) | instskip(NEXT) | instid1(VALU_DEP_1)
	v_min_u32_e32 v8, 32, v8
	v_subrev_nc_u32_e32 v13, 28, v8
	v_sub_nc_u32_e32 v8, 29, v8
	s_delay_alu instid0(VALU_DEP_1) | instskip(SKIP_1) | instid1(VALU_DEP_2)
	v_dual_cndmask_b32 v18, v9, v8, s13 :: v_dual_cndmask_b32 v8, 0, v13, s13
	v_cmp_ne_u32_e64 s13, 0x7f, v12
	v_lshl_add_u32 v13, v18, 23, 0x3c000000
	s_delay_alu instid0(VALU_DEP_3) | instskip(SKIP_1) | instid1(VALU_DEP_1)
	v_lshlrev_b64_e32 v[8:9], v8, v[10:11]
	v_lshlrev_b32_e32 v9, 24, v10
	v_and_b32_e32 v9, 0x80000000, v9
	s_delay_alu instid0(VALU_DEP_3) | instskip(NEXT) | instid1(VALU_DEP_1)
	v_lshlrev_b32_e32 v8, 20, v8
	v_and_b32_e32 v8, 0x700000, v8
	s_delay_alu instid0(VALU_DEP_1) | instskip(NEXT) | instid1(VALU_DEP_1)
	v_or3_b32 v8, v8, v9, v13
	v_cndmask_b32_e64 v8, 0x7f800001, v8, s13
.LBB2_4002:                             ;   in Loop: Header=BB2_3742 Depth=3
	s_or_b32 exec_lo, exec_lo, s15
	s_delay_alu instid0(VALU_DEP_1) | instskip(SKIP_1) | instid1(VALU_DEP_1)
	v_add_f32_e32 v8, v2, v8
                                        ; implicit-def: $vgpr105
	s_mov_b32 s14, exec_lo
	v_and_b32_e32 v2, 0x7f800000, v8
	v_lshrrev_b32_e32 v9, 24, v8
	s_delay_alu instid0(VALU_DEP_2)
	v_cmpx_ne_u64_e32 0x7f800000, v[2:3]
	s_xor_b32 s15, exec_lo, s14
	s_cbranch_execz .LBB2_4016
; %bb.4003:                             ;   in Loop: Header=BB2_3742 Depth=3
	v_and_b32_e32 v2, 0x7fffffff, v8
	v_and_b32_e32 v56, 0x80, v9
                                        ; implicit-def: $vgpr105
	s_mov_b32 s14, exec_lo
	s_delay_alu instid0(VALU_DEP_2)
	v_cmpx_gt_u64_e32 0x43e00001, v[2:3]
	s_xor_b32 s75, exec_lo, s14
	s_cbranch_execz .LBB2_4013
; %bb.4004:                             ;   in Loop: Header=BB2_3742 Depth=3
	v_mov_b32_e32 v105, 0
	s_mov_b32 s76, exec_lo
	v_cmpx_ne_u32_e32 0, v8
	s_cbranch_execz .LBB2_4012
; %bb.4005:                             ;   in Loop: Header=BB2_3742 Depth=3
	v_bfe_u32 v57, v8, 23, 8
	s_delay_alu instid0(VALU_DEP_1) | instskip(SKIP_1) | instid1(VALU_DEP_1)
	v_sub_nc_u32_e32 v2, 0x79, v57
	v_cmp_gt_u32_e64 s13, 0x7a, v57
	v_cndmask_b32_e64 v2, 0, v2, s13
	v_cmp_eq_u32_e64 s13, 0, v57
	s_delay_alu instid0(VALU_DEP_1) | instskip(SKIP_1) | instid1(VALU_DEP_2)
	v_cndmask_b32_e64 v105, v2, 0x78, s13
	v_and_b32_e32 v2, 0x7fffff, v8
	v_add_nc_u32_e32 v8, 20, v105
	s_delay_alu instid0(VALU_DEP_2) | instskip(SKIP_1) | instid1(VALU_DEP_3)
	v_or_b32_e32 v12, 0x800000, v2
	v_add_nc_u32_e32 v13, 19, v105
	v_lshlrev_b64_e64 v[8:9], v8, -1
	s_delay_alu instid0(VALU_DEP_3) | instskip(NEXT) | instid1(VALU_DEP_3)
	v_cndmask_b32_e64 v2, v12, v2, s13
	v_lshlrev_b64_e64 v[12:13], v13, 1
	s_delay_alu instid0(VALU_DEP_3) | instskip(NEXT) | instid1(VALU_DEP_3)
	v_bfi_b32 v107, v9, 0, 0
	v_bfi_b32 v106, v8, 0, v2
	v_lshrrev_b64 v[8:9], v105, v[2:3]
	s_delay_alu instid0(VALU_DEP_2) | instskip(NEXT) | instid1(VALU_DEP_2)
	v_cmp_eq_u64_e64 s14, v[106:107], v[12:13]
	v_mov_b64_e32 v[12:13], v[8:9]
	s_and_saveexec_b32 s77, s14
; %bb.4006:                             ;   in Loop: Header=BB2_3742 Depth=3
	v_bfe_u32 v2, v8, 20, 1
	s_delay_alu instid0(VALU_DEP_1) | instskip(NEXT) | instid1(VALU_DEP_1)
	v_add_nc_u64_e32 v[12:13], v[8:9], v[2:3]
	v_add_nc_u64_e32 v[12:13], -1, v[12:13]
; %bb.4007:                             ;   in Loop: Header=BB2_3742 Depth=3
	s_or_b32 exec_lo, exec_lo, s77
	v_add_nc_u32_e32 v2, 0xffffff81, v57
	v_lshrrev_b32_e32 v9, 23, v8
	s_mov_b32 s14, exec_lo
	s_delay_alu instid0(VALU_DEP_2) | instskip(NEXT) | instid1(VALU_DEP_1)
	v_cndmask_b32_e64 v2, v2, 0xffffff82, s13
	v_add3_u32 v13, v105, v2, v9
	v_and_b32_e32 v2, 0xfffff, v12
                                        ; implicit-def: $vgpr12
	s_delay_alu instid0(VALU_DEP_1) | instskip(NEXT) | instid1(VALU_DEP_1)
	v_dual_add_nc_u32 v57, 6, v13 :: v_dual_add_nc_u32 v2, v2, v8
                                        ; implicit-def: $vgpr8_vgpr9
	v_cmpx_ne_u32_e32 0, v57
	s_xor_b32 s14, exec_lo, s14
; %bb.4008:                             ;   in Loop: Header=BB2_3742 Depth=3
	s_delay_alu instid0(VALU_DEP_2) | instskip(SKIP_1) | instid1(VALU_DEP_1)
	v_cmp_lt_u64_e64 s13, 0xffffff, v[2:3]
	v_add_nc_u32_e32 v8, 7, v13
	v_cndmask_b32_e64 v12, v57, v8, s13
	v_cndmask_b32_e64 v8, 0, 1, s13
	s_delay_alu instid0(VALU_DEP_1)
	v_lshrrev_b64 v[8:9], v8, v[2:3]
; %bb.4009:                             ;   in Loop: Header=BB2_3742 Depth=3
	s_and_not1_saveexec_b32 s13, s14
; %bb.4010:                             ;   in Loop: Header=BB2_3742 Depth=3
	v_mov_b64_e32 v[8:9], v[2:3]
	v_bfe_u32 v12, v2, 23, 1
; %bb.4011:                             ;   in Loop: Header=BB2_3742 Depth=3
	s_or_b32 exec_lo, exec_lo, s13
	s_delay_alu instid0(VALU_DEP_2) | instskip(NEXT) | instid1(VALU_DEP_2)
	v_lshrrev_b64 v[8:9], 20, v[8:9]
	v_cmp_gt_i32_e64 s13, 16, v12
	v_min_i32_e32 v2, 15, v12
	v_cmp_eq_u32_e64 s14, 0, v12
	s_delay_alu instid0(VALU_DEP_2) | instskip(SKIP_1) | instid1(VALU_DEP_2)
	v_dual_cndmask_b32 v9, 0, v9, s13 :: v_dual_lshlrev_b32 v2, 3, v2
	v_cndmask_b32_e64 v8, 7, v8, s13
	v_and_b32_e32 v2, 0xf8, v2
	s_delay_alu instid0(VALU_DEP_2) | instskip(NEXT) | instid1(VALU_DEP_2)
	v_cmp_eq_u64_e64 s13, 0, v[8:9]
	v_and_or_b32 v2, v8, 7, v2
	s_and_b32 s13, s14, s13
	s_delay_alu instid0(VALU_DEP_1) | instid1(SALU_CYCLE_1)
	v_cndmask_b32_e64 v2, v2, 0, s13
	s_delay_alu instid0(VALU_DEP_1)
	v_or_b32_e32 v105, v2, v56
.LBB2_4012:                             ;   in Loop: Header=BB2_3742 Depth=3
	s_or_b32 exec_lo, exec_lo, s76
                                        ; implicit-def: $vgpr56
.LBB2_4013:                             ;   in Loop: Header=BB2_3742 Depth=3
	s_and_not1_saveexec_b32 s13, s75
; %bb.4014:                             ;   in Loop: Header=BB2_3742 Depth=3
	v_or_b32_e32 v105, 0x7e, v56
; %bb.4015:                             ;   in Loop: Header=BB2_3742 Depth=3
	s_or_b32 exec_lo, exec_lo, s13
                                        ; implicit-def: $vgpr9
.LBB2_4016:                             ;   in Loop: Header=BB2_3742 Depth=3
	s_and_not1_saveexec_b32 s13, s15
; %bb.4017:                             ;   in Loop: Header=BB2_3742 Depth=3
	v_or_b32_e32 v105, 0x7f, v9
; %bb.4018:                             ;   in Loop: Header=BB2_3742 Depth=3
	s_or_b32 exec_lo, exec_lo, s13
	v_lshrrev_b16 v2, 8, v14
	v_mov_b32_e32 v8, 0
	s_mov_b32 s14, exec_lo
	s_delay_alu instid0(VALU_DEP_2)
	v_cmpx_ne_u16_e32 0, v2
	s_cbranch_execz .LBB2_4026
; %bb.4019:                             ;   in Loop: Header=BB2_3742 Depth=3
	v_bfrev_b32_e32 v8, 1
	s_mov_b32 s15, exec_lo
	v_cmpx_ne_u16_e32 0x80, v2
	s_cbranch_execz .LBB2_4025
; %bb.4020:                             ;   in Loop: Header=BB2_3742 Depth=3
	v_and_b32_e32 v2, 0xffff, v2
	v_mov_b32_e32 v8, 0x7f800001
	s_mov_b32 s75, exec_lo
	s_delay_alu instid0(VALU_DEP_2) | instskip(NEXT) | instid1(VALU_DEP_1)
	v_and_b32_e32 v9, 0x7f, v2
	v_cmpx_ne_u32_e32 0x7f, v9
	s_cbranch_execz .LBB2_4024
; %bb.4021:                             ;   in Loop: Header=BB2_3742 Depth=3
	v_dual_lshrrev_b32 v8, 3, v9 :: v_dual_bitop2_b32 v2, 7, v2 bitop3:0x40
	s_mov_b32 s76, exec_lo
	v_cmpx_gt_u32_e32 8, v9
; %bb.4022:                             ;   in Loop: Header=BB2_3742 Depth=3
	s_delay_alu instid0(VALU_DEP_2) | instskip(NEXT) | instid1(VALU_DEP_1)
	v_clz_i32_u32_e32 v8, v2
	v_min_u32_e32 v8, 32, v8
	s_delay_alu instid0(VALU_DEP_1) | instskip(SKIP_1) | instid1(VALU_DEP_2)
	v_subrev_nc_u32_e32 v9, 28, v8
	v_sub_nc_u32_e32 v8, 29, v8
	v_lshlrev_b64_e32 v[12:13], v9, v[2:3]
	s_delay_alu instid0(VALU_DEP_1)
	v_and_b32_e32 v2, 7, v12
; %bb.4023:                             ;   in Loop: Header=BB2_3742 Depth=3
	s_or_b32 exec_lo, exec_lo, s76
	v_lshlrev_b32_e32 v9, 16, v14
	s_delay_alu instid0(VALU_DEP_2) | instskip(SKIP_1) | instid1(VALU_DEP_3)
	v_lshlrev_b32_e32 v2, 20, v2
	v_lshl_add_u32 v8, v8, 23, 0x3c000000
	v_and_b32_e32 v9, 0x80000000, v9
	s_delay_alu instid0(VALU_DEP_1)
	v_or3_b32 v8, v2, v9, v8
.LBB2_4024:                             ;   in Loop: Header=BB2_3742 Depth=3
	s_or_b32 exec_lo, exec_lo, s75
.LBB2_4025:                             ;   in Loop: Header=BB2_3742 Depth=3
	s_delay_alu instid0(SALU_CYCLE_1)
	s_or_b32 exec_lo, exec_lo, s15
.LBB2_4026:                             ;   in Loop: Header=BB2_3742 Depth=3
	s_delay_alu instid0(SALU_CYCLE_1) | instskip(SKIP_3) | instid1(VALU_DEP_1)
	s_or_b32 exec_lo, exec_lo, s14
	v_lshrrev_b16 v9, 8, v10
	s_mov_b32 s15, 0
	s_mov_b32 s14, exec_lo
	v_cmpx_lt_i16_e32 0x7f, v9
	s_xor_b32 s14, exec_lo, s14
	s_cbranch_execz .LBB2_4033
; %bb.4027:                             ;   in Loop: Header=BB2_3742 Depth=3
	s_mov_b32 s15, -1
	s_mov_b32 s75, exec_lo
	v_cmpx_eq_u16_e32 0x80, v9
; %bb.4028:                             ;   in Loop: Header=BB2_3742 Depth=3
	s_xor_b32 s15, exec_lo, -1
; %bb.4029:                             ;   in Loop: Header=BB2_3742 Depth=3
	s_or_b32 exec_lo, exec_lo, s75
	s_delay_alu instid0(SALU_CYCLE_1)
	s_and_b32 s15, s15, exec_lo
	s_or_saveexec_b32 s14, s14
	v_bfrev_b32_e32 v12, 1
	s_xor_b32 exec_lo, exec_lo, s14
	s_cbranch_execnz .LBB2_4034
.LBB2_4030:                             ;   in Loop: Header=BB2_3742 Depth=3
	s_or_b32 exec_lo, exec_lo, s14
	s_and_saveexec_b32 s14, s15
	s_cbranch_execnz .LBB2_4035
	s_branch .LBB2_4038
.LBB2_4031:                             ;   in Loop: Header=BB2_3742 Depth=3
	s_or_saveexec_b32 s15, s15
	v_bfrev_b32_e32 v8, 1
	s_xor_b32 exec_lo, exec_lo, s15
	s_cbranch_execz .LBB2_4000
.LBB2_4032:                             ;   in Loop: Header=BB2_3742 Depth=3
	v_cmp_ne_u16_e64 s13, 0, v9
	v_mov_b32_e32 v8, 0
	s_and_not1_b32 s14, s14, exec_lo
	s_and_b32 s13, s13, exec_lo
	s_delay_alu instid0(SALU_CYCLE_1)
	s_or_b32 s14, s14, s13
	s_or_b32 exec_lo, exec_lo, s15
	s_and_saveexec_b32 s15, s14
	s_cbranch_execnz .LBB2_4001
	s_branch .LBB2_4002
.LBB2_4033:                             ;   in Loop: Header=BB2_3742 Depth=3
	s_or_saveexec_b32 s14, s14
	v_bfrev_b32_e32 v12, 1
	s_xor_b32 exec_lo, exec_lo, s14
	s_cbranch_execz .LBB2_4030
.LBB2_4034:                             ;   in Loop: Header=BB2_3742 Depth=3
	v_cmp_ne_u16_e64 s13, 0, v9
	v_mov_b32_e32 v12, 0
	s_and_not1_b32 s15, s15, exec_lo
	s_and_b32 s13, s13, exec_lo
	s_delay_alu instid0(SALU_CYCLE_1)
	s_or_b32 s15, s15, s13
	s_or_b32 exec_lo, exec_lo, s14
	s_and_saveexec_b32 s14, s15
	s_cbranch_execz .LBB2_4038
.LBB2_4035:                             ;   in Loop: Header=BB2_3742 Depth=3
	v_and_b32_e32 v2, 0xffff, v9
	v_mov_b32_e32 v12, 0x7f800001
	s_mov_b32 s15, exec_lo
	s_delay_alu instid0(VALU_DEP_2) | instskip(NEXT) | instid1(VALU_DEP_1)
	v_and_b32_e32 v13, 0x7f, v2
	v_cmpx_ne_u32_e32 0x7f, v13
	s_cbranch_execz .LBB2_4037
; %bb.4036:                             ;   in Loop: Header=BB2_3742 Depth=3
	v_and_b32_e32 v12, 7, v2
	v_cmp_gt_u32_e64 s13, 8, v13
	s_delay_alu instid0(VALU_DEP_2) | instskip(NEXT) | instid1(VALU_DEP_1)
	v_clz_i32_u32_e32 v18, v12
	v_min_u32_e32 v18, 32, v18
	s_delay_alu instid0(VALU_DEP_1) | instskip(NEXT) | instid1(VALU_DEP_1)
	v_subrev_nc_u32_e32 v19, 28, v18
	v_lshlrev_b64_e32 v[56:57], v19, v[2:3]
	v_dual_lshrrev_b32 v2, 3, v13 :: v_dual_sub_nc_u32 v18, 29, v18
	s_delay_alu instid0(VALU_DEP_2) | instskip(NEXT) | instid1(VALU_DEP_1)
	v_dual_lshlrev_b32 v9, 24, v9 :: v_dual_bitop2_b32 v13, 7, v56 bitop3:0x40
	v_dual_cndmask_b32 v2, v2, v18, s13 :: v_dual_cndmask_b32 v12, v12, v13, s13
	s_delay_alu instid0(VALU_DEP_2) | instskip(NEXT) | instid1(VALU_DEP_2)
	v_and_b32_e32 v9, 0x80000000, v9
	v_lshl_add_u32 v2, v2, 23, 0x3c000000
	s_delay_alu instid0(VALU_DEP_3) | instskip(NEXT) | instid1(VALU_DEP_1)
	v_lshlrev_b32_e32 v12, 20, v12
	v_or3_b32 v12, v12, v9, v2
.LBB2_4037:                             ;   in Loop: Header=BB2_3742 Depth=3
	s_or_b32 exec_lo, exec_lo, s15
.LBB2_4038:                             ;   in Loop: Header=BB2_3742 Depth=3
	s_delay_alu instid0(SALU_CYCLE_1) | instskip(NEXT) | instid1(VALU_DEP_1)
	s_or_b32 exec_lo, exec_lo, s14
	v_add_f32_e32 v8, v8, v12
                                        ; implicit-def: $vgpr106
	s_mov_b32 s14, exec_lo
	s_delay_alu instid0(VALU_DEP_1) | instskip(SKIP_1) | instid1(VALU_DEP_2)
	v_and_b32_e32 v2, 0x7f800000, v8
	v_lshrrev_b32_e32 v9, 24, v8
	v_cmpx_ne_u64_e32 0x7f800000, v[2:3]
	s_xor_b32 s15, exec_lo, s14
	s_cbranch_execz .LBB2_4052
; %bb.4039:                             ;   in Loop: Header=BB2_3742 Depth=3
	v_and_b32_e32 v2, 0x7fffffff, v8
	v_and_b32_e32 v56, 0x80, v9
                                        ; implicit-def: $vgpr106
	s_mov_b32 s14, exec_lo
	s_delay_alu instid0(VALU_DEP_2)
	v_cmpx_gt_u64_e32 0x43e00001, v[2:3]
	s_xor_b32 s75, exec_lo, s14
	s_cbranch_execz .LBB2_4049
; %bb.4040:                             ;   in Loop: Header=BB2_3742 Depth=3
	v_mov_b32_e32 v106, 0
	s_mov_b32 s76, exec_lo
	v_cmpx_ne_u32_e32 0, v8
	s_cbranch_execz .LBB2_4048
; %bb.4041:                             ;   in Loop: Header=BB2_3742 Depth=3
	v_bfe_u32 v57, v8, 23, 8
	s_delay_alu instid0(VALU_DEP_1) | instskip(SKIP_1) | instid1(VALU_DEP_1)
	v_sub_nc_u32_e32 v2, 0x79, v57
	v_cmp_gt_u32_e64 s13, 0x7a, v57
	v_cndmask_b32_e64 v2, 0, v2, s13
	v_cmp_eq_u32_e64 s13, 0, v57
	s_delay_alu instid0(VALU_DEP_1) | instskip(SKIP_1) | instid1(VALU_DEP_2)
	v_cndmask_b32_e64 v106, v2, 0x78, s13
	v_and_b32_e32 v2, 0x7fffff, v8
	v_dual_add_nc_u32 v8, 20, v106 :: v_dual_add_nc_u32 v13, 19, v106
	s_delay_alu instid0(VALU_DEP_2) | instskip(NEXT) | instid1(VALU_DEP_2)
	v_or_b32_e32 v12, 0x800000, v2
	v_lshlrev_b64_e64 v[8:9], v8, -1
	s_delay_alu instid0(VALU_DEP_2) | instskip(NEXT) | instid1(VALU_DEP_4)
	v_cndmask_b32_e64 v2, v12, v2, s13
	v_lshlrev_b64_e64 v[12:13], v13, 1
	s_delay_alu instid0(VALU_DEP_3) | instskip(NEXT) | instid1(VALU_DEP_3)
	v_bfi_b32 v109, v9, 0, 0
	v_bfi_b32 v108, v8, 0, v2
	v_lshrrev_b64 v[8:9], v106, v[2:3]
	s_delay_alu instid0(VALU_DEP_2) | instskip(NEXT) | instid1(VALU_DEP_2)
	v_cmp_eq_u64_e64 s14, v[108:109], v[12:13]
	v_mov_b64_e32 v[12:13], v[8:9]
	s_and_saveexec_b32 s77, s14
; %bb.4042:                             ;   in Loop: Header=BB2_3742 Depth=3
	v_bfe_u32 v2, v8, 20, 1
	s_delay_alu instid0(VALU_DEP_1) | instskip(NEXT) | instid1(VALU_DEP_1)
	v_add_nc_u64_e32 v[12:13], v[8:9], v[2:3]
	v_add_nc_u64_e32 v[12:13], -1, v[12:13]
; %bb.4043:                             ;   in Loop: Header=BB2_3742 Depth=3
	s_or_b32 exec_lo, exec_lo, s77
	v_add_nc_u32_e32 v2, 0xffffff81, v57
	v_lshrrev_b32_e32 v9, 23, v8
	s_mov_b32 s14, exec_lo
	s_delay_alu instid0(VALU_DEP_2) | instskip(NEXT) | instid1(VALU_DEP_1)
	v_cndmask_b32_e64 v2, v2, 0xffffff82, s13
	v_add3_u32 v13, v106, v2, v9
	v_and_b32_e32 v2, 0xfffff, v12
                                        ; implicit-def: $vgpr12
	s_delay_alu instid0(VALU_DEP_1) | instskip(NEXT) | instid1(VALU_DEP_1)
	v_dual_add_nc_u32 v57, 6, v13 :: v_dual_add_nc_u32 v2, v2, v8
                                        ; implicit-def: $vgpr8_vgpr9
	v_cmpx_ne_u32_e32 0, v57
	s_xor_b32 s14, exec_lo, s14
; %bb.4044:                             ;   in Loop: Header=BB2_3742 Depth=3
	s_delay_alu instid0(VALU_DEP_2) | instskip(SKIP_1) | instid1(VALU_DEP_1)
	v_cmp_lt_u64_e64 s13, 0xffffff, v[2:3]
	v_add_nc_u32_e32 v8, 7, v13
	v_cndmask_b32_e64 v12, v57, v8, s13
	v_cndmask_b32_e64 v8, 0, 1, s13
	s_delay_alu instid0(VALU_DEP_1)
	v_lshrrev_b64 v[8:9], v8, v[2:3]
; %bb.4045:                             ;   in Loop: Header=BB2_3742 Depth=3
	s_and_not1_saveexec_b32 s13, s14
; %bb.4046:                             ;   in Loop: Header=BB2_3742 Depth=3
	v_mov_b64_e32 v[8:9], v[2:3]
	v_bfe_u32 v12, v2, 23, 1
; %bb.4047:                             ;   in Loop: Header=BB2_3742 Depth=3
	s_or_b32 exec_lo, exec_lo, s13
	s_delay_alu instid0(VALU_DEP_2) | instskip(NEXT) | instid1(VALU_DEP_2)
	v_lshrrev_b64 v[8:9], 20, v[8:9]
	v_cmp_gt_i32_e64 s13, 16, v12
	v_min_i32_e32 v2, 15, v12
	v_cmp_eq_u32_e64 s14, 0, v12
	s_delay_alu instid0(VALU_DEP_2) | instskip(SKIP_1) | instid1(VALU_DEP_2)
	v_dual_cndmask_b32 v9, 0, v9, s13 :: v_dual_lshlrev_b32 v2, 3, v2
	v_cndmask_b32_e64 v8, 7, v8, s13
	v_and_b32_e32 v2, 0xf8, v2
	s_delay_alu instid0(VALU_DEP_2) | instskip(NEXT) | instid1(VALU_DEP_2)
	v_cmp_eq_u64_e64 s13, 0, v[8:9]
	v_and_or_b32 v2, v8, 7, v2
	s_and_b32 s13, s14, s13
	s_delay_alu instid0(VALU_DEP_1) | instid1(SALU_CYCLE_1)
	v_cndmask_b32_e64 v2, v2, 0, s13
	s_delay_alu instid0(VALU_DEP_1)
	v_or_b32_e32 v106, v2, v56
.LBB2_4048:                             ;   in Loop: Header=BB2_3742 Depth=3
	s_or_b32 exec_lo, exec_lo, s76
                                        ; implicit-def: $vgpr56
.LBB2_4049:                             ;   in Loop: Header=BB2_3742 Depth=3
	s_and_not1_saveexec_b32 s13, s75
; %bb.4050:                             ;   in Loop: Header=BB2_3742 Depth=3
	v_or_b32_e32 v106, 0x7e, v56
; %bb.4051:                             ;   in Loop: Header=BB2_3742 Depth=3
	s_or_b32 exec_lo, exec_lo, s13
                                        ; implicit-def: $vgpr9
.LBB2_4052:                             ;   in Loop: Header=BB2_3742 Depth=3
	s_and_not1_saveexec_b32 s13, s15
; %bb.4053:                             ;   in Loop: Header=BB2_3742 Depth=3
	v_or_b32_e32 v106, 0x7f, v9
; %bb.4054:                             ;   in Loop: Header=BB2_3742 Depth=3
	s_or_b32 exec_lo, exec_lo, s13
	v_dual_mov_b32 v8, 0 :: v_dual_lshrrev_b32 v9, 16, v14
	s_mov_b32 s14, exec_lo
	s_delay_alu instid0(VALU_DEP_1) | instskip(NEXT) | instid1(VALU_DEP_1)
	v_and_b32_e32 v2, 0xff, v9
	v_cmpx_ne_u16_e32 0, v2
	s_cbranch_execz .LBB2_4062
; %bb.4055:                             ;   in Loop: Header=BB2_3742 Depth=3
	v_bfrev_b32_e32 v8, 1
	s_mov_b32 s15, exec_lo
	v_cmpx_ne_u16_e32 0x80, v2
	s_cbranch_execz .LBB2_4061
; %bb.4056:                             ;   in Loop: Header=BB2_3742 Depth=3
	v_bfe_u32 v12, v14, 16, 7
	v_mov_b32_e32 v8, 0x7f800001
	s_mov_b32 s75, exec_lo
	s_delay_alu instid0(VALU_DEP_2)
	v_cmpx_ne_u32_e32 0x7f, v12
	s_cbranch_execz .LBB2_4060
; %bb.4057:                             ;   in Loop: Header=BB2_3742 Depth=3
	v_dual_lshrrev_b32 v8, 3, v12 :: v_dual_bitop2_b32 v2, 7, v9 bitop3:0x40
	s_mov_b32 s76, exec_lo
	v_cmpx_gt_u32_e32 8, v12
; %bb.4058:                             ;   in Loop: Header=BB2_3742 Depth=3
	s_delay_alu instid0(VALU_DEP_2) | instskip(NEXT) | instid1(VALU_DEP_1)
	v_clz_i32_u32_e32 v8, v2
	v_min_u32_e32 v8, 32, v8
	s_delay_alu instid0(VALU_DEP_1) | instskip(SKIP_1) | instid1(VALU_DEP_2)
	v_subrev_nc_u32_e32 v12, 28, v8
	v_sub_nc_u32_e32 v8, 29, v8
	v_lshlrev_b64_e32 v[12:13], v12, v[2:3]
	s_delay_alu instid0(VALU_DEP_1)
	v_and_b32_e32 v2, 7, v12
; %bb.4059:                             ;   in Loop: Header=BB2_3742 Depth=3
	s_or_b32 exec_lo, exec_lo, s76
	s_delay_alu instid0(VALU_DEP_1) | instskip(SKIP_1) | instid1(VALU_DEP_2)
	v_dual_lshlrev_b32 v9, 24, v9 :: v_dual_lshlrev_b32 v2, 20, v2
	v_lshl_add_u32 v8, v8, 23, 0x3c000000
	v_and_b32_e32 v9, 0x80000000, v9
	s_delay_alu instid0(VALU_DEP_1)
	v_or3_b32 v8, v2, v9, v8
.LBB2_4060:                             ;   in Loop: Header=BB2_3742 Depth=3
	s_or_b32 exec_lo, exec_lo, s75
.LBB2_4061:                             ;   in Loop: Header=BB2_3742 Depth=3
	s_delay_alu instid0(SALU_CYCLE_1)
	s_or_b32 exec_lo, exec_lo, s15
.LBB2_4062:                             ;   in Loop: Header=BB2_3742 Depth=3
	s_delay_alu instid0(SALU_CYCLE_1) | instskip(SKIP_3) | instid1(VALU_DEP_1)
	s_or_b32 exec_lo, exec_lo, s14
	v_lshrrev_b32_e32 v2, 16, v10
	s_mov_b32 s15, 0
	s_mov_b32 s14, exec_lo
	v_and_b32_e32 v12, 0xff, v2
	s_delay_alu instid0(VALU_DEP_1)
	v_cmpx_lt_i16_e32 0x7f, v12
	s_xor_b32 s14, exec_lo, s14
	s_cbranch_execz .LBB2_4067
; %bb.4063:                             ;   in Loop: Header=BB2_3742 Depth=3
	s_mov_b32 s15, -1
	s_mov_b32 s75, exec_lo
	v_cmpx_eq_u16_e32 0x80, v12
; %bb.4064:                             ;   in Loop: Header=BB2_3742 Depth=3
	s_xor_b32 s15, exec_lo, -1
; %bb.4065:                             ;   in Loop: Header=BB2_3742 Depth=3
	s_or_b32 exec_lo, exec_lo, s75
	s_delay_alu instid0(SALU_CYCLE_1)
	s_and_b32 s15, s15, exec_lo
                                        ; implicit-def: $vgpr12
	s_or_saveexec_b32 s14, s14
	v_bfrev_b32_e32 v9, 1
	s_xor_b32 exec_lo, exec_lo, s14
	s_cbranch_execnz .LBB2_4068
.LBB2_4066:                             ;   in Loop: Header=BB2_3742 Depth=3
	s_or_b32 exec_lo, exec_lo, s14
	s_and_saveexec_b32 s14, s15
	s_cbranch_execnz .LBB2_4069
	s_branch .LBB2_4072
.LBB2_4067:                             ;   in Loop: Header=BB2_3742 Depth=3
	s_or_saveexec_b32 s14, s14
	v_bfrev_b32_e32 v9, 1
	s_xor_b32 exec_lo, exec_lo, s14
	s_cbranch_execz .LBB2_4066
.LBB2_4068:                             ;   in Loop: Header=BB2_3742 Depth=3
	v_cmp_ne_u16_e64 s13, 0, v12
	v_mov_b32_e32 v9, 0
	s_and_not1_b32 s15, s15, exec_lo
	s_and_b32 s13, s13, exec_lo
	s_delay_alu instid0(SALU_CYCLE_1)
	s_or_b32 s15, s15, s13
	s_or_b32 exec_lo, exec_lo, s14
	s_and_saveexec_b32 s14, s15
	s_cbranch_execz .LBB2_4072
.LBB2_4069:                             ;   in Loop: Header=BB2_3742 Depth=3
	v_and_b32_e32 v12, 0x7f, v2
	v_mov_b32_e32 v9, 0x7f800001
	s_mov_b32 s15, exec_lo
	s_delay_alu instid0(VALU_DEP_2)
	v_cmpx_ne_u32_e32 0x7f, v12
	s_cbranch_execz .LBB2_4071
; %bb.4070:                             ;   in Loop: Header=BB2_3742 Depth=3
	v_and_b32_e32 v9, 7, v2
	v_cmp_gt_u32_e64 s13, 8, v12
	s_delay_alu instid0(VALU_DEP_2) | instskip(NEXT) | instid1(VALU_DEP_1)
	v_clz_i32_u32_e32 v13, v9
	v_min_u32_e32 v13, 32, v13
	s_delay_alu instid0(VALU_DEP_1) | instskip(NEXT) | instid1(VALU_DEP_1)
	v_subrev_nc_u32_e32 v18, 28, v13
	v_lshlrev_b64_e32 v[56:57], v18, v[2:3]
	v_dual_lshrrev_b32 v18, 3, v12 :: v_dual_sub_nc_u32 v13, 29, v13
	s_delay_alu instid0(VALU_DEP_2) | instskip(NEXT) | instid1(VALU_DEP_1)
	v_dual_lshlrev_b32 v2, 24, v2 :: v_dual_bitop2_b32 v12, 7, v56 bitop3:0x40
	v_dual_cndmask_b32 v13, v18, v13, s13 :: v_dual_cndmask_b32 v9, v9, v12, s13
	s_delay_alu instid0(VALU_DEP_2) | instskip(NEXT) | instid1(VALU_DEP_2)
	v_and_b32_e32 v2, 0x80000000, v2
	v_lshl_add_u32 v12, v13, 23, 0x3c000000
	s_delay_alu instid0(VALU_DEP_3) | instskip(NEXT) | instid1(VALU_DEP_1)
	v_lshlrev_b32_e32 v9, 20, v9
	v_or3_b32 v9, v9, v2, v12
.LBB2_4071:                             ;   in Loop: Header=BB2_3742 Depth=3
	s_or_b32 exec_lo, exec_lo, s15
.LBB2_4072:                             ;   in Loop: Header=BB2_3742 Depth=3
	s_delay_alu instid0(SALU_CYCLE_1) | instskip(NEXT) | instid1(VALU_DEP_1)
	s_or_b32 exec_lo, exec_lo, s14
	v_add_f32_e32 v8, v8, v9
                                        ; implicit-def: $vgpr107
	s_mov_b32 s14, exec_lo
	s_delay_alu instid0(VALU_DEP_1) | instskip(SKIP_1) | instid1(VALU_DEP_2)
	v_and_b32_e32 v2, 0x7f800000, v8
	v_lshrrev_b32_e32 v9, 24, v8
	v_cmpx_ne_u64_e32 0x7f800000, v[2:3]
	s_xor_b32 s15, exec_lo, s14
	s_cbranch_execz .LBB2_4086
; %bb.4073:                             ;   in Loop: Header=BB2_3742 Depth=3
	v_and_b32_e32 v2, 0x7fffffff, v8
	v_and_b32_e32 v56, 0x80, v9
                                        ; implicit-def: $vgpr107
	s_mov_b32 s14, exec_lo
	s_delay_alu instid0(VALU_DEP_2)
	v_cmpx_gt_u64_e32 0x43e00001, v[2:3]
	s_xor_b32 s75, exec_lo, s14
	s_cbranch_execz .LBB2_4083
; %bb.4074:                             ;   in Loop: Header=BB2_3742 Depth=3
	v_mov_b32_e32 v107, 0
	s_mov_b32 s76, exec_lo
	v_cmpx_ne_u32_e32 0, v8
	s_cbranch_execz .LBB2_4082
; %bb.4075:                             ;   in Loop: Header=BB2_3742 Depth=3
	v_bfe_u32 v57, v8, 23, 8
	s_delay_alu instid0(VALU_DEP_1) | instskip(SKIP_1) | instid1(VALU_DEP_1)
	v_sub_nc_u32_e32 v2, 0x79, v57
	v_cmp_gt_u32_e64 s13, 0x7a, v57
	v_cndmask_b32_e64 v2, 0, v2, s13
	v_cmp_eq_u32_e64 s13, 0, v57
	s_delay_alu instid0(VALU_DEP_1) | instskip(SKIP_1) | instid1(VALU_DEP_2)
	v_cndmask_b32_e64 v107, v2, 0x78, s13
	v_and_b32_e32 v2, 0x7fffff, v8
	v_add_nc_u32_e32 v8, 20, v107
	s_delay_alu instid0(VALU_DEP_2) | instskip(SKIP_1) | instid1(VALU_DEP_3)
	v_or_b32_e32 v12, 0x800000, v2
	v_add_nc_u32_e32 v13, 19, v107
	v_lshlrev_b64_e64 v[8:9], v8, -1
	s_delay_alu instid0(VALU_DEP_3) | instskip(NEXT) | instid1(VALU_DEP_3)
	v_cndmask_b32_e64 v2, v12, v2, s13
	v_lshlrev_b64_e64 v[12:13], v13, 1
	s_delay_alu instid0(VALU_DEP_3) | instskip(NEXT) | instid1(VALU_DEP_3)
	v_bfi_b32 v109, v9, 0, 0
	v_bfi_b32 v108, v8, 0, v2
	v_lshrrev_b64 v[8:9], v107, v[2:3]
	s_delay_alu instid0(VALU_DEP_2) | instskip(NEXT) | instid1(VALU_DEP_2)
	v_cmp_eq_u64_e64 s14, v[108:109], v[12:13]
	v_mov_b64_e32 v[12:13], v[8:9]
	s_and_saveexec_b32 s77, s14
; %bb.4076:                             ;   in Loop: Header=BB2_3742 Depth=3
	v_bfe_u32 v2, v8, 20, 1
	s_delay_alu instid0(VALU_DEP_1) | instskip(NEXT) | instid1(VALU_DEP_1)
	v_add_nc_u64_e32 v[12:13], v[8:9], v[2:3]
	v_add_nc_u64_e32 v[12:13], -1, v[12:13]
; %bb.4077:                             ;   in Loop: Header=BB2_3742 Depth=3
	s_or_b32 exec_lo, exec_lo, s77
	v_add_nc_u32_e32 v2, 0xffffff81, v57
	v_lshrrev_b32_e32 v9, 23, v8
	s_mov_b32 s14, exec_lo
	s_delay_alu instid0(VALU_DEP_2) | instskip(NEXT) | instid1(VALU_DEP_1)
	v_cndmask_b32_e64 v2, v2, 0xffffff82, s13
	v_add3_u32 v13, v107, v2, v9
	v_and_b32_e32 v2, 0xfffff, v12
                                        ; implicit-def: $vgpr12
	s_delay_alu instid0(VALU_DEP_1) | instskip(NEXT) | instid1(VALU_DEP_1)
	v_dual_add_nc_u32 v57, 6, v13 :: v_dual_add_nc_u32 v2, v2, v8
                                        ; implicit-def: $vgpr8_vgpr9
	v_cmpx_ne_u32_e32 0, v57
	s_xor_b32 s14, exec_lo, s14
; %bb.4078:                             ;   in Loop: Header=BB2_3742 Depth=3
	s_delay_alu instid0(VALU_DEP_2) | instskip(SKIP_1) | instid1(VALU_DEP_1)
	v_cmp_lt_u64_e64 s13, 0xffffff, v[2:3]
	v_add_nc_u32_e32 v8, 7, v13
	v_cndmask_b32_e64 v12, v57, v8, s13
	v_cndmask_b32_e64 v8, 0, 1, s13
	s_delay_alu instid0(VALU_DEP_1)
	v_lshrrev_b64 v[8:9], v8, v[2:3]
; %bb.4079:                             ;   in Loop: Header=BB2_3742 Depth=3
	s_and_not1_saveexec_b32 s13, s14
; %bb.4080:                             ;   in Loop: Header=BB2_3742 Depth=3
	v_mov_b64_e32 v[8:9], v[2:3]
	v_bfe_u32 v12, v2, 23, 1
; %bb.4081:                             ;   in Loop: Header=BB2_3742 Depth=3
	s_or_b32 exec_lo, exec_lo, s13
	s_delay_alu instid0(VALU_DEP_2) | instskip(NEXT) | instid1(VALU_DEP_2)
	v_lshrrev_b64 v[8:9], 20, v[8:9]
	v_cmp_gt_i32_e64 s13, 16, v12
	v_min_i32_e32 v2, 15, v12
	v_cmp_eq_u32_e64 s14, 0, v12
	s_delay_alu instid0(VALU_DEP_2) | instskip(SKIP_1) | instid1(VALU_DEP_2)
	v_dual_cndmask_b32 v9, 0, v9, s13 :: v_dual_lshlrev_b32 v2, 3, v2
	v_cndmask_b32_e64 v8, 7, v8, s13
	v_and_b32_e32 v2, 0xf8, v2
	s_delay_alu instid0(VALU_DEP_2) | instskip(NEXT) | instid1(VALU_DEP_2)
	v_cmp_eq_u64_e64 s13, 0, v[8:9]
	v_and_or_b32 v2, v8, 7, v2
	s_and_b32 s13, s14, s13
	s_delay_alu instid0(VALU_DEP_1) | instid1(SALU_CYCLE_1)
	v_cndmask_b32_e64 v2, v2, 0, s13
	s_delay_alu instid0(VALU_DEP_1)
	v_or_b32_e32 v107, v2, v56
.LBB2_4082:                             ;   in Loop: Header=BB2_3742 Depth=3
	s_or_b32 exec_lo, exec_lo, s76
                                        ; implicit-def: $vgpr56
.LBB2_4083:                             ;   in Loop: Header=BB2_3742 Depth=3
	s_and_not1_saveexec_b32 s13, s75
; %bb.4084:                             ;   in Loop: Header=BB2_3742 Depth=3
	v_or_b32_e32 v107, 0x7e, v56
; %bb.4085:                             ;   in Loop: Header=BB2_3742 Depth=3
	s_or_b32 exec_lo, exec_lo, s13
                                        ; implicit-def: $vgpr9
.LBB2_4086:                             ;   in Loop: Header=BB2_3742 Depth=3
	s_and_not1_saveexec_b32 s13, s15
; %bb.4087:                             ;   in Loop: Header=BB2_3742 Depth=3
	v_or_b32_e32 v107, 0x7f, v9
; %bb.4088:                             ;   in Loop: Header=BB2_3742 Depth=3
	s_or_b32 exec_lo, exec_lo, s13
	v_mov_b32_e32 v8, 0
	s_mov_b32 s14, exec_lo
	v_cmpx_lt_u32_e32 0xffffff, v14
	s_cbranch_execz .LBB2_4096
; %bb.4089:                             ;   in Loop: Header=BB2_3742 Depth=3
	v_lshrrev_b32_e32 v9, 24, v14
	v_bfrev_b32_e32 v8, 1
	s_mov_b32 s15, exec_lo
	s_delay_alu instid0(VALU_DEP_2)
	v_cmpx_ne_u32_e32 0x80, v9
	s_cbranch_execz .LBB2_4095
; %bb.4090:                             ;   in Loop: Header=BB2_3742 Depth=3
	v_bfe_u32 v12, v14, 24, 7
	v_mov_b32_e32 v8, 0x7f800001
	s_mov_b32 s75, exec_lo
	s_delay_alu instid0(VALU_DEP_2)
	v_cmpx_ne_u32_e32 0x7f, v12
	s_cbranch_execz .LBB2_4094
; %bb.4091:                             ;   in Loop: Header=BB2_3742 Depth=3
	v_dual_lshrrev_b32 v8, 3, v12 :: v_dual_bitop2_b32 v2, 7, v9 bitop3:0x40
	s_mov_b32 s76, exec_lo
	v_cmpx_gt_u32_e32 8, v12
; %bb.4092:                             ;   in Loop: Header=BB2_3742 Depth=3
	s_delay_alu instid0(VALU_DEP_2) | instskip(NEXT) | instid1(VALU_DEP_1)
	v_clz_i32_u32_e32 v8, v2
	v_min_u32_e32 v8, 32, v8
	s_delay_alu instid0(VALU_DEP_1) | instskip(SKIP_1) | instid1(VALU_DEP_2)
	v_subrev_nc_u32_e32 v12, 28, v8
	v_sub_nc_u32_e32 v8, 29, v8
	v_lshlrev_b64_e32 v[12:13], v12, v[2:3]
	s_delay_alu instid0(VALU_DEP_1)
	v_and_b32_e32 v2, 7, v12
; %bb.4093:                             ;   in Loop: Header=BB2_3742 Depth=3
	s_or_b32 exec_lo, exec_lo, s76
	s_delay_alu instid0(VALU_DEP_1) | instskip(SKIP_1) | instid1(VALU_DEP_2)
	v_dual_lshlrev_b32 v9, 24, v9 :: v_dual_lshlrev_b32 v2, 20, v2
	v_lshl_add_u32 v8, v8, 23, 0x3c000000
	v_and_b32_e32 v9, 0x80000000, v9
	s_delay_alu instid0(VALU_DEP_1)
	v_or3_b32 v8, v2, v9, v8
.LBB2_4094:                             ;   in Loop: Header=BB2_3742 Depth=3
	s_or_b32 exec_lo, exec_lo, s75
.LBB2_4095:                             ;   in Loop: Header=BB2_3742 Depth=3
	s_delay_alu instid0(SALU_CYCLE_1)
	s_or_b32 exec_lo, exec_lo, s15
.LBB2_4096:                             ;   in Loop: Header=BB2_3742 Depth=3
	s_delay_alu instid0(SALU_CYCLE_1) | instskip(SKIP_3) | instid1(VALU_DEP_3)
	s_or_b32 exec_lo, exec_lo, s14
	v_lshrrev_b32_e32 v2, 24, v10
	v_bfe_u32 v9, v10, 24, 7
	v_cmp_gt_u32_e64 s15, 0x1000000, v10
	v_cmp_eq_u32_e64 s13, 0x80, v2
	s_delay_alu instid0(VALU_DEP_3) | instskip(NEXT) | instid1(VALU_DEP_2)
	v_cmp_eq_u32_e64 s14, 0x7f, v9
	v_cndmask_b32_e64 v12, 0x7f800001, v77, s13
	s_or_b32 s13, s13, s14
	s_delay_alu instid0(SALU_CYCLE_1) | instskip(NEXT) | instid1(VALU_DEP_1)
	s_nor_b32 s13, s15, s13
	v_cndmask_b32_e64 v12, v12, 0, s15
	s_and_saveexec_b32 s14, s13
	s_cbranch_execz .LBB2_4098
; %bb.4097:                             ;   in Loop: Header=BB2_3742 Depth=3
	v_and_b32_e32 v18, 7, v2
	v_cmp_gt_u32_e64 s13, 8, v9
	s_delay_alu instid0(VALU_DEP_2) | instskip(NEXT) | instid1(VALU_DEP_1)
	v_clz_i32_u32_e32 v12, v18
	v_min_u32_e32 v19, 32, v12
	s_delay_alu instid0(VALU_DEP_1) | instskip(NEXT) | instid1(VALU_DEP_1)
	v_subrev_nc_u32_e32 v12, 28, v19
	v_lshlrev_b64_e32 v[12:13], v12, v[2:3]
	v_dual_lshrrev_b32 v13, 3, v9 :: v_dual_sub_nc_u32 v19, 29, v19
	s_delay_alu instid0(VALU_DEP_2) | instskip(NEXT) | instid1(VALU_DEP_2)
	v_dual_lshlrev_b32 v2, 24, v2 :: v_dual_bitop2_b32 v9, 7, v12 bitop3:0x40
	v_cndmask_b32_e64 v12, v13, v19, s13
	s_delay_alu instid0(VALU_DEP_2) | instskip(NEXT) | instid1(VALU_DEP_3)
	v_and_b32_e32 v2, 0x80000000, v2
	v_cndmask_b32_e64 v9, v18, v9, s13
	s_delay_alu instid0(VALU_DEP_3) | instskip(NEXT) | instid1(VALU_DEP_2)
	v_lshl_add_u32 v12, v12, 23, 0x3c000000
	v_lshlrev_b32_e32 v9, 20, v9
	s_delay_alu instid0(VALU_DEP_1)
	v_or3_b32 v12, v9, v2, v12
.LBB2_4098:                             ;   in Loop: Header=BB2_3742 Depth=3
	s_or_b32 exec_lo, exec_lo, s14
	s_delay_alu instid0(VALU_DEP_1) | instskip(SKIP_1) | instid1(VALU_DEP_1)
	v_add_f32_e32 v8, v8, v12
                                        ; implicit-def: $vgpr108
	s_mov_b32 s14, exec_lo
	v_and_b32_e32 v2, 0x7f800000, v8
	v_lshrrev_b32_e32 v9, 24, v8
	s_delay_alu instid0(VALU_DEP_2)
	v_cmpx_ne_u64_e32 0x7f800000, v[2:3]
	s_xor_b32 s15, exec_lo, s14
	s_cbranch_execz .LBB2_4112
; %bb.4099:                             ;   in Loop: Header=BB2_3742 Depth=3
	v_and_b32_e32 v2, 0x7fffffff, v8
	v_and_b32_e32 v56, 0x80, v9
                                        ; implicit-def: $vgpr108
	s_mov_b32 s14, exec_lo
	s_delay_alu instid0(VALU_DEP_2)
	v_cmpx_gt_u64_e32 0x43e00001, v[2:3]
	s_xor_b32 s75, exec_lo, s14
	s_cbranch_execz .LBB2_4109
; %bb.4100:                             ;   in Loop: Header=BB2_3742 Depth=3
	v_mov_b32_e32 v108, 0
	s_mov_b32 s76, exec_lo
	v_cmpx_ne_u32_e32 0, v8
	s_cbranch_execz .LBB2_4108
; %bb.4101:                             ;   in Loop: Header=BB2_3742 Depth=3
	v_bfe_u32 v57, v8, 23, 8
	s_delay_alu instid0(VALU_DEP_1) | instskip(SKIP_1) | instid1(VALU_DEP_1)
	v_sub_nc_u32_e32 v2, 0x79, v57
	v_cmp_gt_u32_e64 s13, 0x7a, v57
	v_cndmask_b32_e64 v2, 0, v2, s13
	v_cmp_eq_u32_e64 s13, 0, v57
	s_delay_alu instid0(VALU_DEP_1) | instskip(SKIP_1) | instid1(VALU_DEP_2)
	v_cndmask_b32_e64 v108, v2, 0x78, s13
	v_and_b32_e32 v2, 0x7fffff, v8
	v_add_nc_u32_e32 v8, 20, v108
	s_delay_alu instid0(VALU_DEP_2) | instskip(SKIP_1) | instid1(VALU_DEP_3)
	v_or_b32_e32 v12, 0x800000, v2
	v_add_nc_u32_e32 v13, 19, v108
	v_lshlrev_b64_e64 v[8:9], v8, -1
	s_delay_alu instid0(VALU_DEP_3) | instskip(NEXT) | instid1(VALU_DEP_3)
	v_cndmask_b32_e64 v2, v12, v2, s13
	v_lshlrev_b64_e64 v[12:13], v13, 1
	s_delay_alu instid0(VALU_DEP_3) | instskip(NEXT) | instid1(VALU_DEP_3)
	v_bfi_b32 v111, v9, 0, 0
	v_bfi_b32 v110, v8, 0, v2
	v_lshrrev_b64 v[8:9], v108, v[2:3]
	s_delay_alu instid0(VALU_DEP_2) | instskip(NEXT) | instid1(VALU_DEP_2)
	v_cmp_eq_u64_e64 s14, v[110:111], v[12:13]
	v_mov_b64_e32 v[12:13], v[8:9]
	s_and_saveexec_b32 s77, s14
; %bb.4102:                             ;   in Loop: Header=BB2_3742 Depth=3
	v_bfe_u32 v2, v8, 20, 1
	s_delay_alu instid0(VALU_DEP_1) | instskip(NEXT) | instid1(VALU_DEP_1)
	v_add_nc_u64_e32 v[12:13], v[8:9], v[2:3]
	v_add_nc_u64_e32 v[12:13], -1, v[12:13]
; %bb.4103:                             ;   in Loop: Header=BB2_3742 Depth=3
	s_or_b32 exec_lo, exec_lo, s77
	v_add_nc_u32_e32 v2, 0xffffff81, v57
	v_lshrrev_b32_e32 v9, 23, v8
	s_mov_b32 s14, exec_lo
	s_delay_alu instid0(VALU_DEP_2) | instskip(NEXT) | instid1(VALU_DEP_1)
	v_cndmask_b32_e64 v2, v2, 0xffffff82, s13
	v_add3_u32 v13, v108, v2, v9
	v_and_b32_e32 v2, 0xfffff, v12
                                        ; implicit-def: $vgpr12
	s_delay_alu instid0(VALU_DEP_1) | instskip(NEXT) | instid1(VALU_DEP_1)
	v_dual_add_nc_u32 v57, 6, v13 :: v_dual_add_nc_u32 v2, v2, v8
                                        ; implicit-def: $vgpr8_vgpr9
	v_cmpx_ne_u32_e32 0, v57
	s_xor_b32 s14, exec_lo, s14
; %bb.4104:                             ;   in Loop: Header=BB2_3742 Depth=3
	s_delay_alu instid0(VALU_DEP_2) | instskip(SKIP_1) | instid1(VALU_DEP_1)
	v_cmp_lt_u64_e64 s13, 0xffffff, v[2:3]
	v_add_nc_u32_e32 v8, 7, v13
	v_cndmask_b32_e64 v12, v57, v8, s13
	v_cndmask_b32_e64 v8, 0, 1, s13
	s_delay_alu instid0(VALU_DEP_1)
	v_lshrrev_b64 v[8:9], v8, v[2:3]
; %bb.4105:                             ;   in Loop: Header=BB2_3742 Depth=3
	s_and_not1_saveexec_b32 s13, s14
; %bb.4106:                             ;   in Loop: Header=BB2_3742 Depth=3
	v_mov_b64_e32 v[8:9], v[2:3]
	v_bfe_u32 v12, v2, 23, 1
; %bb.4107:                             ;   in Loop: Header=BB2_3742 Depth=3
	s_or_b32 exec_lo, exec_lo, s13
	s_delay_alu instid0(VALU_DEP_2) | instskip(NEXT) | instid1(VALU_DEP_2)
	v_lshrrev_b64 v[8:9], 20, v[8:9]
	v_cmp_gt_i32_e64 s13, 16, v12
	v_min_i32_e32 v2, 15, v12
	v_cmp_eq_u32_e64 s14, 0, v12
	s_delay_alu instid0(VALU_DEP_2) | instskip(SKIP_1) | instid1(VALU_DEP_2)
	v_dual_cndmask_b32 v9, 0, v9, s13 :: v_dual_lshlrev_b32 v2, 3, v2
	v_cndmask_b32_e64 v8, 7, v8, s13
	v_and_b32_e32 v2, 0xf8, v2
	s_delay_alu instid0(VALU_DEP_2) | instskip(NEXT) | instid1(VALU_DEP_2)
	v_cmp_eq_u64_e64 s13, 0, v[8:9]
	v_and_or_b32 v2, v8, 7, v2
	s_and_b32 s13, s14, s13
	s_delay_alu instid0(VALU_DEP_1) | instid1(SALU_CYCLE_1)
	v_cndmask_b32_e64 v2, v2, 0, s13
	s_delay_alu instid0(VALU_DEP_1)
	v_or_b32_e32 v108, v2, v56
.LBB2_4108:                             ;   in Loop: Header=BB2_3742 Depth=3
	s_or_b32 exec_lo, exec_lo, s76
                                        ; implicit-def: $vgpr56
.LBB2_4109:                             ;   in Loop: Header=BB2_3742 Depth=3
	s_and_not1_saveexec_b32 s13, s75
; %bb.4110:                             ;   in Loop: Header=BB2_3742 Depth=3
	v_or_b32_e32 v108, 0x7e, v56
; %bb.4111:                             ;   in Loop: Header=BB2_3742 Depth=3
	s_or_b32 exec_lo, exec_lo, s13
                                        ; implicit-def: $vgpr9
.LBB2_4112:                             ;   in Loop: Header=BB2_3742 Depth=3
	s_and_not1_saveexec_b32 s13, s15
; %bb.4113:                             ;   in Loop: Header=BB2_3742 Depth=3
	v_or_b32_e32 v108, 0x7f, v9
; %bb.4114:                             ;   in Loop: Header=BB2_3742 Depth=3
	s_or_b32 exec_lo, exec_lo, s13
	v_and_b32_e32 v8, 0xff, v15
	v_dual_mov_b32 v2, v15 :: v_dual_mov_b32 v12, 0
	s_mov_b32 s14, exec_lo
	s_delay_alu instid0(VALU_DEP_2)
	v_cmpx_ne_u16_e32 0, v8
	s_cbranch_execz .LBB2_4120
; %bb.4115:                             ;   in Loop: Header=BB2_3742 Depth=3
	v_bfrev_b32_e32 v12, 1
	s_mov_b32 s15, exec_lo
	v_cmpx_ne_u16_e32 0x80, v8
	s_cbranch_execz .LBB2_4119
; %bb.4116:                             ;   in Loop: Header=BB2_3742 Depth=3
	v_and_b32_e32 v8, 0x7f, v15
	v_mov_b32_e32 v12, 0x7f800001
	s_mov_b32 s75, exec_lo
	s_delay_alu instid0(VALU_DEP_2)
	v_cmpx_ne_u32_e32 0x7f, v8
	s_cbranch_execz .LBB2_4118
; %bb.4117:                             ;   in Loop: Header=BB2_3742 Depth=3
	v_dual_lshrrev_b32 v12, 3, v8 :: v_dual_bitop2_b32 v9, 7, v15 bitop3:0x40
	v_cmp_gt_u32_e64 s13, 8, v8
	s_delay_alu instid0(VALU_DEP_2) | instskip(NEXT) | instid1(VALU_DEP_1)
	v_clz_i32_u32_e32 v9, v9
	v_min_u32_e32 v9, 32, v9
	s_delay_alu instid0(VALU_DEP_1) | instskip(SKIP_1) | instid1(VALU_DEP_2)
	v_subrev_nc_u32_e32 v13, 28, v9
	v_sub_nc_u32_e32 v9, 29, v9
	v_cndmask_b32_e64 v8, 0, v13, s13
	s_delay_alu instid0(VALU_DEP_2) | instskip(NEXT) | instid1(VALU_DEP_2)
	v_cndmask_b32_e64 v12, v12, v9, s13
	v_lshlrev_b64_e32 v[8:9], v8, v[2:3]
	v_lshlrev_b32_e32 v9, 24, v2
	s_delay_alu instid0(VALU_DEP_3) | instskip(NEXT) | instid1(VALU_DEP_2)
	v_lshl_add_u32 v12, v12, 23, 0x3c000000
	v_and_b32_e32 v9, 0x80000000, v9
	s_delay_alu instid0(VALU_DEP_4) | instskip(NEXT) | instid1(VALU_DEP_1)
	v_lshlrev_b32_e32 v8, 20, v8
	v_and_b32_e32 v8, 0x700000, v8
	s_delay_alu instid0(VALU_DEP_1)
	v_or3_b32 v12, v8, v9, v12
.LBB2_4118:                             ;   in Loop: Header=BB2_3742 Depth=3
	s_or_b32 exec_lo, exec_lo, s75
.LBB2_4119:                             ;   in Loop: Header=BB2_3742 Depth=3
	s_delay_alu instid0(SALU_CYCLE_1)
	s_or_b32 exec_lo, exec_lo, s15
.LBB2_4120:                             ;   in Loop: Header=BB2_3742 Depth=3
	s_delay_alu instid0(SALU_CYCLE_1) | instskip(SKIP_4) | instid1(VALU_DEP_2)
	s_or_b32 exec_lo, exec_lo, s14
	v_and_b32_e32 v9, 0xff, v11
	v_mov_b32_e32 v8, v11
	s_mov_b32 s14, 0
	s_mov_b32 s15, exec_lo
	v_cmpx_lt_i16_e32 0x7f, v9
	s_xor_b32 s15, exec_lo, s15
	s_cbranch_execz .LBB2_4155
; %bb.4121:                             ;   in Loop: Header=BB2_3742 Depth=3
	s_mov_b32 s14, -1
	s_mov_b32 s75, exec_lo
	v_cmpx_eq_u16_e32 0x80, v9
; %bb.4122:                             ;   in Loop: Header=BB2_3742 Depth=3
	s_xor_b32 s14, exec_lo, -1
; %bb.4123:                             ;   in Loop: Header=BB2_3742 Depth=3
	s_or_b32 exec_lo, exec_lo, s75
	s_delay_alu instid0(SALU_CYCLE_1)
	s_and_b32 s14, s14, exec_lo
                                        ; implicit-def: $vgpr9
	s_or_saveexec_b32 s15, s15
	v_bfrev_b32_e32 v13, 1
	s_xor_b32 exec_lo, exec_lo, s15
	s_cbranch_execnz .LBB2_4156
.LBB2_4124:                             ;   in Loop: Header=BB2_3742 Depth=3
	s_or_b32 exec_lo, exec_lo, s15
	v_mov_b32_e32 v9, v3
	s_and_saveexec_b32 s15, s14
	s_cbranch_execz .LBB2_4126
.LBB2_4125:                             ;   in Loop: Header=BB2_3742 Depth=3
	v_and_b32_e32 v18, 0x7f, v11
	v_bfe_u32 v19, v11, 3, 4
	s_delay_alu instid0(VALU_DEP_2) | instskip(SKIP_1) | instid1(VALU_DEP_1)
	v_cmp_gt_u32_e64 s13, 8, v18
	v_and_b32_e32 v13, 7, v11
	v_clz_i32_u32_e32 v13, v13
	s_delay_alu instid0(VALU_DEP_1) | instskip(NEXT) | instid1(VALU_DEP_1)
	v_min_u32_e32 v13, 32, v13
	v_subrev_nc_u32_e32 v56, 28, v13
	v_sub_nc_u32_e32 v13, 29, v13
	s_delay_alu instid0(VALU_DEP_1) | instskip(SKIP_1) | instid1(VALU_DEP_2)
	v_dual_cndmask_b32 v13, v19, v13, s13 :: v_dual_cndmask_b32 v19, 0, v56, s13
	v_cmp_ne_u32_e64 s13, 0x7f, v18
	v_lshlrev_b64_e32 v[56:57], v19, v[8:9]
	v_lshlrev_b32_e32 v9, 24, v8
	s_delay_alu instid0(VALU_DEP_1) | instskip(NEXT) | instid1(VALU_DEP_3)
	v_and_b32_e32 v9, 0x80000000, v9
	v_lshlrev_b32_e32 v19, 20, v56
	v_lshl_add_u32 v13, v13, 23, 0x3c000000
	s_delay_alu instid0(VALU_DEP_2) | instskip(NEXT) | instid1(VALU_DEP_1)
	v_and_b32_e32 v19, 0x700000, v19
	v_or3_b32 v9, v19, v9, v13
	s_delay_alu instid0(VALU_DEP_1)
	v_cndmask_b32_e64 v13, 0x7f800001, v9, s13
.LBB2_4126:                             ;   in Loop: Header=BB2_3742 Depth=3
	s_or_b32 exec_lo, exec_lo, s15
	s_delay_alu instid0(VALU_DEP_1) | instskip(NEXT) | instid1(VALU_DEP_1)
	v_dual_add_f32 v12, v12, v13 :: v_dual_mov_b32 v57, v3
	v_and_b32_e32 v56, 0x7f800000, v12
	v_lshrrev_b32_e32 v9, 24, v12
	s_delay_alu instid0(VALU_DEP_2) | instskip(SKIP_1) | instid1(SALU_CYCLE_1)
	v_cmp_ne_u64_e64 s13, 0x7f800000, v[56:57]
                                        ; implicit-def: $vgpr56
	s_and_saveexec_b32 s14, s13
	s_xor_b32 s15, exec_lo, s14
	s_cbranch_execz .LBB2_4140
; %bb.4127:                             ;   in Loop: Header=BB2_3742 Depth=3
	v_and_b32_e32 v56, 0x7fffffff, v12
	v_mov_b32_e32 v57, v3
	v_and_b32_e32 v9, 0x80, v9
	s_delay_alu instid0(VALU_DEP_2) | instskip(SKIP_1) | instid1(SALU_CYCLE_1)
	v_cmp_gt_u64_e64 s13, 0x43e00001, v[56:57]
                                        ; implicit-def: $vgpr56
	s_and_saveexec_b32 s14, s13
	s_xor_b32 s75, exec_lo, s14
	s_cbranch_execz .LBB2_4137
; %bb.4128:                             ;   in Loop: Header=BB2_3742 Depth=3
	v_mov_b32_e32 v56, 0
	s_mov_b32 s76, exec_lo
	v_cmpx_ne_u32_e32 0, v12
	s_cbranch_execz .LBB2_4136
; %bb.4129:                             ;   in Loop: Header=BB2_3742 Depth=3
	v_bfe_u32 v109, v12, 23, 8
	v_and_b32_e32 v18, 0x7fffff, v12
	s_mov_b32 s77, exec_lo
	v_mov_b32_e32 v57, v3
	s_delay_alu instid0(VALU_DEP_3) | instskip(SKIP_2) | instid1(VALU_DEP_2)
	v_sub_nc_u32_e32 v13, 0x79, v109
	v_cmp_gt_u32_e64 s13, 0x7a, v109
	v_or_b32_e32 v19, 0x800000, v18
	v_cndmask_b32_e64 v13, 0, v13, s13
	v_cmp_eq_u32_e64 s13, 0, v109
	s_delay_alu instid0(VALU_DEP_1) | instskip(NEXT) | instid1(VALU_DEP_4)
	v_cndmask_b32_e64 v110, v13, 0x78, s13
	v_cndmask_b32_e64 v56, v19, v18, s13
	s_delay_alu instid0(VALU_DEP_2) | instskip(NEXT) | instid1(VALU_DEP_1)
	v_dual_add_nc_u32 v12, 20, v110 :: v_dual_add_nc_u32 v111, 19, v110
	v_lshlrev_b64_e64 v[12:13], v12, -1
	s_delay_alu instid0(VALU_DEP_2) | instskip(NEXT) | instid1(VALU_DEP_2)
	v_lshlrev_b64_e64 v[120:121], v111, 1
	v_bfi_b32 v123, v13, 0, 0
	s_delay_alu instid0(VALU_DEP_3) | instskip(SKIP_1) | instid1(VALU_DEP_1)
	v_bfi_b32 v122, v12, 0, v56
	v_lshrrev_b64 v[12:13], v110, v[56:57]
	v_mov_b64_e32 v[56:57], v[12:13]
	s_delay_alu instid0(VALU_DEP_3)
	v_cmpx_eq_u64_e64 v[122:123], v[120:121]
; %bb.4130:                             ;   in Loop: Header=BB2_3742 Depth=3
	v_bfe_u32 v56, v12, 20, 1
	v_mov_b32_e32 v57, v3
	s_delay_alu instid0(VALU_DEP_1) | instskip(NEXT) | instid1(VALU_DEP_1)
	v_add_nc_u64_e32 v[56:57], v[12:13], v[56:57]
	v_add_nc_u64_e32 v[56:57], -1, v[56:57]
; %bb.4131:                             ;   in Loop: Header=BB2_3742 Depth=3
	s_or_b32 exec_lo, exec_lo, s77
	v_add_nc_u32_e32 v13, 0xffffff81, v109
	v_lshrrev_b32_e32 v18, 23, v12
	s_mov_b32 s14, exec_lo
	s_delay_alu instid0(VALU_DEP_2) | instskip(NEXT) | instid1(VALU_DEP_1)
	v_cndmask_b32_e64 v13, v13, 0xffffff82, s13
	v_add3_u32 v57, v110, v13, v18
	v_and_b32_e32 v13, 0xfffff, v56
                                        ; implicit-def: $vgpr56
	s_delay_alu instid0(VALU_DEP_1) | instskip(SKIP_1) | instid1(VALU_DEP_2)
	v_dual_add_nc_u32 v109, 6, v57 :: v_dual_add_nc_u32 v12, v13, v12
	v_mov_b32_e32 v13, v3
	v_cmpx_ne_u32_e32 0, v109
	s_xor_b32 s14, exec_lo, s14
; %bb.4132:                             ;   in Loop: Header=BB2_3742 Depth=3
	s_delay_alu instid0(VALU_DEP_2) | instskip(SKIP_1) | instid1(VALU_DEP_1)
	v_cmp_lt_u64_e64 s13, 0xffffff, v[12:13]
	v_add_nc_u32_e32 v18, 7, v57
	v_cndmask_b32_e64 v56, v109, v18, s13
	v_cndmask_b32_e64 v18, 0, 1, s13
	s_delay_alu instid0(VALU_DEP_1)
	v_lshrrev_b64 v[12:13], v18, v[12:13]
; %bb.4133:                             ;   in Loop: Header=BB2_3742 Depth=3
	s_and_not1_saveexec_b32 s13, s14
; %bb.4134:                             ;   in Loop: Header=BB2_3742 Depth=3
	s_delay_alu instid0(VALU_DEP_1)
	v_bfe_u32 v56, v12, 23, 1
; %bb.4135:                             ;   in Loop: Header=BB2_3742 Depth=3
	s_or_b32 exec_lo, exec_lo, s13
	s_delay_alu instid0(VALU_DEP_2) | instskip(NEXT) | instid1(VALU_DEP_2)
	v_lshrrev_b64 v[12:13], 20, v[12:13]
	v_cmp_gt_i32_e64 s13, 16, v56
	v_min_i32_e32 v18, 15, v56
	v_cmp_eq_u32_e64 s14, 0, v56
	s_delay_alu instid0(VALU_DEP_2) | instskip(SKIP_1) | instid1(VALU_DEP_2)
	v_dual_cndmask_b32 v13, 0, v13, s13 :: v_dual_lshlrev_b32 v18, 3, v18
	v_cndmask_b32_e64 v12, 7, v12, s13
	v_and_b32_e32 v18, 0xf8, v18
	s_delay_alu instid0(VALU_DEP_2) | instskip(NEXT) | instid1(VALU_DEP_2)
	v_cmp_eq_u64_e64 s13, 0, v[12:13]
	v_and_or_b32 v12, v12, 7, v18
	s_and_b32 s13, s14, s13
	s_delay_alu instid0(VALU_DEP_1) | instid1(SALU_CYCLE_1)
	v_cndmask_b32_e64 v12, v12, 0, s13
	s_delay_alu instid0(VALU_DEP_1)
	v_or_b32_e32 v56, v12, v9
.LBB2_4136:                             ;   in Loop: Header=BB2_3742 Depth=3
	s_or_b32 exec_lo, exec_lo, s76
                                        ; implicit-def: $vgpr9
.LBB2_4137:                             ;   in Loop: Header=BB2_3742 Depth=3
	s_and_not1_saveexec_b32 s13, s75
; %bb.4138:                             ;   in Loop: Header=BB2_3742 Depth=3
	v_or_b32_e32 v56, 0x7e, v9
; %bb.4139:                             ;   in Loop: Header=BB2_3742 Depth=3
	s_or_b32 exec_lo, exec_lo, s13
                                        ; implicit-def: $vgpr9
.LBB2_4140:                             ;   in Loop: Header=BB2_3742 Depth=3
	s_and_not1_saveexec_b32 s13, s15
; %bb.4141:                             ;   in Loop: Header=BB2_3742 Depth=3
	v_or_b32_e32 v56, 0x7f, v9
; %bb.4142:                             ;   in Loop: Header=BB2_3742 Depth=3
	s_or_b32 exec_lo, exec_lo, s13
	v_lshrrev_b16 v12, 8, v2
	v_mov_b32_e32 v9, 0
	s_mov_b32 s14, exec_lo
	s_delay_alu instid0(VALU_DEP_2)
	v_cmpx_ne_u16_e32 0, v12
	s_cbranch_execz .LBB2_4150
; %bb.4143:                             ;   in Loop: Header=BB2_3742 Depth=3
	v_bfrev_b32_e32 v9, 1
	s_mov_b32 s15, exec_lo
	v_cmpx_ne_u16_e32 0x80, v12
	s_cbranch_execz .LBB2_4149
; %bb.4144:                             ;   in Loop: Header=BB2_3742 Depth=3
	v_and_b32_e32 v12, 0xffff, v12
	v_mov_b32_e32 v9, 0x7f800001
	s_mov_b32 s75, exec_lo
	s_delay_alu instid0(VALU_DEP_2) | instskip(NEXT) | instid1(VALU_DEP_1)
	v_and_b32_e32 v57, 0x7f, v12
	v_cmpx_ne_u32_e32 0x7f, v57
	s_cbranch_execz .LBB2_4148
; %bb.4145:                             ;   in Loop: Header=BB2_3742 Depth=3
	v_dual_mov_b32 v13, v3 :: v_dual_bitop2_b32 v12, 7, v12 bitop3:0x40
	v_lshrrev_b32_e32 v9, 3, v57
	s_mov_b32 s76, exec_lo
	v_cmpx_gt_u32_e32 8, v57
; %bb.4146:                             ;   in Loop: Header=BB2_3742 Depth=3
	s_delay_alu instid0(VALU_DEP_3) | instskip(NEXT) | instid1(VALU_DEP_1)
	v_clz_i32_u32_e32 v9, v12
	v_min_u32_e32 v9, 32, v9
	s_delay_alu instid0(VALU_DEP_1) | instskip(NEXT) | instid1(VALU_DEP_1)
	v_subrev_nc_u32_e32 v18, 28, v9
	v_lshlrev_b64_e32 v[12:13], v18, v[12:13]
	s_delay_alu instid0(VALU_DEP_1)
	v_dual_sub_nc_u32 v9, 29, v9 :: v_dual_bitop2_b32 v12, 7, v12 bitop3:0x40
; %bb.4147:                             ;   in Loop: Header=BB2_3742 Depth=3
	s_or_b32 exec_lo, exec_lo, s76
	s_delay_alu instid0(VALU_DEP_1) | instskip(NEXT) | instid1(VALU_DEP_2)
	v_dual_lshlrev_b32 v2, 16, v2 :: v_dual_lshlrev_b32 v12, 20, v12
	v_lshl_add_u32 v9, v9, 23, 0x3c000000
	s_delay_alu instid0(VALU_DEP_2) | instskip(NEXT) | instid1(VALU_DEP_1)
	v_and_b32_e32 v2, 0x80000000, v2
	v_or3_b32 v9, v12, v2, v9
.LBB2_4148:                             ;   in Loop: Header=BB2_3742 Depth=3
	s_or_b32 exec_lo, exec_lo, s75
.LBB2_4149:                             ;   in Loop: Header=BB2_3742 Depth=3
	s_delay_alu instid0(SALU_CYCLE_1)
	s_or_b32 exec_lo, exec_lo, s15
.LBB2_4150:                             ;   in Loop: Header=BB2_3742 Depth=3
	s_delay_alu instid0(SALU_CYCLE_1) | instskip(SKIP_3) | instid1(VALU_DEP_1)
	s_or_b32 exec_lo, exec_lo, s14
	v_lshrrev_b16 v8, 8, v8
	s_mov_b32 s15, 0
	s_mov_b32 s14, exec_lo
	v_cmpx_lt_i16_e32 0x7f, v8
	s_xor_b32 s14, exec_lo, s14
	s_cbranch_execz .LBB2_4157
; %bb.4151:                             ;   in Loop: Header=BB2_3742 Depth=3
	s_mov_b32 s15, -1
	s_mov_b32 s75, exec_lo
	v_cmpx_eq_u16_e32 0x80, v8
; %bb.4152:                             ;   in Loop: Header=BB2_3742 Depth=3
	s_xor_b32 s15, exec_lo, -1
; %bb.4153:                             ;   in Loop: Header=BB2_3742 Depth=3
	s_or_b32 exec_lo, exec_lo, s75
	s_delay_alu instid0(SALU_CYCLE_1)
	s_and_b32 s15, s15, exec_lo
	s_or_saveexec_b32 s14, s14
	v_bfrev_b32_e32 v12, 1
	s_xor_b32 exec_lo, exec_lo, s14
	s_cbranch_execnz .LBB2_4158
.LBB2_4154:                             ;   in Loop: Header=BB2_3742 Depth=3
	s_or_b32 exec_lo, exec_lo, s14
	s_and_saveexec_b32 s14, s15
	s_cbranch_execnz .LBB2_4159
	s_branch .LBB2_4162
.LBB2_4155:                             ;   in Loop: Header=BB2_3742 Depth=3
	s_or_saveexec_b32 s15, s15
	v_bfrev_b32_e32 v13, 1
	s_xor_b32 exec_lo, exec_lo, s15
	s_cbranch_execz .LBB2_4124
.LBB2_4156:                             ;   in Loop: Header=BB2_3742 Depth=3
	v_cmp_ne_u16_e64 s13, 0, v9
	v_mov_b32_e32 v13, 0
	s_and_not1_b32 s14, s14, exec_lo
	s_and_b32 s13, s13, exec_lo
	s_delay_alu instid0(SALU_CYCLE_1)
	s_or_b32 s14, s14, s13
	s_or_b32 exec_lo, exec_lo, s15
	v_mov_b32_e32 v9, v3
	s_and_saveexec_b32 s15, s14
	s_cbranch_execnz .LBB2_4125
	s_branch .LBB2_4126
.LBB2_4157:                             ;   in Loop: Header=BB2_3742 Depth=3
	s_or_saveexec_b32 s14, s14
	v_bfrev_b32_e32 v12, 1
	s_xor_b32 exec_lo, exec_lo, s14
	s_cbranch_execz .LBB2_4154
.LBB2_4158:                             ;   in Loop: Header=BB2_3742 Depth=3
	v_cmp_ne_u16_e64 s13, 0, v8
	v_mov_b32_e32 v12, 0
	s_and_not1_b32 s15, s15, exec_lo
	s_and_b32 s13, s13, exec_lo
	s_delay_alu instid0(SALU_CYCLE_1)
	s_or_b32 s15, s15, s13
	s_or_b32 exec_lo, exec_lo, s14
	s_and_saveexec_b32 s14, s15
	s_cbranch_execz .LBB2_4162
.LBB2_4159:                             ;   in Loop: Header=BB2_3742 Depth=3
	v_and_b32_e32 v2, 0xffff, v8
	v_mov_b32_e32 v12, 0x7f800001
	s_mov_b32 s15, exec_lo
	s_delay_alu instid0(VALU_DEP_2) | instskip(NEXT) | instid1(VALU_DEP_1)
	v_and_b32_e32 v13, 0x7f, v2
	v_cmpx_ne_u32_e32 0x7f, v13
	s_cbranch_execz .LBB2_4161
; %bb.4160:                             ;   in Loop: Header=BB2_3742 Depth=3
	v_and_b32_e32 v12, 7, v2
	v_cmp_gt_u32_e64 s13, 8, v13
	v_lshlrev_b32_e32 v8, 24, v8
	s_delay_alu instid0(VALU_DEP_3) | instskip(NEXT) | instid1(VALU_DEP_2)
	v_clz_i32_u32_e32 v18, v12
	v_and_b32_e32 v8, 0x80000000, v8
	s_delay_alu instid0(VALU_DEP_2) | instskip(NEXT) | instid1(VALU_DEP_1)
	v_min_u32_e32 v18, 32, v18
	v_subrev_nc_u32_e32 v19, 28, v18
	v_sub_nc_u32_e32 v18, 29, v18
	s_delay_alu instid0(VALU_DEP_2) | instskip(NEXT) | instid1(VALU_DEP_1)
	v_lshlrev_b64_e32 v[110:111], v19, v[2:3]
	v_dual_lshrrev_b32 v2, 3, v13 :: v_dual_bitop2_b32 v13, 7, v110 bitop3:0x40
	s_delay_alu instid0(VALU_DEP_1) | instskip(NEXT) | instid1(VALU_DEP_1)
	v_dual_cndmask_b32 v2, v2, v18, s13 :: v_dual_cndmask_b32 v12, v12, v13, s13
	v_lshl_add_u32 v2, v2, 23, 0x3c000000
	s_delay_alu instid0(VALU_DEP_2) | instskip(NEXT) | instid1(VALU_DEP_1)
	v_lshlrev_b32_e32 v12, 20, v12
	v_or3_b32 v12, v12, v8, v2
.LBB2_4161:                             ;   in Loop: Header=BB2_3742 Depth=3
	s_or_b32 exec_lo, exec_lo, s15
.LBB2_4162:                             ;   in Loop: Header=BB2_3742 Depth=3
	s_delay_alu instid0(SALU_CYCLE_1) | instskip(NEXT) | instid1(VALU_DEP_1)
	s_or_b32 exec_lo, exec_lo, s14
	v_add_f32_e32 v8, v9, v12
                                        ; implicit-def: $vgpr57
	s_mov_b32 s14, exec_lo
	s_delay_alu instid0(VALU_DEP_1) | instskip(SKIP_1) | instid1(VALU_DEP_2)
	v_and_b32_e32 v2, 0x7f800000, v8
	v_lshrrev_b32_e32 v9, 24, v8
	v_cmpx_ne_u64_e32 0x7f800000, v[2:3]
	s_xor_b32 s15, exec_lo, s14
	s_cbranch_execz .LBB2_4176
; %bb.4163:                             ;   in Loop: Header=BB2_3742 Depth=3
	v_and_b32_e32 v2, 0x7fffffff, v8
	v_and_b32_e32 v109, 0x80, v9
                                        ; implicit-def: $vgpr57
	s_mov_b32 s14, exec_lo
	s_delay_alu instid0(VALU_DEP_2)
	v_cmpx_gt_u64_e32 0x43e00001, v[2:3]
	s_xor_b32 s75, exec_lo, s14
	s_cbranch_execz .LBB2_4173
; %bb.4164:                             ;   in Loop: Header=BB2_3742 Depth=3
	v_mov_b32_e32 v57, 0
	s_mov_b32 s76, exec_lo
	v_cmpx_ne_u32_e32 0, v8
	s_cbranch_execz .LBB2_4172
; %bb.4165:                             ;   in Loop: Header=BB2_3742 Depth=3
	v_bfe_u32 v57, v8, 23, 8
	s_delay_alu instid0(VALU_DEP_1) | instskip(SKIP_1) | instid1(VALU_DEP_1)
	v_sub_nc_u32_e32 v2, 0x79, v57
	v_cmp_gt_u32_e64 s13, 0x7a, v57
	v_cndmask_b32_e64 v2, 0, v2, s13
	v_cmp_eq_u32_e64 s13, 0, v57
	s_delay_alu instid0(VALU_DEP_1) | instskip(SKIP_1) | instid1(VALU_DEP_2)
	v_cndmask_b32_e64 v110, v2, 0x78, s13
	v_and_b32_e32 v2, 0x7fffff, v8
	v_dual_add_nc_u32 v8, 20, v110 :: v_dual_add_nc_u32 v13, 19, v110
	s_delay_alu instid0(VALU_DEP_2) | instskip(NEXT) | instid1(VALU_DEP_2)
	v_or_b32_e32 v12, 0x800000, v2
	v_lshlrev_b64_e64 v[8:9], v8, -1
	s_delay_alu instid0(VALU_DEP_2) | instskip(NEXT) | instid1(VALU_DEP_4)
	v_cndmask_b32_e64 v2, v12, v2, s13
	v_lshlrev_b64_e64 v[12:13], v13, 1
	s_delay_alu instid0(VALU_DEP_3) | instskip(NEXT) | instid1(VALU_DEP_3)
	v_bfi_b32 v121, v9, 0, 0
	v_bfi_b32 v120, v8, 0, v2
	v_lshrrev_b64 v[8:9], v110, v[2:3]
	s_delay_alu instid0(VALU_DEP_2) | instskip(NEXT) | instid1(VALU_DEP_2)
	v_cmp_eq_u64_e64 s14, v[120:121], v[12:13]
	v_mov_b64_e32 v[12:13], v[8:9]
	s_and_saveexec_b32 s77, s14
; %bb.4166:                             ;   in Loop: Header=BB2_3742 Depth=3
	v_bfe_u32 v2, v8, 20, 1
	s_delay_alu instid0(VALU_DEP_1) | instskip(NEXT) | instid1(VALU_DEP_1)
	v_add_nc_u64_e32 v[12:13], v[8:9], v[2:3]
	v_add_nc_u64_e32 v[12:13], -1, v[12:13]
; %bb.4167:                             ;   in Loop: Header=BB2_3742 Depth=3
	s_or_b32 exec_lo, exec_lo, s77
	v_add_nc_u32_e32 v2, 0xffffff81, v57
	v_lshrrev_b32_e32 v9, 23, v8
	s_mov_b32 s14, exec_lo
	s_delay_alu instid0(VALU_DEP_2) | instskip(NEXT) | instid1(VALU_DEP_1)
	v_cndmask_b32_e64 v2, v2, 0xffffff82, s13
	v_add3_u32 v13, v110, v2, v9
	v_and_b32_e32 v2, 0xfffff, v12
                                        ; implicit-def: $vgpr12
	s_delay_alu instid0(VALU_DEP_1) | instskip(NEXT) | instid1(VALU_DEP_1)
	v_dual_add_nc_u32 v57, 6, v13 :: v_dual_add_nc_u32 v2, v2, v8
                                        ; implicit-def: $vgpr8_vgpr9
	v_cmpx_ne_u32_e32 0, v57
	s_xor_b32 s14, exec_lo, s14
; %bb.4168:                             ;   in Loop: Header=BB2_3742 Depth=3
	s_delay_alu instid0(VALU_DEP_2) | instskip(SKIP_1) | instid1(VALU_DEP_1)
	v_cmp_lt_u64_e64 s13, 0xffffff, v[2:3]
	v_add_nc_u32_e32 v8, 7, v13
	v_cndmask_b32_e64 v12, v57, v8, s13
	v_cndmask_b32_e64 v8, 0, 1, s13
	s_delay_alu instid0(VALU_DEP_1)
	v_lshrrev_b64 v[8:9], v8, v[2:3]
; %bb.4169:                             ;   in Loop: Header=BB2_3742 Depth=3
	s_and_not1_saveexec_b32 s13, s14
; %bb.4170:                             ;   in Loop: Header=BB2_3742 Depth=3
	v_mov_b64_e32 v[8:9], v[2:3]
	v_bfe_u32 v12, v2, 23, 1
; %bb.4171:                             ;   in Loop: Header=BB2_3742 Depth=3
	s_or_b32 exec_lo, exec_lo, s13
	s_delay_alu instid0(VALU_DEP_2) | instskip(NEXT) | instid1(VALU_DEP_2)
	v_lshrrev_b64 v[8:9], 20, v[8:9]
	v_cmp_gt_i32_e64 s13, 16, v12
	v_min_i32_e32 v2, 15, v12
	v_cmp_eq_u32_e64 s14, 0, v12
	s_delay_alu instid0(VALU_DEP_2) | instskip(SKIP_1) | instid1(VALU_DEP_2)
	v_dual_cndmask_b32 v9, 0, v9, s13 :: v_dual_lshlrev_b32 v2, 3, v2
	v_cndmask_b32_e64 v8, 7, v8, s13
	v_and_b32_e32 v2, 0xf8, v2
	s_delay_alu instid0(VALU_DEP_2) | instskip(NEXT) | instid1(VALU_DEP_2)
	v_cmp_eq_u64_e64 s13, 0, v[8:9]
	v_and_or_b32 v2, v8, 7, v2
	s_and_b32 s13, s14, s13
	s_delay_alu instid0(VALU_DEP_1) | instid1(SALU_CYCLE_1)
	v_cndmask_b32_e64 v2, v2, 0, s13
	s_delay_alu instid0(VALU_DEP_1)
	v_or_b32_e32 v57, v2, v109
.LBB2_4172:                             ;   in Loop: Header=BB2_3742 Depth=3
	s_or_b32 exec_lo, exec_lo, s76
                                        ; implicit-def: $vgpr109
.LBB2_4173:                             ;   in Loop: Header=BB2_3742 Depth=3
	s_and_not1_saveexec_b32 s13, s75
; %bb.4174:                             ;   in Loop: Header=BB2_3742 Depth=3
	v_or_b32_e32 v57, 0x7e, v109
; %bb.4175:                             ;   in Loop: Header=BB2_3742 Depth=3
	s_or_b32 exec_lo, exec_lo, s13
                                        ; implicit-def: $vgpr9
.LBB2_4176:                             ;   in Loop: Header=BB2_3742 Depth=3
	s_and_not1_saveexec_b32 s13, s15
; %bb.4177:                             ;   in Loop: Header=BB2_3742 Depth=3
	v_or_b32_e32 v57, 0x7f, v9
; %bb.4178:                             ;   in Loop: Header=BB2_3742 Depth=3
	s_or_b32 exec_lo, exec_lo, s13
	v_dual_mov_b32 v8, 0 :: v_dual_lshrrev_b32 v9, 16, v15
	s_mov_b32 s14, exec_lo
	s_delay_alu instid0(VALU_DEP_1) | instskip(NEXT) | instid1(VALU_DEP_1)
	v_and_b32_e32 v2, 0xff, v9
	v_cmpx_ne_u16_e32 0, v2
	s_cbranch_execz .LBB2_4186
; %bb.4179:                             ;   in Loop: Header=BB2_3742 Depth=3
	v_bfrev_b32_e32 v8, 1
	s_mov_b32 s15, exec_lo
	v_cmpx_ne_u16_e32 0x80, v2
	s_cbranch_execz .LBB2_4185
; %bb.4180:                             ;   in Loop: Header=BB2_3742 Depth=3
	v_bfe_u32 v12, v15, 16, 7
	v_mov_b32_e32 v8, 0x7f800001
	s_mov_b32 s75, exec_lo
	s_delay_alu instid0(VALU_DEP_2)
	v_cmpx_ne_u32_e32 0x7f, v12
	s_cbranch_execz .LBB2_4184
; %bb.4181:                             ;   in Loop: Header=BB2_3742 Depth=3
	v_dual_lshrrev_b32 v8, 3, v12 :: v_dual_bitop2_b32 v2, 7, v9 bitop3:0x40
	s_mov_b32 s76, exec_lo
	v_cmpx_gt_u32_e32 8, v12
; %bb.4182:                             ;   in Loop: Header=BB2_3742 Depth=3
	s_delay_alu instid0(VALU_DEP_2) | instskip(NEXT) | instid1(VALU_DEP_1)
	v_clz_i32_u32_e32 v8, v2
	v_min_u32_e32 v8, 32, v8
	s_delay_alu instid0(VALU_DEP_1) | instskip(SKIP_1) | instid1(VALU_DEP_2)
	v_subrev_nc_u32_e32 v12, 28, v8
	v_sub_nc_u32_e32 v8, 29, v8
	v_lshlrev_b64_e32 v[12:13], v12, v[2:3]
	s_delay_alu instid0(VALU_DEP_1)
	v_and_b32_e32 v2, 7, v12
; %bb.4183:                             ;   in Loop: Header=BB2_3742 Depth=3
	s_or_b32 exec_lo, exec_lo, s76
	s_delay_alu instid0(VALU_DEP_1) | instskip(SKIP_1) | instid1(VALU_DEP_2)
	v_dual_lshlrev_b32 v9, 24, v9 :: v_dual_lshlrev_b32 v2, 20, v2
	v_lshl_add_u32 v8, v8, 23, 0x3c000000
	v_and_b32_e32 v9, 0x80000000, v9
	s_delay_alu instid0(VALU_DEP_1)
	v_or3_b32 v8, v2, v9, v8
.LBB2_4184:                             ;   in Loop: Header=BB2_3742 Depth=3
	s_or_b32 exec_lo, exec_lo, s75
.LBB2_4185:                             ;   in Loop: Header=BB2_3742 Depth=3
	s_delay_alu instid0(SALU_CYCLE_1)
	s_or_b32 exec_lo, exec_lo, s15
.LBB2_4186:                             ;   in Loop: Header=BB2_3742 Depth=3
	s_delay_alu instid0(SALU_CYCLE_1) | instskip(SKIP_3) | instid1(VALU_DEP_1)
	s_or_b32 exec_lo, exec_lo, s14
	v_lshrrev_b32_e32 v2, 16, v11
	s_mov_b32 s15, 0
	s_mov_b32 s14, exec_lo
	v_and_b32_e32 v12, 0xff, v2
	s_delay_alu instid0(VALU_DEP_1)
	v_cmpx_lt_i16_e32 0x7f, v12
	s_xor_b32 s14, exec_lo, s14
	s_cbranch_execz .LBB2_4191
; %bb.4187:                             ;   in Loop: Header=BB2_3742 Depth=3
	s_mov_b32 s15, -1
	s_mov_b32 s75, exec_lo
	v_cmpx_eq_u16_e32 0x80, v12
; %bb.4188:                             ;   in Loop: Header=BB2_3742 Depth=3
	s_xor_b32 s15, exec_lo, -1
; %bb.4189:                             ;   in Loop: Header=BB2_3742 Depth=3
	s_or_b32 exec_lo, exec_lo, s75
	s_delay_alu instid0(SALU_CYCLE_1)
	s_and_b32 s15, s15, exec_lo
                                        ; implicit-def: $vgpr12
	s_or_saveexec_b32 s14, s14
	v_bfrev_b32_e32 v9, 1
	s_xor_b32 exec_lo, exec_lo, s14
	s_cbranch_execnz .LBB2_4192
.LBB2_4190:                             ;   in Loop: Header=BB2_3742 Depth=3
	s_or_b32 exec_lo, exec_lo, s14
	s_and_saveexec_b32 s14, s15
	s_cbranch_execnz .LBB2_4193
	s_branch .LBB2_4196
.LBB2_4191:                             ;   in Loop: Header=BB2_3742 Depth=3
	s_or_saveexec_b32 s14, s14
	v_bfrev_b32_e32 v9, 1
	s_xor_b32 exec_lo, exec_lo, s14
	s_cbranch_execz .LBB2_4190
.LBB2_4192:                             ;   in Loop: Header=BB2_3742 Depth=3
	v_cmp_ne_u16_e64 s13, 0, v12
	v_mov_b32_e32 v9, 0
	s_and_not1_b32 s15, s15, exec_lo
	s_and_b32 s13, s13, exec_lo
	s_delay_alu instid0(SALU_CYCLE_1)
	s_or_b32 s15, s15, s13
	s_or_b32 exec_lo, exec_lo, s14
	s_and_saveexec_b32 s14, s15
	s_cbranch_execz .LBB2_4196
.LBB2_4193:                             ;   in Loop: Header=BB2_3742 Depth=3
	v_and_b32_e32 v12, 0x7f, v2
	v_mov_b32_e32 v9, 0x7f800001
	s_mov_b32 s15, exec_lo
	s_delay_alu instid0(VALU_DEP_2)
	v_cmpx_ne_u32_e32 0x7f, v12
	s_cbranch_execz .LBB2_4195
; %bb.4194:                             ;   in Loop: Header=BB2_3742 Depth=3
	v_and_b32_e32 v9, 7, v2
	v_cmp_gt_u32_e64 s13, 8, v12
	s_delay_alu instid0(VALU_DEP_2) | instskip(NEXT) | instid1(VALU_DEP_1)
	v_clz_i32_u32_e32 v13, v9
	v_min_u32_e32 v13, 32, v13
	s_delay_alu instid0(VALU_DEP_1) | instskip(NEXT) | instid1(VALU_DEP_1)
	v_subrev_nc_u32_e32 v18, 28, v13
	v_lshlrev_b64_e32 v[110:111], v18, v[2:3]
	v_dual_lshrrev_b32 v18, 3, v12 :: v_dual_sub_nc_u32 v13, 29, v13
	s_delay_alu instid0(VALU_DEP_2) | instskip(NEXT) | instid1(VALU_DEP_2)
	v_and_b32_e32 v12, 7, v110
	v_dual_lshlrev_b32 v2, 24, v2 :: v_dual_cndmask_b32 v13, v18, v13, s13
	s_delay_alu instid0(VALU_DEP_2) | instskip(NEXT) | instid1(VALU_DEP_2)
	v_cndmask_b32_e64 v9, v9, v12, s13
	v_and_b32_e32 v2, 0x80000000, v2
	s_delay_alu instid0(VALU_DEP_3) | instskip(NEXT) | instid1(VALU_DEP_3)
	v_lshl_add_u32 v12, v13, 23, 0x3c000000
	v_lshlrev_b32_e32 v9, 20, v9
	s_delay_alu instid0(VALU_DEP_1)
	v_or3_b32 v9, v9, v2, v12
.LBB2_4195:                             ;   in Loop: Header=BB2_3742 Depth=3
	s_or_b32 exec_lo, exec_lo, s15
.LBB2_4196:                             ;   in Loop: Header=BB2_3742 Depth=3
	s_delay_alu instid0(SALU_CYCLE_1) | instskip(NEXT) | instid1(VALU_DEP_1)
	s_or_b32 exec_lo, exec_lo, s14
	v_add_f32_e32 v8, v8, v9
                                        ; implicit-def: $vgpr12
	s_mov_b32 s14, exec_lo
	s_delay_alu instid0(VALU_DEP_1) | instskip(SKIP_1) | instid1(VALU_DEP_2)
	v_and_b32_e32 v2, 0x7f800000, v8
	v_lshrrev_b32_e32 v9, 24, v8
	v_cmpx_ne_u64_e32 0x7f800000, v[2:3]
	s_xor_b32 s15, exec_lo, s14
	s_cbranch_execz .LBB2_4210
; %bb.4197:                             ;   in Loop: Header=BB2_3742 Depth=3
	v_and_b32_e32 v2, 0x7fffffff, v8
	v_and_b32_e32 v109, 0x80, v9
                                        ; implicit-def: $vgpr12
	s_mov_b32 s14, exec_lo
	s_delay_alu instid0(VALU_DEP_2)
	v_cmpx_gt_u64_e32 0x43e00001, v[2:3]
	s_xor_b32 s75, exec_lo, s14
	s_cbranch_execz .LBB2_4207
; %bb.4198:                             ;   in Loop: Header=BB2_3742 Depth=3
	v_mov_b32_e32 v12, 0
	s_mov_b32 s76, exec_lo
	v_cmpx_ne_u32_e32 0, v8
	s_cbranch_execz .LBB2_4206
; %bb.4199:                             ;   in Loop: Header=BB2_3742 Depth=3
	v_bfe_u32 v110, v8, 23, 8
	s_delay_alu instid0(VALU_DEP_1) | instskip(SKIP_1) | instid1(VALU_DEP_1)
	v_sub_nc_u32_e32 v2, 0x79, v110
	v_cmp_gt_u32_e64 s13, 0x7a, v110
	v_cndmask_b32_e64 v2, 0, v2, s13
	v_cmp_eq_u32_e64 s13, 0, v110
	s_delay_alu instid0(VALU_DEP_1) | instskip(SKIP_1) | instid1(VALU_DEP_2)
	v_cndmask_b32_e64 v111, v2, 0x78, s13
	v_and_b32_e32 v2, 0x7fffff, v8
	v_add_nc_u32_e32 v8, 20, v111
	s_delay_alu instid0(VALU_DEP_2) | instskip(SKIP_1) | instid1(VALU_DEP_3)
	v_or_b32_e32 v12, 0x800000, v2
	v_add_nc_u32_e32 v13, 19, v111
	v_lshlrev_b64_e64 v[8:9], v8, -1
	s_delay_alu instid0(VALU_DEP_3) | instskip(NEXT) | instid1(VALU_DEP_3)
	v_cndmask_b32_e64 v2, v12, v2, s13
	v_lshlrev_b64_e64 v[12:13], v13, 1
	s_delay_alu instid0(VALU_DEP_3) | instskip(NEXT) | instid1(VALU_DEP_3)
	v_bfi_b32 v121, v9, 0, 0
	v_bfi_b32 v120, v8, 0, v2
	v_lshrrev_b64 v[8:9], v111, v[2:3]
	s_delay_alu instid0(VALU_DEP_2) | instskip(NEXT) | instid1(VALU_DEP_2)
	v_cmp_eq_u64_e64 s14, v[120:121], v[12:13]
	v_mov_b64_e32 v[12:13], v[8:9]
	s_and_saveexec_b32 s77, s14
; %bb.4200:                             ;   in Loop: Header=BB2_3742 Depth=3
	v_bfe_u32 v2, v8, 20, 1
	s_delay_alu instid0(VALU_DEP_1) | instskip(NEXT) | instid1(VALU_DEP_1)
	v_add_nc_u64_e32 v[12:13], v[8:9], v[2:3]
	v_add_nc_u64_e32 v[12:13], -1, v[12:13]
; %bb.4201:                             ;   in Loop: Header=BB2_3742 Depth=3
	s_or_b32 exec_lo, exec_lo, s77
	v_add_nc_u32_e32 v2, 0xffffff81, v110
	v_lshrrev_b32_e32 v9, 23, v8
	s_mov_b32 s14, exec_lo
	s_delay_alu instid0(VALU_DEP_2) | instskip(NEXT) | instid1(VALU_DEP_1)
	v_cndmask_b32_e64 v2, v2, 0xffffff82, s13
	v_add3_u32 v13, v111, v2, v9
	v_and_b32_e32 v2, 0xfffff, v12
                                        ; implicit-def: $vgpr12
	s_delay_alu instid0(VALU_DEP_1) | instskip(NEXT) | instid1(VALU_DEP_1)
	v_dual_add_nc_u32 v110, 6, v13 :: v_dual_add_nc_u32 v2, v2, v8
                                        ; implicit-def: $vgpr8_vgpr9
	v_cmpx_ne_u32_e32 0, v110
	s_xor_b32 s14, exec_lo, s14
; %bb.4202:                             ;   in Loop: Header=BB2_3742 Depth=3
	s_delay_alu instid0(VALU_DEP_2) | instskip(SKIP_1) | instid1(VALU_DEP_1)
	v_cmp_lt_u64_e64 s13, 0xffffff, v[2:3]
	v_add_nc_u32_e32 v8, 7, v13
	v_cndmask_b32_e64 v12, v110, v8, s13
	v_cndmask_b32_e64 v8, 0, 1, s13
	s_delay_alu instid0(VALU_DEP_1)
	v_lshrrev_b64 v[8:9], v8, v[2:3]
; %bb.4203:                             ;   in Loop: Header=BB2_3742 Depth=3
	s_and_not1_saveexec_b32 s13, s14
; %bb.4204:                             ;   in Loop: Header=BB2_3742 Depth=3
	v_mov_b64_e32 v[8:9], v[2:3]
	v_bfe_u32 v12, v2, 23, 1
; %bb.4205:                             ;   in Loop: Header=BB2_3742 Depth=3
	s_or_b32 exec_lo, exec_lo, s13
	s_delay_alu instid0(VALU_DEP_2) | instskip(NEXT) | instid1(VALU_DEP_2)
	v_lshrrev_b64 v[8:9], 20, v[8:9]
	v_cmp_gt_i32_e64 s13, 16, v12
	v_min_i32_e32 v2, 15, v12
	v_cmp_eq_u32_e64 s14, 0, v12
	s_delay_alu instid0(VALU_DEP_2) | instskip(SKIP_1) | instid1(VALU_DEP_2)
	v_dual_cndmask_b32 v9, 0, v9, s13 :: v_dual_lshlrev_b32 v2, 3, v2
	v_cndmask_b32_e64 v8, 7, v8, s13
	v_and_b32_e32 v2, 0xf8, v2
	s_delay_alu instid0(VALU_DEP_2) | instskip(NEXT) | instid1(VALU_DEP_2)
	v_cmp_eq_u64_e64 s13, 0, v[8:9]
	v_and_or_b32 v2, v8, 7, v2
	s_and_b32 s13, s14, s13
	s_delay_alu instid0(VALU_DEP_1) | instid1(SALU_CYCLE_1)
	v_cndmask_b32_e64 v2, v2, 0, s13
	s_delay_alu instid0(VALU_DEP_1)
	v_or_b32_e32 v12, v2, v109
.LBB2_4206:                             ;   in Loop: Header=BB2_3742 Depth=3
	s_or_b32 exec_lo, exec_lo, s76
                                        ; implicit-def: $vgpr109
.LBB2_4207:                             ;   in Loop: Header=BB2_3742 Depth=3
	s_and_not1_saveexec_b32 s13, s75
; %bb.4208:                             ;   in Loop: Header=BB2_3742 Depth=3
	v_or_b32_e32 v12, 0x7e, v109
; %bb.4209:                             ;   in Loop: Header=BB2_3742 Depth=3
	s_or_b32 exec_lo, exec_lo, s13
                                        ; implicit-def: $vgpr9
.LBB2_4210:                             ;   in Loop: Header=BB2_3742 Depth=3
	s_and_not1_saveexec_b32 s13, s15
; %bb.4211:                             ;   in Loop: Header=BB2_3742 Depth=3
	v_or_b32_e32 v12, 0x7f, v9
; %bb.4212:                             ;   in Loop: Header=BB2_3742 Depth=3
	s_or_b32 exec_lo, exec_lo, s13
	v_mov_b32_e32 v8, 0
	s_mov_b32 s14, exec_lo
	v_cmpx_lt_u64_e64 s[22:23], v[14:15]
	s_cbranch_execz .LBB2_4220
; %bb.4213:                             ;   in Loop: Header=BB2_3742 Depth=3
	v_lshrrev_b32_e32 v9, 24, v15
	v_bfrev_b32_e32 v8, 1
	s_mov_b32 s15, exec_lo
	s_delay_alu instid0(VALU_DEP_2)
	v_cmpx_ne_u32_e32 0x80, v9
	s_cbranch_execz .LBB2_4219
; %bb.4214:                             ;   in Loop: Header=BB2_3742 Depth=3
	v_bfe_u32 v13, v15, 24, 7
	v_mov_b32_e32 v8, 0x7f800001
	s_mov_b32 s75, exec_lo
	s_delay_alu instid0(VALU_DEP_2)
	v_cmpx_ne_u32_e32 0x7f, v13
	s_cbranch_execz .LBB2_4218
; %bb.4215:                             ;   in Loop: Header=BB2_3742 Depth=3
	v_and_b32_e32 v2, 7, v9
	v_lshrrev_b32_e32 v8, 3, v13
	s_mov_b32 s76, exec_lo
	v_cmpx_gt_u32_e32 8, v13
; %bb.4216:                             ;   in Loop: Header=BB2_3742 Depth=3
	s_delay_alu instid0(VALU_DEP_3) | instskip(NEXT) | instid1(VALU_DEP_1)
	v_clz_i32_u32_e32 v8, v2
	v_min_u32_e32 v8, 32, v8
	s_delay_alu instid0(VALU_DEP_1) | instskip(NEXT) | instid1(VALU_DEP_1)
	v_subrev_nc_u32_e32 v13, 28, v8
	v_lshlrev_b64_e32 v[14:15], v13, v[2:3]
	s_delay_alu instid0(VALU_DEP_1)
	v_dual_sub_nc_u32 v8, 29, v8 :: v_dual_bitop2_b32 v2, 7, v14 bitop3:0x40
; %bb.4217:                             ;   in Loop: Header=BB2_3742 Depth=3
	s_or_b32 exec_lo, exec_lo, s76
	s_delay_alu instid0(VALU_DEP_1) | instskip(NEXT) | instid1(VALU_DEP_2)
	v_dual_lshlrev_b32 v9, 24, v9 :: v_dual_lshlrev_b32 v2, 20, v2
	v_lshl_add_u32 v8, v8, 23, 0x3c000000
	s_delay_alu instid0(VALU_DEP_2) | instskip(NEXT) | instid1(VALU_DEP_1)
	v_and_b32_e32 v9, 0x80000000, v9
	v_or3_b32 v8, v2, v9, v8
.LBB2_4218:                             ;   in Loop: Header=BB2_3742 Depth=3
	s_or_b32 exec_lo, exec_lo, s75
.LBB2_4219:                             ;   in Loop: Header=BB2_3742 Depth=3
	s_delay_alu instid0(SALU_CYCLE_1)
	s_or_b32 exec_lo, exec_lo, s15
.LBB2_4220:                             ;   in Loop: Header=BB2_3742 Depth=3
	s_delay_alu instid0(SALU_CYCLE_1) | instskip(SKIP_3) | instid1(VALU_DEP_3)
	s_or_b32 exec_lo, exec_lo, s14
	v_lshrrev_b32_e32 v2, 24, v11
	v_bfe_u32 v9, v11, 24, 7
	v_cmp_gt_u64_e64 s15, s[24:25], v[10:11]
	v_cmp_eq_u32_e64 s14, 0x80, v2
	s_delay_alu instid0(VALU_DEP_3) | instskip(NEXT) | instid1(VALU_DEP_2)
	v_cmp_eq_u32_e64 s13, 0x7f, v9
	v_cndmask_b32_e64 v13, 0x7f800001, v77, s14
	s_or_b32 s13, s14, s13
	s_delay_alu instid0(SALU_CYCLE_1) | instskip(NEXT) | instid1(VALU_DEP_1)
	s_nor_b32 s13, s15, s13
	v_cndmask_b32_e64 v10, v13, 0, s15
	s_and_saveexec_b32 s14, s13
	s_cbranch_execz .LBB2_4222
; %bb.4221:                             ;   in Loop: Header=BB2_3742 Depth=3
	v_and_b32_e32 v13, 7, v2
	v_cmp_gt_u32_e64 s13, 8, v9
	s_delay_alu instid0(VALU_DEP_2) | instskip(NEXT) | instid1(VALU_DEP_1)
	v_clz_i32_u32_e32 v10, v13
	v_min_u32_e32 v14, 32, v10
	s_delay_alu instid0(VALU_DEP_1) | instskip(NEXT) | instid1(VALU_DEP_1)
	v_subrev_nc_u32_e32 v10, 28, v14
	v_lshlrev_b64_e32 v[10:11], v10, v[2:3]
	s_delay_alu instid0(VALU_DEP_1) | instskip(NEXT) | instid1(VALU_DEP_1)
	v_dual_lshrrev_b32 v11, 3, v9 :: v_dual_bitop2_b32 v9, 7, v10 bitop3:0x40
	v_dual_sub_nc_u32 v14, 29, v14 :: v_dual_cndmask_b32 v9, v13, v9, s13
	v_lshlrev_b32_e32 v2, 24, v2
	s_delay_alu instid0(VALU_DEP_2) | instskip(NEXT) | instid1(VALU_DEP_2)
	v_dual_cndmask_b32 v10, v11, v14, s13 :: v_dual_lshlrev_b32 v9, 20, v9
	v_and_b32_e32 v2, 0x80000000, v2
	s_delay_alu instid0(VALU_DEP_2) | instskip(NEXT) | instid1(VALU_DEP_1)
	v_lshl_add_u32 v10, v10, 23, 0x3c000000
	v_or3_b32 v10, v9, v2, v10
.LBB2_4222:                             ;   in Loop: Header=BB2_3742 Depth=3
	s_or_b32 exec_lo, exec_lo, s14
	s_delay_alu instid0(VALU_DEP_1) | instskip(NEXT) | instid1(VALU_DEP_1)
	v_add_f32_e32 v8, v8, v10
	v_and_b32_e32 v2, 0x7f800000, v8
	v_lshrrev_b32_e32 v9, 24, v8
	s_delay_alu instid0(VALU_DEP_2) | instskip(SKIP_1) | instid1(SALU_CYCLE_1)
	v_cmp_ne_u64_e64 s13, 0x7f800000, v[2:3]
                                        ; implicit-def: $vgpr2
	s_and_saveexec_b32 s14, s13
	s_xor_b32 s15, exec_lo, s14
	s_cbranch_execz .LBB2_4236
; %bb.4223:                             ;   in Loop: Header=BB2_3742 Depth=3
	v_and_b32_e32 v2, 0x7fffffff, v8
	v_and_b32_e32 v13, 0x80, v9
	s_delay_alu instid0(VALU_DEP_2) | instskip(SKIP_1) | instid1(SALU_CYCLE_1)
	v_cmp_gt_u64_e64 s13, 0x43e00001, v[2:3]
                                        ; implicit-def: $vgpr2
	s_and_saveexec_b32 s14, s13
	s_xor_b32 s75, exec_lo, s14
	s_cbranch_execz .LBB2_4233
; %bb.4224:                             ;   in Loop: Header=BB2_3742 Depth=3
	v_mov_b32_e32 v2, 0
	s_mov_b32 s76, exec_lo
	v_cmpx_ne_u32_e32 0, v8
	s_cbranch_execz .LBB2_4232
; %bb.4225:                             ;   in Loop: Header=BB2_3742 Depth=3
	v_bfe_u32 v14, v8, 23, 8
	s_delay_alu instid0(VALU_DEP_1) | instskip(SKIP_1) | instid1(VALU_DEP_1)
	v_sub_nc_u32_e32 v2, 0x79, v14
	v_cmp_gt_u32_e64 s13, 0x7a, v14
	v_cndmask_b32_e64 v2, 0, v2, s13
	v_cmp_eq_u32_e64 s13, 0, v14
	s_delay_alu instid0(VALU_DEP_1) | instskip(SKIP_1) | instid1(VALU_DEP_2)
	v_cndmask_b32_e64 v15, v2, 0x78, s13
	v_and_b32_e32 v2, 0x7fffff, v8
	v_add_nc_u32_e32 v8, 20, v15
	s_delay_alu instid0(VALU_DEP_2) | instskip(SKIP_1) | instid1(VALU_DEP_3)
	v_or_b32_e32 v10, 0x800000, v2
	v_add_nc_u32_e32 v11, 19, v15
	v_lshlrev_b64_e64 v[8:9], v8, -1
	s_delay_alu instid0(VALU_DEP_3) | instskip(NEXT) | instid1(VALU_DEP_3)
	v_cndmask_b32_e64 v2, v10, v2, s13
	v_lshlrev_b64_e64 v[10:11], v11, 1
	s_delay_alu instid0(VALU_DEP_3) | instskip(NEXT) | instid1(VALU_DEP_3)
	v_bfi_b32 v111, v9, 0, 0
	v_bfi_b32 v110, v8, 0, v2
	v_lshrrev_b64 v[8:9], v15, v[2:3]
	s_delay_alu instid0(VALU_DEP_2) | instskip(NEXT) | instid1(VALU_DEP_2)
	v_cmp_eq_u64_e64 s14, v[110:111], v[10:11]
	v_mov_b64_e32 v[10:11], v[8:9]
	s_and_saveexec_b32 s77, s14
; %bb.4226:                             ;   in Loop: Header=BB2_3742 Depth=3
	v_bfe_u32 v2, v8, 20, 1
	s_delay_alu instid0(VALU_DEP_1) | instskip(NEXT) | instid1(VALU_DEP_1)
	v_add_nc_u64_e32 v[10:11], v[8:9], v[2:3]
	v_add_nc_u64_e32 v[10:11], -1, v[10:11]
; %bb.4227:                             ;   in Loop: Header=BB2_3742 Depth=3
	s_or_b32 exec_lo, exec_lo, s77
	v_add_nc_u32_e32 v2, 0xffffff81, v14
	v_lshrrev_b32_e32 v9, 23, v8
	s_mov_b32 s14, exec_lo
	s_delay_alu instid0(VALU_DEP_2) | instskip(NEXT) | instid1(VALU_DEP_1)
	v_cndmask_b32_e64 v2, v2, 0xffffff82, s13
	v_add3_u32 v11, v15, v2, v9
	v_and_b32_e32 v2, 0xfffff, v10
                                        ; implicit-def: $vgpr10
	s_delay_alu instid0(VALU_DEP_1) | instskip(NEXT) | instid1(VALU_DEP_1)
	v_dual_add_nc_u32 v14, 6, v11 :: v_dual_add_nc_u32 v2, v2, v8
                                        ; implicit-def: $vgpr8_vgpr9
	v_cmpx_ne_u32_e32 0, v14
	s_xor_b32 s14, exec_lo, s14
; %bb.4228:                             ;   in Loop: Header=BB2_3742 Depth=3
	s_delay_alu instid0(VALU_DEP_2) | instskip(SKIP_1) | instid1(VALU_DEP_1)
	v_cmp_lt_u64_e64 s13, 0xffffff, v[2:3]
	v_add_nc_u32_e32 v8, 7, v11
	v_cndmask_b32_e64 v10, v14, v8, s13
	v_cndmask_b32_e64 v8, 0, 1, s13
	s_delay_alu instid0(VALU_DEP_1)
	v_lshrrev_b64 v[8:9], v8, v[2:3]
; %bb.4229:                             ;   in Loop: Header=BB2_3742 Depth=3
	s_and_not1_saveexec_b32 s13, s14
; %bb.4230:                             ;   in Loop: Header=BB2_3742 Depth=3
	v_mov_b64_e32 v[8:9], v[2:3]
	v_bfe_u32 v10, v2, 23, 1
; %bb.4231:                             ;   in Loop: Header=BB2_3742 Depth=3
	s_or_b32 exec_lo, exec_lo, s13
	s_delay_alu instid0(VALU_DEP_2) | instskip(NEXT) | instid1(VALU_DEP_2)
	v_lshrrev_b64 v[8:9], 20, v[8:9]
	v_cmp_gt_i32_e64 s13, 16, v10
	v_min_i32_e32 v2, 15, v10
	v_cmp_eq_u32_e64 s14, 0, v10
	s_delay_alu instid0(VALU_DEP_2) | instskip(SKIP_1) | instid1(VALU_DEP_2)
	v_dual_cndmask_b32 v9, 0, v9, s13 :: v_dual_lshlrev_b32 v2, 3, v2
	v_cndmask_b32_e64 v8, 7, v8, s13
	v_and_b32_e32 v2, 0xf8, v2
	s_delay_alu instid0(VALU_DEP_2) | instskip(NEXT) | instid1(VALU_DEP_2)
	v_cmp_eq_u64_e64 s13, 0, v[8:9]
	v_and_or_b32 v2, v8, 7, v2
	s_and_b32 s13, s14, s13
	s_delay_alu instid0(VALU_DEP_1) | instid1(SALU_CYCLE_1)
	v_cndmask_b32_e64 v2, v2, 0, s13
	s_delay_alu instid0(VALU_DEP_1)
	v_or_b32_e32 v2, v2, v13
.LBB2_4232:                             ;   in Loop: Header=BB2_3742 Depth=3
	s_or_b32 exec_lo, exec_lo, s76
                                        ; implicit-def: $vgpr13
.LBB2_4233:                             ;   in Loop: Header=BB2_3742 Depth=3
	s_and_not1_saveexec_b32 s13, s75
; %bb.4234:                             ;   in Loop: Header=BB2_3742 Depth=3
	v_or_b32_e32 v2, 0x7e, v13
; %bb.4235:                             ;   in Loop: Header=BB2_3742 Depth=3
	s_or_b32 exec_lo, exec_lo, s13
                                        ; implicit-def: $vgpr9
.LBB2_4236:                             ;   in Loop: Header=BB2_3742 Depth=3
	s_and_not1_saveexec_b32 s13, s15
	s_cbranch_execz .LBB2_3741
; %bb.4237:                             ;   in Loop: Header=BB2_3742 Depth=3
	v_or_b32_e32 v2, 0x7f, v9
	s_branch .LBB2_3741
.LBB2_4238:                             ;   in Loop: Header=BB2_1811 Depth=2
	s_or_b32 exec_lo, exec_lo, s74
.LBB2_4239:                             ;   in Loop: Header=BB2_1811 Depth=2
	s_delay_alu instid0(SALU_CYCLE_1) | instskip(SKIP_3) | instid1(VALU_DEP_1)
	s_or_b32 exec_lo, exec_lo, s45
	v_dual_mov_b32 v42, 0 :: v_dual_bitop2_b32 v8, 15, v115 bitop3:0x40
	s_mov_b32 s14, 0
	s_mov_b32 s15, exec_lo
                                        ; implicit-def: $vgpr44
                                        ; implicit-def: $vgpr2
	v_cndmask_b32_e32 v43, v63, v8, vcc_lo
	s_delay_alu instid0(VALU_DEP_1)
	v_cmpx_ne_u32_e32 0, v43
	s_cbranch_execz .LBB2_4241
; %bb.4240:                             ;   in Loop: Header=BB2_1811 Depth=2
	v_cmp_lt_i32_e64 s13, 0, v91
	s_mov_b32 s14, exec_lo
	v_sub_nc_u32_e32 v8, v63, v8
	v_cndmask_b32_e64 v2, 0, v36, s13
	s_delay_alu instid0(VALU_DEP_1) | instskip(NEXT) | instid1(VALU_DEP_1)
	v_dual_cndmask_b32 v8, 0, v8, vcc_lo :: v_dual_sub_nc_u32 v2, v2, v91
	v_add3_u32 v42, v72, v62, v8
	s_delay_alu instid0(VALU_DEP_2) | instskip(NEXT) | instid1(VALU_DEP_1)
	v_lshl_add_u32 v44, v2, 5, v73
	v_ashrrev_i32_e32 v2, 31, v44
	s_delay_alu instid0(VALU_DEP_1) | instskip(NEXT) | instid1(VALU_DEP_1)
	v_lshrrev_b32_e32 v2, 27, v2
	v_add_nc_u32_e32 v2, v44, v2
	s_delay_alu instid0(VALU_DEP_1)
	v_ashrrev_i32_e32 v2, 5, v2
.LBB2_4241:                             ;   in Loop: Header=BB2_1811 Depth=2
	s_or_b32 exec_lo, exec_lo, s15
	s_delay_alu instid0(SALU_CYCLE_1)
	s_and_b32 s15, s14, exec_lo
.LBB2_4242:                             ;   in Loop: Header=BB2_1811 Depth=2
	s_or_b32 exec_lo, exec_lo, s44
	s_and_saveexec_b32 s14, s15
	s_cbranch_execz .LBB2_4575
.LBB2_4243:                             ;   in Loop: Header=BB2_1811 Depth=2
	v_ashrrev_i32_e32 v8, 31, v43
	s_mov_b32 s15, exec_lo
	s_delay_alu instid0(VALU_DEP_1) | instskip(NEXT) | instid1(VALU_DEP_1)
	v_lshrrev_b32_e32 v8, 24, v8
	v_add_nc_u32_e32 v8, v43, v8
	s_delay_alu instid0(VALU_DEP_1) | instskip(SKIP_1) | instid1(VALU_DEP_1)
	v_ashrrev_i32_e32 v46, 8, v8
	v_ashrrev_i32_e32 v8, 31, v44
	v_dual_lshrrev_b32 v45, 27, v8 :: v_dual_sub_nc_u32 v115, v46, v2
	s_delay_alu instid0(VALU_DEP_1)
	v_cmpx_lt_i32_e32 0, v115
	s_cbranch_execz .LBB2_4535
; %bb.4244:                             ;   in Loop: Header=BB2_1811 Depth=2
	s_delay_alu instid0(VALU_DEP_2)
	v_dual_add_nc_u32 v8, v44, v45 :: v_dual_lshlrev_b32 v2, 8, v2
	s_trap 2
	ds_load_b64 v[10:11], v0
	v_add_nc_u64_e32 v[14:15], 0xe0, v[40:41]
	v_and_b32_e32 v8, 0xffffffe0, v8
	s_mov_b32 s44, 0
	s_delay_alu instid0(VALU_DEP_1) | instskip(NEXT) | instid1(VALU_DEP_1)
	v_sub_nc_u32_e32 v8, v44, v8
	v_add3_u32 v12, v42, v8, v2
	s_delay_alu instid0(VALU_DEP_1) | instskip(NEXT) | instid1(VALU_DEP_1)
	v_ashrrev_i32_e32 v13, 31, v12
	v_add_nc_u64_e32 v[8:9], v[12:13], v[118:119]
	s_wait_dscnt 0x0
	v_add_nc_u64_e32 v[10:11], v[10:11], v[12:13]
	v_add_nc_u64_e32 v[12:13], v[14:15], v[12:13]
	s_branch .LBB2_4246
.LBB2_4245:                             ;   in Loop: Header=BB2_4246 Depth=3
	s_or_b32 exec_lo, exec_lo, s13
	v_sub_nc_u32_e32 v115, v115, v36
	s_clause 0x7
	flat_store_b8 v[12:13], v41 offset:-224 th:TH_STORE_NT
	flat_store_b8 v[12:13], v57 offset:-192 th:TH_STORE_NT
	;; [unrolled: 1-line block ×7, first 2 shown]
	flat_store_b8 v[12:13], v2 th:TH_STORE_NT
	v_add_nc_u64_e32 v[8:9], v[8:9], v[68:69]
	v_add_nc_u64_e32 v[10:11], v[10:11], v[68:69]
	s_wait_xcnt 0x0
	v_add_nc_u64_e32 v[12:13], v[12:13], v[68:69]
	v_cmp_gt_i32_e32 vcc_lo, 1, v115
	s_or_b32 s44, vcc_lo, s44
	s_delay_alu instid0(SALU_CYCLE_1)
	s_and_not1_b32 exec_lo, exec_lo, s44
	s_cbranch_execz .LBB2_4534
.LBB2_4246:                             ;   Parent Loop BB2_47 Depth=1
                                        ;     Parent Loop BB2_1811 Depth=2
                                        ; =>    This Inner Loop Header: Depth=3
	s_clause 0x7
	flat_load_u8 v119, v[8:9] th:TH_LOAD_NT
	flat_load_u8 v92, v[8:9] offset:32 th:TH_LOAD_NT
	flat_load_u8 v91, v[8:9] offset:64 th:TH_LOAD_NT
	;; [unrolled: 1-line block ×7, first 2 shown]
	s_clause 0x7
	flat_load_u8 v14, v[10:11] th:TH_LOAD_NT
	flat_load_u8 v57, v[10:11] offset:32 th:TH_LOAD_NT
	flat_load_u8 v60, v[10:11] offset:64 th:TH_LOAD_NT
	;; [unrolled: 1-line block ×7, first 2 shown]
	v_dual_mov_b32 v15, 0 :: v_dual_mov_b32 v118, 0
	s_mov_b32 s13, exec_lo
	s_wait_loadcnt_dscnt 0xf0f
	s_wait_xcnt 0x0
	v_cmpx_ne_u16_e32 0, v119
	s_cbranch_execz .LBB2_4254
; %bb.4247:                             ;   in Loop: Header=BB2_4246 Depth=3
	v_bfrev_b32_e32 v118, 1
	s_mov_b32 s45, exec_lo
	v_cmpx_ne_u16_e32 0x80, v119
	s_cbranch_execz .LBB2_4253
; %bb.4248:                             ;   in Loop: Header=BB2_4246 Depth=3
	v_and_b32_e32 v2, 0xffff, v119
	v_mov_b32_e32 v118, 0x7f800001
	s_mov_b32 s74, exec_lo
	s_delay_alu instid0(VALU_DEP_2) | instskip(NEXT) | instid1(VALU_DEP_1)
	v_and_b32_e32 v41, 0x7f, v2
	v_cmpx_ne_u32_e32 0x7f, v41
	s_cbranch_execz .LBB2_4252
; %bb.4249:                             ;   in Loop: Header=BB2_4246 Depth=3
	v_dual_lshrrev_b32 v118, 3, v41 :: v_dual_bitop2_b32 v2, 7, v2 bitop3:0x40
	s_mov_b32 s75, exec_lo
	v_cmpx_gt_u32_e32 8, v41
; %bb.4250:                             ;   in Loop: Header=BB2_4246 Depth=3
	s_delay_alu instid0(VALU_DEP_2) | instskip(NEXT) | instid1(VALU_DEP_1)
	v_clz_i32_u32_e32 v18, v2
	v_min_u32_e32 v18, 32, v18
	s_delay_alu instid0(VALU_DEP_1) | instskip(SKIP_1) | instid1(VALU_DEP_2)
	v_subrev_nc_u32_e32 v19, 28, v18
	v_sub_nc_u32_e32 v118, 29, v18
	v_lshlrev_b64_e32 v[94:95], v19, v[2:3]
	s_delay_alu instid0(VALU_DEP_1)
	v_and_b32_e32 v2, 7, v94
; %bb.4251:                             ;   in Loop: Header=BB2_4246 Depth=3
	s_or_b32 exec_lo, exec_lo, s75
	s_delay_alu instid0(VALU_DEP_1) | instskip(SKIP_1) | instid1(VALU_DEP_2)
	v_dual_lshlrev_b32 v18, 24, v119 :: v_dual_lshlrev_b32 v2, 20, v2
	v_lshl_add_u32 v19, v118, 23, 0x3c000000
	v_and_b32_e32 v18, 0x80000000, v18
	s_delay_alu instid0(VALU_DEP_1)
	v_or3_b32 v118, v2, v18, v19
.LBB2_4252:                             ;   in Loop: Header=BB2_4246 Depth=3
	s_or_b32 exec_lo, exec_lo, s74
.LBB2_4253:                             ;   in Loop: Header=BB2_4246 Depth=3
	s_delay_alu instid0(SALU_CYCLE_1)
	s_or_b32 exec_lo, exec_lo, s45
.LBB2_4254:                             ;   in Loop: Header=BB2_4246 Depth=3
	s_delay_alu instid0(SALU_CYCLE_1) | instskip(SKIP_3) | instid1(VALU_DEP_1)
	s_or_b32 exec_lo, exec_lo, s13
	s_wait_loadcnt_dscnt 0x707
	v_and_b32_e32 v2, 0xff, v14
	s_mov_b32 s13, exec_lo
	v_cmpx_ne_u16_e32 0, v2
	s_cbranch_execz .LBB2_4262
; %bb.4255:                             ;   in Loop: Header=BB2_4246 Depth=3
	v_bfrev_b32_e32 v15, 1
	s_mov_b32 s45, exec_lo
	v_cmpx_ne_u16_e32 0x80, v2
	s_cbranch_execz .LBB2_4261
; %bb.4256:                             ;   in Loop: Header=BB2_4246 Depth=3
	v_and_b32_e32 v119, 0x7f, v14
	v_mov_b32_e32 v15, 0x7f800001
	s_mov_b32 s74, exec_lo
	s_delay_alu instid0(VALU_DEP_2)
	v_cmpx_ne_u32_e32 0x7f, v119
	s_cbranch_execz .LBB2_4260
; %bb.4257:                             ;   in Loop: Header=BB2_4246 Depth=3
	v_dual_lshrrev_b32 v15, 3, v119 :: v_dual_bitop2_b32 v2, 7, v2 bitop3:0x40
	s_mov_b32 s75, exec_lo
	v_cmpx_gt_u32_e32 8, v119
; %bb.4258:                             ;   in Loop: Header=BB2_4246 Depth=3
	s_delay_alu instid0(VALU_DEP_2) | instskip(NEXT) | instid1(VALU_DEP_1)
	v_clz_i32_u32_e32 v15, v2
	v_min_u32_e32 v15, 32, v15
	s_delay_alu instid0(VALU_DEP_1) | instskip(NEXT) | instid1(VALU_DEP_1)
	v_subrev_nc_u32_e32 v18, 28, v15
	v_lshlrev_b64_e32 v[94:95], v18, v[2:3]
	s_delay_alu instid0(VALU_DEP_1)
	v_dual_sub_nc_u32 v15, 29, v15 :: v_dual_bitop2_b32 v2, 7, v94 bitop3:0x40
; %bb.4259:                             ;   in Loop: Header=BB2_4246 Depth=3
	s_or_b32 exec_lo, exec_lo, s75
	v_lshlrev_b32_e32 v14, 24, v14
	s_delay_alu instid0(VALU_DEP_2) | instskip(NEXT) | instid1(VALU_DEP_3)
	v_lshlrev_b32_e32 v2, 20, v2
	v_lshl_add_u32 v15, v15, 23, 0x3c000000
	s_delay_alu instid0(VALU_DEP_3) | instskip(NEXT) | instid1(VALU_DEP_1)
	v_and_b32_e32 v14, 0x80000000, v14
	v_or3_b32 v15, v2, v14, v15
.LBB2_4260:                             ;   in Loop: Header=BB2_4246 Depth=3
	s_or_b32 exec_lo, exec_lo, s74
.LBB2_4261:                             ;   in Loop: Header=BB2_4246 Depth=3
	s_delay_alu instid0(SALU_CYCLE_1)
	s_or_b32 exec_lo, exec_lo, s45
.LBB2_4262:                             ;   in Loop: Header=BB2_4246 Depth=3
	s_delay_alu instid0(SALU_CYCLE_1) | instskip(NEXT) | instid1(VALU_DEP_1)
	s_or_b32 exec_lo, exec_lo, s13
	v_add_f32_e32 v14, v118, v15
                                        ; implicit-def: $vgpr41
	s_mov_b32 s13, exec_lo
	s_delay_alu instid0(VALU_DEP_1) | instskip(SKIP_1) | instid1(VALU_DEP_2)
	v_and_b32_e32 v2, 0x7f800000, v14
	v_lshrrev_b32_e32 v15, 24, v14
	v_cmpx_ne_u64_e32 0x7f800000, v[2:3]
	s_xor_b32 s45, exec_lo, s13
	s_cbranch_execz .LBB2_4280
; %bb.4263:                             ;   in Loop: Header=BB2_4246 Depth=3
	v_and_b32_e32 v2, 0x7fffffff, v14
	v_and_b32_e32 v93, 0x80, v15
                                        ; implicit-def: $vgpr41
	s_mov_b32 s13, exec_lo
	s_delay_alu instid0(VALU_DEP_2)
	v_cmpx_gt_u64_e32 0x43e00001, v[2:3]
	s_xor_b32 s74, exec_lo, s13
	s_cbranch_execz .LBB2_4277
; %bb.4264:                             ;   in Loop: Header=BB2_4246 Depth=3
	v_mov_b32_e32 v41, 0
	s_mov_b32 s75, exec_lo
	v_cmpx_ne_u32_e32 0, v14
	s_cbranch_execz .LBB2_4276
; %bb.4265:                             ;   in Loop: Header=BB2_4246 Depth=3
	v_bfe_u32 v41, v14, 23, 8
	s_delay_alu instid0(VALU_DEP_1) | instskip(SKIP_1) | instid1(VALU_DEP_2)
	v_sub_nc_u32_e32 v2, 0x79, v41
	v_cmp_gt_u32_e32 vcc_lo, 0x7a, v41
	v_cndmask_b32_e32 v2, 0, v2, vcc_lo
	v_cmp_eq_u32_e32 vcc_lo, 0, v41
	s_delay_alu instid0(VALU_DEP_2) | instskip(SKIP_1) | instid1(VALU_DEP_2)
	v_cndmask_b32_e64 v94, v2, 0x78, vcc_lo
	v_and_b32_e32 v2, 0x7fffff, v14
	v_dual_add_nc_u32 v14, 20, v94 :: v_dual_add_nc_u32 v19, 19, v94
	s_delay_alu instid0(VALU_DEP_2) | instskip(NEXT) | instid1(VALU_DEP_2)
	v_or_b32_e32 v18, 0x800000, v2
	v_lshlrev_b64_e64 v[14:15], v14, -1
	s_delay_alu instid0(VALU_DEP_3) | instskip(NEXT) | instid1(VALU_DEP_3)
	v_lshlrev_b64_e64 v[118:119], v19, 1
	v_cndmask_b32_e32 v2, v18, v2, vcc_lo
	s_delay_alu instid0(VALU_DEP_3) | instskip(NEXT) | instid1(VALU_DEP_2)
	v_bfi_b32 v105, v15, 0, 0
	v_bfi_b32 v104, v14, 0, v2
	v_lshrrev_b64 v[14:15], v94, v[2:3]
	s_delay_alu instid0(VALU_DEP_2) | instskip(NEXT) | instid1(VALU_DEP_2)
	v_cmp_eq_u64_e64 s13, v[104:105], v[118:119]
	v_mov_b64_e32 v[118:119], v[14:15]
	s_and_saveexec_b32 s76, s13
; %bb.4266:                             ;   in Loop: Header=BB2_4246 Depth=3
	v_bfe_u32 v2, v14, 20, 1
	s_delay_alu instid0(VALU_DEP_1) | instskip(NEXT) | instid1(VALU_DEP_1)
	v_add_nc_u64_e32 v[118:119], v[14:15], v[2:3]
	v_add_nc_u64_e32 v[118:119], -1, v[118:119]
; %bb.4267:                             ;   in Loop: Header=BB2_4246 Depth=3
	s_or_b32 exec_lo, exec_lo, s76
	v_add_nc_u32_e32 v2, 0xffffff81, v41
	v_lshrrev_b32_e32 v15, 23, v14
	s_mov_b32 s13, exec_lo
	s_delay_alu instid0(VALU_DEP_2) | instskip(NEXT) | instid1(VALU_DEP_1)
	v_cndmask_b32_e64 v2, v2, 0xffffff82, vcc_lo
	v_add3_u32 v119, v94, v2, v15
	v_and_b32_e32 v2, 0xfffff, v118
                                        ; implicit-def: $vgpr118
	s_delay_alu instid0(VALU_DEP_1) | instskip(NEXT) | instid1(VALU_DEP_1)
	v_dual_add_nc_u32 v41, 6, v119 :: v_dual_add_nc_u32 v2, v2, v14
                                        ; implicit-def: $vgpr14_vgpr15
	v_cmpx_ne_u32_e32 0, v41
	s_xor_b32 s13, exec_lo, s13
; %bb.4268:                             ;   in Loop: Header=BB2_4246 Depth=3
	s_delay_alu instid0(VALU_DEP_2) | instskip(SKIP_1) | instid1(VALU_DEP_1)
	v_cmp_lt_u64_e32 vcc_lo, 0xffffff, v[2:3]
	v_add_nc_u32_e32 v14, 7, v119
	v_cndmask_b32_e32 v118, v41, v14, vcc_lo
	v_cndmask_b32_e64 v14, 0, 1, vcc_lo
	s_delay_alu instid0(VALU_DEP_1)
	v_lshrrev_b64 v[14:15], v14, v[2:3]
; %bb.4269:                             ;   in Loop: Header=BB2_4246 Depth=3
	s_and_not1_saveexec_b32 s13, s13
; %bb.4270:                             ;   in Loop: Header=BB2_4246 Depth=3
	v_mov_b64_e32 v[14:15], v[2:3]
	v_bfe_u32 v118, v2, 23, 1
; %bb.4271:                             ;   in Loop: Header=BB2_4246 Depth=3
	s_or_b32 exec_lo, exec_lo, s13
	s_delay_alu instid0(VALU_DEP_2) | instskip(NEXT) | instid1(VALU_DEP_2)
	v_lshrrev_b64 v[14:15], 20, v[14:15]
	v_cmp_gt_i32_e32 vcc_lo, 16, v118
	v_cmp_ne_u32_e64 s13, 0, v118
                                        ; implicit-def: $vgpr41
	s_delay_alu instid0(VALU_DEP_3) | instskip(NEXT) | instid1(VALU_DEP_1)
	v_dual_cndmask_b32 v15, 0, v15 :: v_dual_cndmask_b32 v14, 7, v14
	v_cmp_ne_u64_e32 vcc_lo, 0, v[14:15]
	s_or_b32 s13, s13, vcc_lo
	s_delay_alu instid0(SALU_CYCLE_1) | instskip(NEXT) | instid1(SALU_CYCLE_1)
	s_and_saveexec_b32 s76, s13
	s_xor_b32 s13, exec_lo, s76
; %bb.4272:                             ;   in Loop: Header=BB2_4246 Depth=3
	v_min_i32_e32 v2, 15, v118
	s_delay_alu instid0(VALU_DEP_1) | instskip(NEXT) | instid1(VALU_DEP_1)
	v_lshl_or_b32 v2, v2, 3, v93
                                        ; implicit-def: $vgpr93
	v_and_or_b32 v41, v14, 7, v2
; %bb.4273:                             ;   in Loop: Header=BB2_4246 Depth=3
	s_and_not1_saveexec_b32 s13, s13
; %bb.4274:                             ;   in Loop: Header=BB2_4246 Depth=3
	v_mov_b32_e32 v41, v93
; %bb.4275:                             ;   in Loop: Header=BB2_4246 Depth=3
	s_or_b32 exec_lo, exec_lo, s13
.LBB2_4276:                             ;   in Loop: Header=BB2_4246 Depth=3
	s_delay_alu instid0(SALU_CYCLE_1)
	s_or_b32 exec_lo, exec_lo, s75
                                        ; implicit-def: $vgpr93
.LBB2_4277:                             ;   in Loop: Header=BB2_4246 Depth=3
	s_and_not1_saveexec_b32 s13, s74
; %bb.4278:                             ;   in Loop: Header=BB2_4246 Depth=3
	v_or_b32_e32 v41, 0x7e, v93
; %bb.4279:                             ;   in Loop: Header=BB2_4246 Depth=3
	s_or_b32 exec_lo, exec_lo, s13
                                        ; implicit-def: $vgpr15
.LBB2_4280:                             ;   in Loop: Header=BB2_4246 Depth=3
	s_and_not1_saveexec_b32 s13, s45
; %bb.4281:                             ;   in Loop: Header=BB2_4246 Depth=3
	v_or_b32_e32 v41, 0x7f, v15
; %bb.4282:                             ;   in Loop: Header=BB2_4246 Depth=3
	s_or_b32 exec_lo, exec_lo, s13
	v_and_b32_e32 v2, 0xff, v92
	v_dual_mov_b32 v14, 0 :: v_dual_mov_b32 v15, 0
	s_mov_b32 s13, exec_lo
	s_delay_alu instid0(VALU_DEP_2)
	v_cmpx_ne_u16_e32 0, v2
	s_cbranch_execz .LBB2_4290
; %bb.4283:                             ;   in Loop: Header=BB2_4246 Depth=3
	v_bfrev_b32_e32 v15, 1
	s_mov_b32 s45, exec_lo
	v_cmpx_ne_u16_e32 0x80, v2
	s_cbranch_execz .LBB2_4289
; %bb.4284:                             ;   in Loop: Header=BB2_4246 Depth=3
	v_and_b32_e32 v118, 0x7f, v92
	v_mov_b32_e32 v15, 0x7f800001
	s_mov_b32 s74, exec_lo
	s_delay_alu instid0(VALU_DEP_2)
	v_cmpx_ne_u32_e32 0x7f, v118
	s_cbranch_execz .LBB2_4288
; %bb.4285:                             ;   in Loop: Header=BB2_4246 Depth=3
	v_and_b32_e32 v2, 7, v2
	v_lshrrev_b32_e32 v15, 3, v118
	s_mov_b32 s75, exec_lo
	v_cmpx_gt_u32_e32 8, v118
; %bb.4286:                             ;   in Loop: Header=BB2_4246 Depth=3
	s_delay_alu instid0(VALU_DEP_3) | instskip(NEXT) | instid1(VALU_DEP_1)
	v_clz_i32_u32_e32 v15, v2
	v_min_u32_e32 v15, 32, v15
	s_delay_alu instid0(VALU_DEP_1) | instskip(NEXT) | instid1(VALU_DEP_1)
	v_subrev_nc_u32_e32 v18, 28, v15
	v_lshlrev_b64_e32 v[118:119], v18, v[2:3]
	s_delay_alu instid0(VALU_DEP_1)
	v_dual_sub_nc_u32 v15, 29, v15 :: v_dual_bitop2_b32 v2, 7, v118 bitop3:0x40
; %bb.4287:                             ;   in Loop: Header=BB2_4246 Depth=3
	s_or_b32 exec_lo, exec_lo, s75
	s_delay_alu instid0(VALU_DEP_1) | instskip(NEXT) | instid1(VALU_DEP_2)
	v_dual_lshlrev_b32 v18, 24, v92 :: v_dual_lshlrev_b32 v2, 20, v2
	v_lshl_add_u32 v15, v15, 23, 0x3c000000
	s_delay_alu instid0(VALU_DEP_2) | instskip(NEXT) | instid1(VALU_DEP_1)
	v_and_b32_e32 v18, 0x80000000, v18
	v_or3_b32 v15, v2, v18, v15
.LBB2_4288:                             ;   in Loop: Header=BB2_4246 Depth=3
	s_or_b32 exec_lo, exec_lo, s74
.LBB2_4289:                             ;   in Loop: Header=BB2_4246 Depth=3
	s_delay_alu instid0(SALU_CYCLE_1)
	s_or_b32 exec_lo, exec_lo, s45
.LBB2_4290:                             ;   in Loop: Header=BB2_4246 Depth=3
	s_delay_alu instid0(SALU_CYCLE_1) | instskip(SKIP_3) | instid1(VALU_DEP_1)
	s_or_b32 exec_lo, exec_lo, s13
	s_wait_loadcnt_dscnt 0x606
	v_and_b32_e32 v2, 0xff, v57
	s_mov_b32 s13, exec_lo
	v_cmpx_ne_u16_e32 0, v2
	s_cbranch_execz .LBB2_4298
; %bb.4291:                             ;   in Loop: Header=BB2_4246 Depth=3
	v_bfrev_b32_e32 v14, 1
	s_mov_b32 s45, exec_lo
	v_cmpx_ne_u16_e32 0x80, v2
	s_cbranch_execz .LBB2_4297
; %bb.4292:                             ;   in Loop: Header=BB2_4246 Depth=3
	v_and_b32_e32 v118, 0x7f, v57
	v_mov_b32_e32 v14, 0x7f800001
	s_mov_b32 s74, exec_lo
	s_delay_alu instid0(VALU_DEP_2)
	v_cmpx_ne_u32_e32 0x7f, v118
	s_cbranch_execz .LBB2_4296
; %bb.4293:                             ;   in Loop: Header=BB2_4246 Depth=3
	v_and_b32_e32 v2, 7, v2
	v_lshrrev_b32_e32 v14, 3, v118
	s_mov_b32 s75, exec_lo
	v_cmpx_gt_u32_e32 8, v118
; %bb.4294:                             ;   in Loop: Header=BB2_4246 Depth=3
	s_delay_alu instid0(VALU_DEP_3) | instskip(NEXT) | instid1(VALU_DEP_1)
	v_clz_i32_u32_e32 v14, v2
	v_min_u32_e32 v14, 32, v14
	s_delay_alu instid0(VALU_DEP_1) | instskip(SKIP_1) | instid1(VALU_DEP_2)
	v_subrev_nc_u32_e32 v18, 28, v14
	v_sub_nc_u32_e32 v14, 29, v14
	v_lshlrev_b64_e32 v[118:119], v18, v[2:3]
	s_delay_alu instid0(VALU_DEP_1)
	v_and_b32_e32 v2, 7, v118
; %bb.4295:                             ;   in Loop: Header=BB2_4246 Depth=3
	s_or_b32 exec_lo, exec_lo, s75
	s_delay_alu instid0(VALU_DEP_1) | instskip(SKIP_1) | instid1(VALU_DEP_2)
	v_dual_lshlrev_b32 v18, 24, v57 :: v_dual_lshlrev_b32 v2, 20, v2
	v_lshl_add_u32 v14, v14, 23, 0x3c000000
	v_and_b32_e32 v18, 0x80000000, v18
	s_delay_alu instid0(VALU_DEP_1)
	v_or3_b32 v14, v2, v18, v14
.LBB2_4296:                             ;   in Loop: Header=BB2_4246 Depth=3
	s_or_b32 exec_lo, exec_lo, s74
.LBB2_4297:                             ;   in Loop: Header=BB2_4246 Depth=3
	s_delay_alu instid0(SALU_CYCLE_1)
	s_or_b32 exec_lo, exec_lo, s45
.LBB2_4298:                             ;   in Loop: Header=BB2_4246 Depth=3
	s_delay_alu instid0(SALU_CYCLE_1) | instskip(NEXT) | instid1(VALU_DEP_1)
	s_or_b32 exec_lo, exec_lo, s13
	v_add_f32_e32 v14, v15, v14
                                        ; implicit-def: $vgpr57
	s_mov_b32 s13, exec_lo
	s_delay_alu instid0(VALU_DEP_1) | instskip(SKIP_1) | instid1(VALU_DEP_2)
	v_and_b32_e32 v2, 0x7f800000, v14
	v_lshrrev_b32_e32 v15, 24, v14
	v_cmpx_ne_u64_e32 0x7f800000, v[2:3]
	s_xor_b32 s45, exec_lo, s13
	s_cbranch_execz .LBB2_4316
; %bb.4299:                             ;   in Loop: Header=BB2_4246 Depth=3
	v_and_b32_e32 v2, 0x7fffffff, v14
	v_and_b32_e32 v92, 0x80, v15
                                        ; implicit-def: $vgpr57
	s_mov_b32 s13, exec_lo
	s_delay_alu instid0(VALU_DEP_2)
	v_cmpx_gt_u64_e32 0x43e00001, v[2:3]
	s_xor_b32 s74, exec_lo, s13
	s_cbranch_execz .LBB2_4313
; %bb.4300:                             ;   in Loop: Header=BB2_4246 Depth=3
	v_mov_b32_e32 v57, 0
	s_mov_b32 s75, exec_lo
	v_cmpx_ne_u32_e32 0, v14
	s_cbranch_execz .LBB2_4312
; %bb.4301:                             ;   in Loop: Header=BB2_4246 Depth=3
	v_bfe_u32 v57, v14, 23, 8
	s_delay_alu instid0(VALU_DEP_1) | instskip(SKIP_1) | instid1(VALU_DEP_2)
	v_sub_nc_u32_e32 v2, 0x79, v57
	v_cmp_gt_u32_e32 vcc_lo, 0x7a, v57
	v_cndmask_b32_e32 v2, 0, v2, vcc_lo
	v_cmp_eq_u32_e32 vcc_lo, 0, v57
	s_delay_alu instid0(VALU_DEP_2) | instskip(SKIP_1) | instid1(VALU_DEP_2)
	v_cndmask_b32_e64 v93, v2, 0x78, vcc_lo
	v_and_b32_e32 v2, 0x7fffff, v14
	v_add_nc_u32_e32 v14, 20, v93
	s_delay_alu instid0(VALU_DEP_2) | instskip(SKIP_1) | instid1(VALU_DEP_3)
	v_or_b32_e32 v18, 0x800000, v2
	v_add_nc_u32_e32 v19, 19, v93
	v_lshlrev_b64_e64 v[14:15], v14, -1
	s_delay_alu instid0(VALU_DEP_3) | instskip(NEXT) | instid1(VALU_DEP_3)
	v_cndmask_b32_e32 v2, v18, v2, vcc_lo
	v_lshlrev_b64_e64 v[118:119], v19, 1
	s_delay_alu instid0(VALU_DEP_3) | instskip(NEXT) | instid1(VALU_DEP_3)
	v_bfi_b32 v95, v15, 0, 0
	v_bfi_b32 v94, v14, 0, v2
	v_lshrrev_b64 v[14:15], v93, v[2:3]
	s_delay_alu instid0(VALU_DEP_2) | instskip(NEXT) | instid1(VALU_DEP_2)
	v_cmp_eq_u64_e64 s13, v[94:95], v[118:119]
	v_mov_b64_e32 v[118:119], v[14:15]
	s_and_saveexec_b32 s76, s13
; %bb.4302:                             ;   in Loop: Header=BB2_4246 Depth=3
	v_bfe_u32 v2, v14, 20, 1
	s_delay_alu instid0(VALU_DEP_1) | instskip(NEXT) | instid1(VALU_DEP_1)
	v_add_nc_u64_e32 v[118:119], v[14:15], v[2:3]
	v_add_nc_u64_e32 v[118:119], -1, v[118:119]
; %bb.4303:                             ;   in Loop: Header=BB2_4246 Depth=3
	s_or_b32 exec_lo, exec_lo, s76
	v_add_nc_u32_e32 v2, 0xffffff81, v57
	v_lshrrev_b32_e32 v15, 23, v14
	s_mov_b32 s13, exec_lo
	s_delay_alu instid0(VALU_DEP_2) | instskip(NEXT) | instid1(VALU_DEP_1)
	v_cndmask_b32_e64 v2, v2, 0xffffff82, vcc_lo
	v_add3_u32 v119, v93, v2, v15
	v_and_b32_e32 v2, 0xfffff, v118
                                        ; implicit-def: $vgpr118
	s_delay_alu instid0(VALU_DEP_1) | instskip(NEXT) | instid1(VALU_DEP_1)
	v_dual_add_nc_u32 v57, 6, v119 :: v_dual_add_nc_u32 v2, v2, v14
                                        ; implicit-def: $vgpr14_vgpr15
	v_cmpx_ne_u32_e32 0, v57
	s_xor_b32 s13, exec_lo, s13
; %bb.4304:                             ;   in Loop: Header=BB2_4246 Depth=3
	s_delay_alu instid0(VALU_DEP_2) | instskip(SKIP_1) | instid1(VALU_DEP_1)
	v_cmp_lt_u64_e32 vcc_lo, 0xffffff, v[2:3]
	v_add_nc_u32_e32 v14, 7, v119
	v_cndmask_b32_e32 v118, v57, v14, vcc_lo
	v_cndmask_b32_e64 v14, 0, 1, vcc_lo
	s_delay_alu instid0(VALU_DEP_1)
	v_lshrrev_b64 v[14:15], v14, v[2:3]
; %bb.4305:                             ;   in Loop: Header=BB2_4246 Depth=3
	s_and_not1_saveexec_b32 s13, s13
; %bb.4306:                             ;   in Loop: Header=BB2_4246 Depth=3
	v_mov_b64_e32 v[14:15], v[2:3]
	v_bfe_u32 v118, v2, 23, 1
; %bb.4307:                             ;   in Loop: Header=BB2_4246 Depth=3
	s_or_b32 exec_lo, exec_lo, s13
	s_delay_alu instid0(VALU_DEP_2) | instskip(NEXT) | instid1(VALU_DEP_2)
	v_lshrrev_b64 v[14:15], 20, v[14:15]
	v_cmp_gt_i32_e32 vcc_lo, 16, v118
	v_cmp_ne_u32_e64 s13, 0, v118
                                        ; implicit-def: $vgpr57
	s_delay_alu instid0(VALU_DEP_3) | instskip(NEXT) | instid1(VALU_DEP_1)
	v_dual_cndmask_b32 v15, 0, v15 :: v_dual_cndmask_b32 v14, 7, v14
	v_cmp_ne_u64_e32 vcc_lo, 0, v[14:15]
	s_or_b32 s13, s13, vcc_lo
	s_delay_alu instid0(SALU_CYCLE_1) | instskip(NEXT) | instid1(SALU_CYCLE_1)
	s_and_saveexec_b32 s76, s13
	s_xor_b32 s13, exec_lo, s76
; %bb.4308:                             ;   in Loop: Header=BB2_4246 Depth=3
	v_min_i32_e32 v2, 15, v118
	s_delay_alu instid0(VALU_DEP_1) | instskip(NEXT) | instid1(VALU_DEP_1)
	v_lshl_or_b32 v2, v2, 3, v92
                                        ; implicit-def: $vgpr92
	v_and_or_b32 v57, v14, 7, v2
; %bb.4309:                             ;   in Loop: Header=BB2_4246 Depth=3
	s_and_not1_saveexec_b32 s13, s13
; %bb.4310:                             ;   in Loop: Header=BB2_4246 Depth=3
	v_mov_b32_e32 v57, v92
; %bb.4311:                             ;   in Loop: Header=BB2_4246 Depth=3
	s_or_b32 exec_lo, exec_lo, s13
.LBB2_4312:                             ;   in Loop: Header=BB2_4246 Depth=3
	s_delay_alu instid0(SALU_CYCLE_1)
	s_or_b32 exec_lo, exec_lo, s75
                                        ; implicit-def: $vgpr92
.LBB2_4313:                             ;   in Loop: Header=BB2_4246 Depth=3
	s_and_not1_saveexec_b32 s13, s74
; %bb.4314:                             ;   in Loop: Header=BB2_4246 Depth=3
	v_or_b32_e32 v57, 0x7e, v92
; %bb.4315:                             ;   in Loop: Header=BB2_4246 Depth=3
	s_or_b32 exec_lo, exec_lo, s13
                                        ; implicit-def: $vgpr15
.LBB2_4316:                             ;   in Loop: Header=BB2_4246 Depth=3
	s_and_not1_saveexec_b32 s13, s45
; %bb.4317:                             ;   in Loop: Header=BB2_4246 Depth=3
	v_or_b32_e32 v57, 0x7f, v15
; %bb.4318:                             ;   in Loop: Header=BB2_4246 Depth=3
	s_or_b32 exec_lo, exec_lo, s13
	v_and_b32_e32 v2, 0xff, v91
	v_dual_mov_b32 v14, 0 :: v_dual_mov_b32 v15, 0
	s_mov_b32 s13, exec_lo
	s_delay_alu instid0(VALU_DEP_2)
	v_cmpx_ne_u16_e32 0, v2
	s_cbranch_execz .LBB2_4326
; %bb.4319:                             ;   in Loop: Header=BB2_4246 Depth=3
	v_bfrev_b32_e32 v15, 1
	s_mov_b32 s45, exec_lo
	v_cmpx_ne_u16_e32 0x80, v2
	s_cbranch_execz .LBB2_4325
; %bb.4320:                             ;   in Loop: Header=BB2_4246 Depth=3
	v_and_b32_e32 v118, 0x7f, v91
	v_mov_b32_e32 v15, 0x7f800001
	s_mov_b32 s74, exec_lo
	s_delay_alu instid0(VALU_DEP_2)
	v_cmpx_ne_u32_e32 0x7f, v118
	s_cbranch_execz .LBB2_4324
; %bb.4321:                             ;   in Loop: Header=BB2_4246 Depth=3
	v_and_b32_e32 v2, 7, v2
	v_lshrrev_b32_e32 v15, 3, v118
	s_mov_b32 s75, exec_lo
	v_cmpx_gt_u32_e32 8, v118
; %bb.4322:                             ;   in Loop: Header=BB2_4246 Depth=3
	s_delay_alu instid0(VALU_DEP_3) | instskip(NEXT) | instid1(VALU_DEP_1)
	v_clz_i32_u32_e32 v15, v2
	v_min_u32_e32 v15, 32, v15
	s_delay_alu instid0(VALU_DEP_1) | instskip(NEXT) | instid1(VALU_DEP_1)
	v_subrev_nc_u32_e32 v18, 28, v15
	v_lshlrev_b64_e32 v[118:119], v18, v[2:3]
	s_delay_alu instid0(VALU_DEP_1)
	v_dual_sub_nc_u32 v15, 29, v15 :: v_dual_bitop2_b32 v2, 7, v118 bitop3:0x40
; %bb.4323:                             ;   in Loop: Header=BB2_4246 Depth=3
	s_or_b32 exec_lo, exec_lo, s75
	s_delay_alu instid0(VALU_DEP_1) | instskip(NEXT) | instid1(VALU_DEP_2)
	v_dual_lshlrev_b32 v18, 24, v91 :: v_dual_lshlrev_b32 v2, 20, v2
	v_lshl_add_u32 v15, v15, 23, 0x3c000000
	s_delay_alu instid0(VALU_DEP_2) | instskip(NEXT) | instid1(VALU_DEP_1)
	v_and_b32_e32 v18, 0x80000000, v18
	v_or3_b32 v15, v2, v18, v15
.LBB2_4324:                             ;   in Loop: Header=BB2_4246 Depth=3
	s_or_b32 exec_lo, exec_lo, s74
.LBB2_4325:                             ;   in Loop: Header=BB2_4246 Depth=3
	s_delay_alu instid0(SALU_CYCLE_1)
	s_or_b32 exec_lo, exec_lo, s45
.LBB2_4326:                             ;   in Loop: Header=BB2_4246 Depth=3
	s_delay_alu instid0(SALU_CYCLE_1) | instskip(SKIP_3) | instid1(VALU_DEP_1)
	s_or_b32 exec_lo, exec_lo, s13
	s_wait_loadcnt_dscnt 0x505
	v_and_b32_e32 v2, 0xff, v60
	s_mov_b32 s13, exec_lo
	v_cmpx_ne_u16_e32 0, v2
	s_cbranch_execz .LBB2_4334
; %bb.4327:                             ;   in Loop: Header=BB2_4246 Depth=3
	v_bfrev_b32_e32 v14, 1
	s_mov_b32 s45, exec_lo
	v_cmpx_ne_u16_e32 0x80, v2
	s_cbranch_execz .LBB2_4333
; %bb.4328:                             ;   in Loop: Header=BB2_4246 Depth=3
	v_and_b32_e32 v118, 0x7f, v60
	v_mov_b32_e32 v14, 0x7f800001
	s_mov_b32 s74, exec_lo
	s_delay_alu instid0(VALU_DEP_2)
	v_cmpx_ne_u32_e32 0x7f, v118
	s_cbranch_execz .LBB2_4332
; %bb.4329:                             ;   in Loop: Header=BB2_4246 Depth=3
	v_and_b32_e32 v2, 7, v2
	v_lshrrev_b32_e32 v14, 3, v118
	s_mov_b32 s75, exec_lo
	v_cmpx_gt_u32_e32 8, v118
; %bb.4330:                             ;   in Loop: Header=BB2_4246 Depth=3
	s_delay_alu instid0(VALU_DEP_3) | instskip(NEXT) | instid1(VALU_DEP_1)
	v_clz_i32_u32_e32 v14, v2
	v_min_u32_e32 v14, 32, v14
	s_delay_alu instid0(VALU_DEP_1) | instskip(SKIP_1) | instid1(VALU_DEP_2)
	v_subrev_nc_u32_e32 v18, 28, v14
	v_sub_nc_u32_e32 v14, 29, v14
	v_lshlrev_b64_e32 v[118:119], v18, v[2:3]
	s_delay_alu instid0(VALU_DEP_1)
	v_and_b32_e32 v2, 7, v118
; %bb.4331:                             ;   in Loop: Header=BB2_4246 Depth=3
	s_or_b32 exec_lo, exec_lo, s75
	s_delay_alu instid0(VALU_DEP_1) | instskip(SKIP_1) | instid1(VALU_DEP_2)
	v_dual_lshlrev_b32 v18, 24, v60 :: v_dual_lshlrev_b32 v2, 20, v2
	v_lshl_add_u32 v14, v14, 23, 0x3c000000
	v_and_b32_e32 v18, 0x80000000, v18
	s_delay_alu instid0(VALU_DEP_1)
	v_or3_b32 v14, v2, v18, v14
.LBB2_4332:                             ;   in Loop: Header=BB2_4246 Depth=3
	s_or_b32 exec_lo, exec_lo, s74
.LBB2_4333:                             ;   in Loop: Header=BB2_4246 Depth=3
	s_delay_alu instid0(SALU_CYCLE_1)
	s_or_b32 exec_lo, exec_lo, s45
.LBB2_4334:                             ;   in Loop: Header=BB2_4246 Depth=3
	s_delay_alu instid0(SALU_CYCLE_1) | instskip(NEXT) | instid1(VALU_DEP_1)
	s_or_b32 exec_lo, exec_lo, s13
	v_add_f32_e32 v14, v15, v14
                                        ; implicit-def: $vgpr60
	s_mov_b32 s13, exec_lo
	s_delay_alu instid0(VALU_DEP_1) | instskip(SKIP_1) | instid1(VALU_DEP_2)
	v_and_b32_e32 v2, 0x7f800000, v14
	v_lshrrev_b32_e32 v15, 24, v14
	v_cmpx_ne_u64_e32 0x7f800000, v[2:3]
	s_xor_b32 s45, exec_lo, s13
	s_cbranch_execz .LBB2_4352
; %bb.4335:                             ;   in Loop: Header=BB2_4246 Depth=3
	v_and_b32_e32 v2, 0x7fffffff, v14
	v_and_b32_e32 v91, 0x80, v15
                                        ; implicit-def: $vgpr60
	s_mov_b32 s13, exec_lo
	s_delay_alu instid0(VALU_DEP_2)
	v_cmpx_gt_u64_e32 0x43e00001, v[2:3]
	s_xor_b32 s74, exec_lo, s13
	s_cbranch_execz .LBB2_4349
; %bb.4336:                             ;   in Loop: Header=BB2_4246 Depth=3
	v_mov_b32_e32 v60, 0
	s_mov_b32 s75, exec_lo
	v_cmpx_ne_u32_e32 0, v14
	s_cbranch_execz .LBB2_4348
; %bb.4337:                             ;   in Loop: Header=BB2_4246 Depth=3
	v_bfe_u32 v60, v14, 23, 8
	s_delay_alu instid0(VALU_DEP_1) | instskip(SKIP_1) | instid1(VALU_DEP_2)
	v_sub_nc_u32_e32 v2, 0x79, v60
	v_cmp_gt_u32_e32 vcc_lo, 0x7a, v60
	v_cndmask_b32_e32 v2, 0, v2, vcc_lo
	v_cmp_eq_u32_e32 vcc_lo, 0, v60
	s_delay_alu instid0(VALU_DEP_2) | instskip(SKIP_1) | instid1(VALU_DEP_2)
	v_cndmask_b32_e64 v92, v2, 0x78, vcc_lo
	v_and_b32_e32 v2, 0x7fffff, v14
	v_add_nc_u32_e32 v14, 20, v92
	s_delay_alu instid0(VALU_DEP_2) | instskip(SKIP_1) | instid1(VALU_DEP_3)
	v_or_b32_e32 v18, 0x800000, v2
	v_add_nc_u32_e32 v19, 19, v92
	v_lshlrev_b64_e64 v[14:15], v14, -1
	s_delay_alu instid0(VALU_DEP_3) | instskip(NEXT) | instid1(VALU_DEP_3)
	v_cndmask_b32_e32 v2, v18, v2, vcc_lo
	v_lshlrev_b64_e64 v[118:119], v19, 1
	s_delay_alu instid0(VALU_DEP_3) | instskip(NEXT) | instid1(VALU_DEP_3)
	v_bfi_b32 v95, v15, 0, 0
	v_bfi_b32 v94, v14, 0, v2
	v_lshrrev_b64 v[14:15], v92, v[2:3]
	s_delay_alu instid0(VALU_DEP_2) | instskip(NEXT) | instid1(VALU_DEP_2)
	v_cmp_eq_u64_e64 s13, v[94:95], v[118:119]
	v_mov_b64_e32 v[118:119], v[14:15]
	s_and_saveexec_b32 s76, s13
; %bb.4338:                             ;   in Loop: Header=BB2_4246 Depth=3
	v_bfe_u32 v2, v14, 20, 1
	s_delay_alu instid0(VALU_DEP_1) | instskip(NEXT) | instid1(VALU_DEP_1)
	v_add_nc_u64_e32 v[118:119], v[14:15], v[2:3]
	v_add_nc_u64_e32 v[118:119], -1, v[118:119]
; %bb.4339:                             ;   in Loop: Header=BB2_4246 Depth=3
	s_or_b32 exec_lo, exec_lo, s76
	v_add_nc_u32_e32 v2, 0xffffff81, v60
	v_lshrrev_b32_e32 v15, 23, v14
	s_mov_b32 s13, exec_lo
	s_delay_alu instid0(VALU_DEP_2) | instskip(NEXT) | instid1(VALU_DEP_1)
	v_cndmask_b32_e64 v2, v2, 0xffffff82, vcc_lo
	v_add3_u32 v119, v92, v2, v15
	v_and_b32_e32 v2, 0xfffff, v118
                                        ; implicit-def: $vgpr118
	s_delay_alu instid0(VALU_DEP_1) | instskip(NEXT) | instid1(VALU_DEP_1)
	v_dual_add_nc_u32 v60, 6, v119 :: v_dual_add_nc_u32 v2, v2, v14
                                        ; implicit-def: $vgpr14_vgpr15
	v_cmpx_ne_u32_e32 0, v60
	s_xor_b32 s13, exec_lo, s13
; %bb.4340:                             ;   in Loop: Header=BB2_4246 Depth=3
	s_delay_alu instid0(VALU_DEP_2) | instskip(SKIP_1) | instid1(VALU_DEP_1)
	v_cmp_lt_u64_e32 vcc_lo, 0xffffff, v[2:3]
	v_add_nc_u32_e32 v14, 7, v119
	v_cndmask_b32_e32 v118, v60, v14, vcc_lo
	v_cndmask_b32_e64 v14, 0, 1, vcc_lo
	s_delay_alu instid0(VALU_DEP_1)
	v_lshrrev_b64 v[14:15], v14, v[2:3]
; %bb.4341:                             ;   in Loop: Header=BB2_4246 Depth=3
	s_and_not1_saveexec_b32 s13, s13
; %bb.4342:                             ;   in Loop: Header=BB2_4246 Depth=3
	v_mov_b64_e32 v[14:15], v[2:3]
	v_bfe_u32 v118, v2, 23, 1
; %bb.4343:                             ;   in Loop: Header=BB2_4246 Depth=3
	s_or_b32 exec_lo, exec_lo, s13
	s_delay_alu instid0(VALU_DEP_2) | instskip(NEXT) | instid1(VALU_DEP_2)
	v_lshrrev_b64 v[14:15], 20, v[14:15]
	v_cmp_gt_i32_e32 vcc_lo, 16, v118
	v_cmp_ne_u32_e64 s13, 0, v118
                                        ; implicit-def: $vgpr60
	s_delay_alu instid0(VALU_DEP_3) | instskip(NEXT) | instid1(VALU_DEP_1)
	v_dual_cndmask_b32 v15, 0, v15 :: v_dual_cndmask_b32 v14, 7, v14
	v_cmp_ne_u64_e32 vcc_lo, 0, v[14:15]
	s_or_b32 s13, s13, vcc_lo
	s_delay_alu instid0(SALU_CYCLE_1) | instskip(NEXT) | instid1(SALU_CYCLE_1)
	s_and_saveexec_b32 s76, s13
	s_xor_b32 s13, exec_lo, s76
; %bb.4344:                             ;   in Loop: Header=BB2_4246 Depth=3
	v_min_i32_e32 v2, 15, v118
	s_delay_alu instid0(VALU_DEP_1) | instskip(NEXT) | instid1(VALU_DEP_1)
	v_lshl_or_b32 v2, v2, 3, v91
                                        ; implicit-def: $vgpr91
	v_and_or_b32 v60, v14, 7, v2
; %bb.4345:                             ;   in Loop: Header=BB2_4246 Depth=3
	s_and_not1_saveexec_b32 s13, s13
; %bb.4346:                             ;   in Loop: Header=BB2_4246 Depth=3
	v_mov_b32_e32 v60, v91
; %bb.4347:                             ;   in Loop: Header=BB2_4246 Depth=3
	s_or_b32 exec_lo, exec_lo, s13
.LBB2_4348:                             ;   in Loop: Header=BB2_4246 Depth=3
	s_delay_alu instid0(SALU_CYCLE_1)
	s_or_b32 exec_lo, exec_lo, s75
                                        ; implicit-def: $vgpr91
.LBB2_4349:                             ;   in Loop: Header=BB2_4246 Depth=3
	s_and_not1_saveexec_b32 s13, s74
; %bb.4350:                             ;   in Loop: Header=BB2_4246 Depth=3
	v_or_b32_e32 v60, 0x7e, v91
; %bb.4351:                             ;   in Loop: Header=BB2_4246 Depth=3
	s_or_b32 exec_lo, exec_lo, s13
                                        ; implicit-def: $vgpr15
.LBB2_4352:                             ;   in Loop: Header=BB2_4246 Depth=3
	s_and_not1_saveexec_b32 s13, s45
; %bb.4353:                             ;   in Loop: Header=BB2_4246 Depth=3
	v_or_b32_e32 v60, 0x7f, v15
; %bb.4354:                             ;   in Loop: Header=BB2_4246 Depth=3
	s_or_b32 exec_lo, exec_lo, s13
	v_and_b32_e32 v2, 0xff, v73
	v_dual_mov_b32 v14, 0 :: v_dual_mov_b32 v15, 0
	s_mov_b32 s13, exec_lo
	s_delay_alu instid0(VALU_DEP_2)
	v_cmpx_ne_u16_e32 0, v2
	s_cbranch_execz .LBB2_4362
; %bb.4355:                             ;   in Loop: Header=BB2_4246 Depth=3
	v_bfrev_b32_e32 v15, 1
	s_mov_b32 s45, exec_lo
	v_cmpx_ne_u16_e32 0x80, v2
	s_cbranch_execz .LBB2_4361
; %bb.4356:                             ;   in Loop: Header=BB2_4246 Depth=3
	v_and_b32_e32 v118, 0x7f, v73
	v_mov_b32_e32 v15, 0x7f800001
	s_mov_b32 s74, exec_lo
	s_delay_alu instid0(VALU_DEP_2)
	v_cmpx_ne_u32_e32 0x7f, v118
	s_cbranch_execz .LBB2_4360
; %bb.4357:                             ;   in Loop: Header=BB2_4246 Depth=3
	v_and_b32_e32 v2, 7, v2
	v_lshrrev_b32_e32 v15, 3, v118
	s_mov_b32 s75, exec_lo
	v_cmpx_gt_u32_e32 8, v118
; %bb.4358:                             ;   in Loop: Header=BB2_4246 Depth=3
	s_delay_alu instid0(VALU_DEP_3) | instskip(NEXT) | instid1(VALU_DEP_1)
	v_clz_i32_u32_e32 v15, v2
	v_min_u32_e32 v15, 32, v15
	s_delay_alu instid0(VALU_DEP_1) | instskip(NEXT) | instid1(VALU_DEP_1)
	v_subrev_nc_u32_e32 v18, 28, v15
	v_lshlrev_b64_e32 v[118:119], v18, v[2:3]
	s_delay_alu instid0(VALU_DEP_1)
	v_dual_sub_nc_u32 v15, 29, v15 :: v_dual_bitop2_b32 v2, 7, v118 bitop3:0x40
; %bb.4359:                             ;   in Loop: Header=BB2_4246 Depth=3
	s_or_b32 exec_lo, exec_lo, s75
	s_delay_alu instid0(VALU_DEP_1) | instskip(NEXT) | instid1(VALU_DEP_2)
	v_dual_lshlrev_b32 v18, 24, v73 :: v_dual_lshlrev_b32 v2, 20, v2
	v_lshl_add_u32 v15, v15, 23, 0x3c000000
	s_delay_alu instid0(VALU_DEP_2) | instskip(NEXT) | instid1(VALU_DEP_1)
	v_and_b32_e32 v18, 0x80000000, v18
	v_or3_b32 v15, v2, v18, v15
.LBB2_4360:                             ;   in Loop: Header=BB2_4246 Depth=3
	s_or_b32 exec_lo, exec_lo, s74
.LBB2_4361:                             ;   in Loop: Header=BB2_4246 Depth=3
	s_delay_alu instid0(SALU_CYCLE_1)
	s_or_b32 exec_lo, exec_lo, s45
.LBB2_4362:                             ;   in Loop: Header=BB2_4246 Depth=3
	s_delay_alu instid0(SALU_CYCLE_1) | instskip(SKIP_3) | instid1(VALU_DEP_1)
	s_or_b32 exec_lo, exec_lo, s13
	s_wait_loadcnt_dscnt 0x404
	v_and_b32_e32 v2, 0xff, v63
	s_mov_b32 s13, exec_lo
	v_cmpx_ne_u16_e32 0, v2
	s_cbranch_execz .LBB2_4370
; %bb.4363:                             ;   in Loop: Header=BB2_4246 Depth=3
	v_bfrev_b32_e32 v14, 1
	s_mov_b32 s45, exec_lo
	v_cmpx_ne_u16_e32 0x80, v2
	s_cbranch_execz .LBB2_4369
; %bb.4364:                             ;   in Loop: Header=BB2_4246 Depth=3
	v_and_b32_e32 v118, 0x7f, v63
	v_mov_b32_e32 v14, 0x7f800001
	s_mov_b32 s74, exec_lo
	s_delay_alu instid0(VALU_DEP_2)
	v_cmpx_ne_u32_e32 0x7f, v118
	s_cbranch_execz .LBB2_4368
; %bb.4365:                             ;   in Loop: Header=BB2_4246 Depth=3
	v_and_b32_e32 v2, 7, v2
	v_lshrrev_b32_e32 v14, 3, v118
	s_mov_b32 s75, exec_lo
	v_cmpx_gt_u32_e32 8, v118
; %bb.4366:                             ;   in Loop: Header=BB2_4246 Depth=3
	s_delay_alu instid0(VALU_DEP_3) | instskip(NEXT) | instid1(VALU_DEP_1)
	v_clz_i32_u32_e32 v14, v2
	v_min_u32_e32 v14, 32, v14
	s_delay_alu instid0(VALU_DEP_1) | instskip(SKIP_1) | instid1(VALU_DEP_2)
	v_subrev_nc_u32_e32 v18, 28, v14
	v_sub_nc_u32_e32 v14, 29, v14
	v_lshlrev_b64_e32 v[118:119], v18, v[2:3]
	s_delay_alu instid0(VALU_DEP_1)
	v_and_b32_e32 v2, 7, v118
; %bb.4367:                             ;   in Loop: Header=BB2_4246 Depth=3
	s_or_b32 exec_lo, exec_lo, s75
	s_delay_alu instid0(VALU_DEP_1) | instskip(SKIP_1) | instid1(VALU_DEP_2)
	v_dual_lshlrev_b32 v18, 24, v63 :: v_dual_lshlrev_b32 v2, 20, v2
	v_lshl_add_u32 v14, v14, 23, 0x3c000000
	v_and_b32_e32 v18, 0x80000000, v18
	s_delay_alu instid0(VALU_DEP_1)
	v_or3_b32 v14, v2, v18, v14
.LBB2_4368:                             ;   in Loop: Header=BB2_4246 Depth=3
	s_or_b32 exec_lo, exec_lo, s74
.LBB2_4369:                             ;   in Loop: Header=BB2_4246 Depth=3
	s_delay_alu instid0(SALU_CYCLE_1)
	s_or_b32 exec_lo, exec_lo, s45
.LBB2_4370:                             ;   in Loop: Header=BB2_4246 Depth=3
	s_delay_alu instid0(SALU_CYCLE_1) | instskip(NEXT) | instid1(VALU_DEP_1)
	s_or_b32 exec_lo, exec_lo, s13
	v_add_f32_e32 v14, v15, v14
                                        ; implicit-def: $vgpr63
	s_mov_b32 s13, exec_lo
	s_delay_alu instid0(VALU_DEP_1) | instskip(SKIP_1) | instid1(VALU_DEP_2)
	v_and_b32_e32 v2, 0x7f800000, v14
	v_lshrrev_b32_e32 v15, 24, v14
	v_cmpx_ne_u64_e32 0x7f800000, v[2:3]
	s_xor_b32 s45, exec_lo, s13
	s_cbranch_execz .LBB2_4388
; %bb.4371:                             ;   in Loop: Header=BB2_4246 Depth=3
	v_and_b32_e32 v2, 0x7fffffff, v14
	v_and_b32_e32 v73, 0x80, v15
                                        ; implicit-def: $vgpr63
	s_mov_b32 s13, exec_lo
	s_delay_alu instid0(VALU_DEP_2)
	v_cmpx_gt_u64_e32 0x43e00001, v[2:3]
	s_xor_b32 s74, exec_lo, s13
	s_cbranch_execz .LBB2_4385
; %bb.4372:                             ;   in Loop: Header=BB2_4246 Depth=3
	v_mov_b32_e32 v63, 0
	s_mov_b32 s75, exec_lo
	v_cmpx_ne_u32_e32 0, v14
	s_cbranch_execz .LBB2_4384
; %bb.4373:                             ;   in Loop: Header=BB2_4246 Depth=3
	v_bfe_u32 v63, v14, 23, 8
	s_delay_alu instid0(VALU_DEP_1) | instskip(SKIP_1) | instid1(VALU_DEP_2)
	v_sub_nc_u32_e32 v2, 0x79, v63
	v_cmp_gt_u32_e32 vcc_lo, 0x7a, v63
	v_cndmask_b32_e32 v2, 0, v2, vcc_lo
	v_cmp_eq_u32_e32 vcc_lo, 0, v63
	s_delay_alu instid0(VALU_DEP_2) | instskip(SKIP_1) | instid1(VALU_DEP_2)
	v_cndmask_b32_e64 v91, v2, 0x78, vcc_lo
	v_and_b32_e32 v2, 0x7fffff, v14
	v_add_nc_u32_e32 v14, 20, v91
	s_delay_alu instid0(VALU_DEP_2) | instskip(SKIP_1) | instid1(VALU_DEP_3)
	v_or_b32_e32 v18, 0x800000, v2
	v_add_nc_u32_e32 v19, 19, v91
	v_lshlrev_b64_e64 v[14:15], v14, -1
	s_delay_alu instid0(VALU_DEP_3) | instskip(NEXT) | instid1(VALU_DEP_3)
	v_cndmask_b32_e32 v2, v18, v2, vcc_lo
	v_lshlrev_b64_e64 v[118:119], v19, 1
	s_delay_alu instid0(VALU_DEP_3) | instskip(NEXT) | instid1(VALU_DEP_3)
	v_bfi_b32 v93, v15, 0, 0
	v_bfi_b32 v92, v14, 0, v2
	v_lshrrev_b64 v[14:15], v91, v[2:3]
	s_delay_alu instid0(VALU_DEP_2) | instskip(NEXT) | instid1(VALU_DEP_2)
	v_cmp_eq_u64_e64 s13, v[92:93], v[118:119]
	v_mov_b64_e32 v[118:119], v[14:15]
	s_and_saveexec_b32 s76, s13
; %bb.4374:                             ;   in Loop: Header=BB2_4246 Depth=3
	v_bfe_u32 v2, v14, 20, 1
	s_delay_alu instid0(VALU_DEP_1) | instskip(NEXT) | instid1(VALU_DEP_1)
	v_add_nc_u64_e32 v[118:119], v[14:15], v[2:3]
	v_add_nc_u64_e32 v[118:119], -1, v[118:119]
; %bb.4375:                             ;   in Loop: Header=BB2_4246 Depth=3
	s_or_b32 exec_lo, exec_lo, s76
	v_add_nc_u32_e32 v2, 0xffffff81, v63
	v_lshrrev_b32_e32 v15, 23, v14
	s_mov_b32 s13, exec_lo
	s_delay_alu instid0(VALU_DEP_2) | instskip(NEXT) | instid1(VALU_DEP_1)
	v_cndmask_b32_e64 v2, v2, 0xffffff82, vcc_lo
	v_add3_u32 v119, v91, v2, v15
	v_and_b32_e32 v2, 0xfffff, v118
                                        ; implicit-def: $vgpr118
	s_delay_alu instid0(VALU_DEP_1) | instskip(NEXT) | instid1(VALU_DEP_1)
	v_dual_add_nc_u32 v63, 6, v119 :: v_dual_add_nc_u32 v2, v2, v14
                                        ; implicit-def: $vgpr14_vgpr15
	v_cmpx_ne_u32_e32 0, v63
	s_xor_b32 s13, exec_lo, s13
; %bb.4376:                             ;   in Loop: Header=BB2_4246 Depth=3
	s_delay_alu instid0(VALU_DEP_2) | instskip(SKIP_1) | instid1(VALU_DEP_1)
	v_cmp_lt_u64_e32 vcc_lo, 0xffffff, v[2:3]
	v_add_nc_u32_e32 v14, 7, v119
	v_cndmask_b32_e32 v118, v63, v14, vcc_lo
	v_cndmask_b32_e64 v14, 0, 1, vcc_lo
	s_delay_alu instid0(VALU_DEP_1)
	v_lshrrev_b64 v[14:15], v14, v[2:3]
; %bb.4377:                             ;   in Loop: Header=BB2_4246 Depth=3
	s_and_not1_saveexec_b32 s13, s13
; %bb.4378:                             ;   in Loop: Header=BB2_4246 Depth=3
	v_mov_b64_e32 v[14:15], v[2:3]
	v_bfe_u32 v118, v2, 23, 1
; %bb.4379:                             ;   in Loop: Header=BB2_4246 Depth=3
	s_or_b32 exec_lo, exec_lo, s13
	s_delay_alu instid0(VALU_DEP_2) | instskip(NEXT) | instid1(VALU_DEP_2)
	v_lshrrev_b64 v[14:15], 20, v[14:15]
	v_cmp_gt_i32_e32 vcc_lo, 16, v118
	v_cmp_ne_u32_e64 s13, 0, v118
                                        ; implicit-def: $vgpr63
	s_delay_alu instid0(VALU_DEP_3) | instskip(NEXT) | instid1(VALU_DEP_1)
	v_dual_cndmask_b32 v15, 0, v15 :: v_dual_cndmask_b32 v14, 7, v14
	v_cmp_ne_u64_e32 vcc_lo, 0, v[14:15]
	s_or_b32 s13, s13, vcc_lo
	s_delay_alu instid0(SALU_CYCLE_1) | instskip(NEXT) | instid1(SALU_CYCLE_1)
	s_and_saveexec_b32 s76, s13
	s_xor_b32 s13, exec_lo, s76
; %bb.4380:                             ;   in Loop: Header=BB2_4246 Depth=3
	v_min_i32_e32 v2, 15, v118
	s_delay_alu instid0(VALU_DEP_1) | instskip(NEXT) | instid1(VALU_DEP_1)
	v_lshl_or_b32 v2, v2, 3, v73
                                        ; implicit-def: $vgpr73
	v_and_or_b32 v63, v14, 7, v2
; %bb.4381:                             ;   in Loop: Header=BB2_4246 Depth=3
	s_and_not1_saveexec_b32 s13, s13
; %bb.4382:                             ;   in Loop: Header=BB2_4246 Depth=3
	v_mov_b32_e32 v63, v73
; %bb.4383:                             ;   in Loop: Header=BB2_4246 Depth=3
	s_or_b32 exec_lo, exec_lo, s13
.LBB2_4384:                             ;   in Loop: Header=BB2_4246 Depth=3
	s_delay_alu instid0(SALU_CYCLE_1)
	s_or_b32 exec_lo, exec_lo, s75
                                        ; implicit-def: $vgpr73
.LBB2_4385:                             ;   in Loop: Header=BB2_4246 Depth=3
	s_and_not1_saveexec_b32 s13, s74
; %bb.4386:                             ;   in Loop: Header=BB2_4246 Depth=3
	v_or_b32_e32 v63, 0x7e, v73
; %bb.4387:                             ;   in Loop: Header=BB2_4246 Depth=3
	s_or_b32 exec_lo, exec_lo, s13
                                        ; implicit-def: $vgpr15
.LBB2_4388:                             ;   in Loop: Header=BB2_4246 Depth=3
	s_and_not1_saveexec_b32 s13, s45
; %bb.4389:                             ;   in Loop: Header=BB2_4246 Depth=3
	v_or_b32_e32 v63, 0x7f, v15
; %bb.4390:                             ;   in Loop: Header=BB2_4246 Depth=3
	s_or_b32 exec_lo, exec_lo, s13
	v_and_b32_e32 v2, 0xff, v72
	v_dual_mov_b32 v14, 0 :: v_dual_mov_b32 v15, 0
	s_mov_b32 s13, exec_lo
	s_delay_alu instid0(VALU_DEP_2)
	v_cmpx_ne_u16_e32 0, v2
	s_cbranch_execz .LBB2_4398
; %bb.4391:                             ;   in Loop: Header=BB2_4246 Depth=3
	v_bfrev_b32_e32 v15, 1
	s_mov_b32 s45, exec_lo
	v_cmpx_ne_u16_e32 0x80, v2
	s_cbranch_execz .LBB2_4397
; %bb.4392:                             ;   in Loop: Header=BB2_4246 Depth=3
	v_and_b32_e32 v118, 0x7f, v72
	v_mov_b32_e32 v15, 0x7f800001
	s_mov_b32 s74, exec_lo
	s_delay_alu instid0(VALU_DEP_2)
	v_cmpx_ne_u32_e32 0x7f, v118
	s_cbranch_execz .LBB2_4396
; %bb.4393:                             ;   in Loop: Header=BB2_4246 Depth=3
	v_and_b32_e32 v2, 7, v2
	v_lshrrev_b32_e32 v15, 3, v118
	s_mov_b32 s75, exec_lo
	v_cmpx_gt_u32_e32 8, v118
; %bb.4394:                             ;   in Loop: Header=BB2_4246 Depth=3
	s_delay_alu instid0(VALU_DEP_3) | instskip(NEXT) | instid1(VALU_DEP_1)
	v_clz_i32_u32_e32 v15, v2
	v_min_u32_e32 v15, 32, v15
	s_delay_alu instid0(VALU_DEP_1) | instskip(NEXT) | instid1(VALU_DEP_1)
	v_subrev_nc_u32_e32 v18, 28, v15
	v_lshlrev_b64_e32 v[118:119], v18, v[2:3]
	s_delay_alu instid0(VALU_DEP_1)
	v_dual_sub_nc_u32 v15, 29, v15 :: v_dual_bitop2_b32 v2, 7, v118 bitop3:0x40
; %bb.4395:                             ;   in Loop: Header=BB2_4246 Depth=3
	s_or_b32 exec_lo, exec_lo, s75
	s_delay_alu instid0(VALU_DEP_1) | instskip(NEXT) | instid1(VALU_DEP_2)
	v_dual_lshlrev_b32 v18, 24, v72 :: v_dual_lshlrev_b32 v2, 20, v2
	v_lshl_add_u32 v15, v15, 23, 0x3c000000
	s_delay_alu instid0(VALU_DEP_2) | instskip(NEXT) | instid1(VALU_DEP_1)
	v_and_b32_e32 v18, 0x80000000, v18
	v_or3_b32 v15, v2, v18, v15
.LBB2_4396:                             ;   in Loop: Header=BB2_4246 Depth=3
	s_or_b32 exec_lo, exec_lo, s74
.LBB2_4397:                             ;   in Loop: Header=BB2_4246 Depth=3
	s_delay_alu instid0(SALU_CYCLE_1)
	s_or_b32 exec_lo, exec_lo, s45
.LBB2_4398:                             ;   in Loop: Header=BB2_4246 Depth=3
	s_delay_alu instid0(SALU_CYCLE_1) | instskip(SKIP_3) | instid1(VALU_DEP_1)
	s_or_b32 exec_lo, exec_lo, s13
	s_wait_loadcnt_dscnt 0x303
	v_and_b32_e32 v2, 0xff, v62
	s_mov_b32 s13, exec_lo
	v_cmpx_ne_u16_e32 0, v2
	s_cbranch_execz .LBB2_4406
; %bb.4399:                             ;   in Loop: Header=BB2_4246 Depth=3
	v_bfrev_b32_e32 v14, 1
	s_mov_b32 s45, exec_lo
	v_cmpx_ne_u16_e32 0x80, v2
	s_cbranch_execz .LBB2_4405
; %bb.4400:                             ;   in Loop: Header=BB2_4246 Depth=3
	v_and_b32_e32 v118, 0x7f, v62
	v_mov_b32_e32 v14, 0x7f800001
	s_mov_b32 s74, exec_lo
	s_delay_alu instid0(VALU_DEP_2)
	v_cmpx_ne_u32_e32 0x7f, v118
	s_cbranch_execz .LBB2_4404
; %bb.4401:                             ;   in Loop: Header=BB2_4246 Depth=3
	v_and_b32_e32 v2, 7, v2
	v_lshrrev_b32_e32 v14, 3, v118
	s_mov_b32 s75, exec_lo
	v_cmpx_gt_u32_e32 8, v118
; %bb.4402:                             ;   in Loop: Header=BB2_4246 Depth=3
	s_delay_alu instid0(VALU_DEP_3) | instskip(NEXT) | instid1(VALU_DEP_1)
	v_clz_i32_u32_e32 v14, v2
	v_min_u32_e32 v14, 32, v14
	s_delay_alu instid0(VALU_DEP_1) | instskip(SKIP_1) | instid1(VALU_DEP_2)
	v_subrev_nc_u32_e32 v18, 28, v14
	v_sub_nc_u32_e32 v14, 29, v14
	v_lshlrev_b64_e32 v[118:119], v18, v[2:3]
	s_delay_alu instid0(VALU_DEP_1)
	v_and_b32_e32 v2, 7, v118
; %bb.4403:                             ;   in Loop: Header=BB2_4246 Depth=3
	s_or_b32 exec_lo, exec_lo, s75
	v_lshlrev_b32_e32 v18, 24, v62
	s_delay_alu instid0(VALU_DEP_2) | instskip(SKIP_1) | instid1(VALU_DEP_3)
	v_lshlrev_b32_e32 v2, 20, v2
	v_lshl_add_u32 v14, v14, 23, 0x3c000000
	v_and_b32_e32 v18, 0x80000000, v18
	s_delay_alu instid0(VALU_DEP_1)
	v_or3_b32 v14, v2, v18, v14
.LBB2_4404:                             ;   in Loop: Header=BB2_4246 Depth=3
	s_or_b32 exec_lo, exec_lo, s74
.LBB2_4405:                             ;   in Loop: Header=BB2_4246 Depth=3
	s_delay_alu instid0(SALU_CYCLE_1)
	s_or_b32 exec_lo, exec_lo, s45
.LBB2_4406:                             ;   in Loop: Header=BB2_4246 Depth=3
	s_delay_alu instid0(SALU_CYCLE_1) | instskip(NEXT) | instid1(VALU_DEP_1)
	s_or_b32 exec_lo, exec_lo, s13
	v_add_f32_e32 v14, v15, v14
                                        ; implicit-def: $vgpr62
	s_mov_b32 s13, exec_lo
	s_delay_alu instid0(VALU_DEP_1) | instskip(SKIP_1) | instid1(VALU_DEP_2)
	v_and_b32_e32 v2, 0x7f800000, v14
	v_lshrrev_b32_e32 v15, 24, v14
	v_cmpx_ne_u64_e32 0x7f800000, v[2:3]
	s_xor_b32 s45, exec_lo, s13
	s_cbranch_execz .LBB2_4424
; %bb.4407:                             ;   in Loop: Header=BB2_4246 Depth=3
	v_and_b32_e32 v2, 0x7fffffff, v14
	v_and_b32_e32 v72, 0x80, v15
                                        ; implicit-def: $vgpr62
	s_mov_b32 s13, exec_lo
	s_delay_alu instid0(VALU_DEP_2)
	v_cmpx_gt_u64_e32 0x43e00001, v[2:3]
	s_xor_b32 s74, exec_lo, s13
	s_cbranch_execz .LBB2_4421
; %bb.4408:                             ;   in Loop: Header=BB2_4246 Depth=3
	v_mov_b32_e32 v62, 0
	s_mov_b32 s75, exec_lo
	v_cmpx_ne_u32_e32 0, v14
	s_cbranch_execz .LBB2_4420
; %bb.4409:                             ;   in Loop: Header=BB2_4246 Depth=3
	v_bfe_u32 v62, v14, 23, 8
	s_delay_alu instid0(VALU_DEP_1) | instskip(SKIP_1) | instid1(VALU_DEP_2)
	v_sub_nc_u32_e32 v2, 0x79, v62
	v_cmp_gt_u32_e32 vcc_lo, 0x7a, v62
	v_cndmask_b32_e32 v2, 0, v2, vcc_lo
	v_cmp_eq_u32_e32 vcc_lo, 0, v62
	s_delay_alu instid0(VALU_DEP_2) | instskip(SKIP_1) | instid1(VALU_DEP_2)
	v_cndmask_b32_e64 v73, v2, 0x78, vcc_lo
	v_and_b32_e32 v2, 0x7fffff, v14
	v_add_nc_u32_e32 v14, 20, v73
	s_delay_alu instid0(VALU_DEP_2) | instskip(SKIP_1) | instid1(VALU_DEP_3)
	v_or_b32_e32 v18, 0x800000, v2
	v_add_nc_u32_e32 v19, 19, v73
	v_lshlrev_b64_e64 v[14:15], v14, -1
	s_delay_alu instid0(VALU_DEP_3) | instskip(NEXT) | instid1(VALU_DEP_3)
	v_cndmask_b32_e32 v2, v18, v2, vcc_lo
	v_lshlrev_b64_e64 v[118:119], v19, 1
	s_delay_alu instid0(VALU_DEP_3) | instskip(NEXT) | instid1(VALU_DEP_3)
	v_bfi_b32 v93, v15, 0, 0
	v_bfi_b32 v92, v14, 0, v2
	v_lshrrev_b64 v[14:15], v73, v[2:3]
	s_delay_alu instid0(VALU_DEP_2) | instskip(NEXT) | instid1(VALU_DEP_2)
	v_cmp_eq_u64_e64 s13, v[92:93], v[118:119]
	v_mov_b64_e32 v[118:119], v[14:15]
	s_and_saveexec_b32 s76, s13
; %bb.4410:                             ;   in Loop: Header=BB2_4246 Depth=3
	v_bfe_u32 v2, v14, 20, 1
	s_delay_alu instid0(VALU_DEP_1) | instskip(NEXT) | instid1(VALU_DEP_1)
	v_add_nc_u64_e32 v[118:119], v[14:15], v[2:3]
	v_add_nc_u64_e32 v[118:119], -1, v[118:119]
; %bb.4411:                             ;   in Loop: Header=BB2_4246 Depth=3
	s_or_b32 exec_lo, exec_lo, s76
	v_add_nc_u32_e32 v2, 0xffffff81, v62
	v_lshrrev_b32_e32 v15, 23, v14
	s_mov_b32 s13, exec_lo
	s_delay_alu instid0(VALU_DEP_2) | instskip(NEXT) | instid1(VALU_DEP_1)
	v_cndmask_b32_e64 v2, v2, 0xffffff82, vcc_lo
	v_add3_u32 v119, v73, v2, v15
	v_and_b32_e32 v2, 0xfffff, v118
                                        ; implicit-def: $vgpr118
	s_delay_alu instid0(VALU_DEP_1) | instskip(NEXT) | instid1(VALU_DEP_1)
	v_dual_add_nc_u32 v62, 6, v119 :: v_dual_add_nc_u32 v2, v2, v14
                                        ; implicit-def: $vgpr14_vgpr15
	v_cmpx_ne_u32_e32 0, v62
	s_xor_b32 s13, exec_lo, s13
; %bb.4412:                             ;   in Loop: Header=BB2_4246 Depth=3
	s_delay_alu instid0(VALU_DEP_2) | instskip(SKIP_1) | instid1(VALU_DEP_1)
	v_cmp_lt_u64_e32 vcc_lo, 0xffffff, v[2:3]
	v_add_nc_u32_e32 v14, 7, v119
	v_cndmask_b32_e32 v118, v62, v14, vcc_lo
	v_cndmask_b32_e64 v14, 0, 1, vcc_lo
	s_delay_alu instid0(VALU_DEP_1)
	v_lshrrev_b64 v[14:15], v14, v[2:3]
; %bb.4413:                             ;   in Loop: Header=BB2_4246 Depth=3
	s_and_not1_saveexec_b32 s13, s13
; %bb.4414:                             ;   in Loop: Header=BB2_4246 Depth=3
	v_mov_b64_e32 v[14:15], v[2:3]
	v_bfe_u32 v118, v2, 23, 1
; %bb.4415:                             ;   in Loop: Header=BB2_4246 Depth=3
	s_or_b32 exec_lo, exec_lo, s13
	s_delay_alu instid0(VALU_DEP_2) | instskip(NEXT) | instid1(VALU_DEP_2)
	v_lshrrev_b64 v[14:15], 20, v[14:15]
	v_cmp_gt_i32_e32 vcc_lo, 16, v118
	v_cmp_ne_u32_e64 s13, 0, v118
                                        ; implicit-def: $vgpr62
	s_delay_alu instid0(VALU_DEP_3) | instskip(NEXT) | instid1(VALU_DEP_1)
	v_dual_cndmask_b32 v15, 0, v15 :: v_dual_cndmask_b32 v14, 7, v14
	v_cmp_ne_u64_e32 vcc_lo, 0, v[14:15]
	s_or_b32 s13, s13, vcc_lo
	s_delay_alu instid0(SALU_CYCLE_1) | instskip(NEXT) | instid1(SALU_CYCLE_1)
	s_and_saveexec_b32 s76, s13
	s_xor_b32 s13, exec_lo, s76
; %bb.4416:                             ;   in Loop: Header=BB2_4246 Depth=3
	v_min_i32_e32 v2, 15, v118
	s_delay_alu instid0(VALU_DEP_1) | instskip(NEXT) | instid1(VALU_DEP_1)
	v_lshl_or_b32 v2, v2, 3, v72
                                        ; implicit-def: $vgpr72
	v_and_or_b32 v62, v14, 7, v2
; %bb.4417:                             ;   in Loop: Header=BB2_4246 Depth=3
	s_and_not1_saveexec_b32 s13, s13
; %bb.4418:                             ;   in Loop: Header=BB2_4246 Depth=3
	v_mov_b32_e32 v62, v72
; %bb.4419:                             ;   in Loop: Header=BB2_4246 Depth=3
	s_or_b32 exec_lo, exec_lo, s13
.LBB2_4420:                             ;   in Loop: Header=BB2_4246 Depth=3
	s_delay_alu instid0(SALU_CYCLE_1)
	s_or_b32 exec_lo, exec_lo, s75
                                        ; implicit-def: $vgpr72
.LBB2_4421:                             ;   in Loop: Header=BB2_4246 Depth=3
	s_and_not1_saveexec_b32 s13, s74
; %bb.4422:                             ;   in Loop: Header=BB2_4246 Depth=3
	v_or_b32_e32 v62, 0x7e, v72
; %bb.4423:                             ;   in Loop: Header=BB2_4246 Depth=3
	s_or_b32 exec_lo, exec_lo, s13
                                        ; implicit-def: $vgpr15
.LBB2_4424:                             ;   in Loop: Header=BB2_4246 Depth=3
	s_and_not1_saveexec_b32 s13, s45
; %bb.4425:                             ;   in Loop: Header=BB2_4246 Depth=3
	v_or_b32_e32 v62, 0x7f, v15
; %bb.4426:                             ;   in Loop: Header=BB2_4246 Depth=3
	s_or_b32 exec_lo, exec_lo, s13
	v_and_b32_e32 v2, 0xff, v61
	v_dual_mov_b32 v14, 0 :: v_dual_mov_b32 v15, 0
	s_mov_b32 s13, exec_lo
	s_delay_alu instid0(VALU_DEP_2)
	v_cmpx_ne_u16_e32 0, v2
	s_cbranch_execz .LBB2_4434
; %bb.4427:                             ;   in Loop: Header=BB2_4246 Depth=3
	v_bfrev_b32_e32 v15, 1
	s_mov_b32 s45, exec_lo
	v_cmpx_ne_u16_e32 0x80, v2
	s_cbranch_execz .LBB2_4433
; %bb.4428:                             ;   in Loop: Header=BB2_4246 Depth=3
	v_and_b32_e32 v118, 0x7f, v61
	v_mov_b32_e32 v15, 0x7f800001
	s_mov_b32 s74, exec_lo
	s_delay_alu instid0(VALU_DEP_2)
	v_cmpx_ne_u32_e32 0x7f, v118
	s_cbranch_execz .LBB2_4432
; %bb.4429:                             ;   in Loop: Header=BB2_4246 Depth=3
	v_and_b32_e32 v2, 7, v2
	v_lshrrev_b32_e32 v15, 3, v118
	s_mov_b32 s75, exec_lo
	v_cmpx_gt_u32_e32 8, v118
; %bb.4430:                             ;   in Loop: Header=BB2_4246 Depth=3
	s_delay_alu instid0(VALU_DEP_3) | instskip(NEXT) | instid1(VALU_DEP_1)
	v_clz_i32_u32_e32 v15, v2
	v_min_u32_e32 v15, 32, v15
	s_delay_alu instid0(VALU_DEP_1) | instskip(NEXT) | instid1(VALU_DEP_1)
	v_subrev_nc_u32_e32 v18, 28, v15
	v_lshlrev_b64_e32 v[118:119], v18, v[2:3]
	s_delay_alu instid0(VALU_DEP_1)
	v_dual_sub_nc_u32 v15, 29, v15 :: v_dual_bitop2_b32 v2, 7, v118 bitop3:0x40
; %bb.4431:                             ;   in Loop: Header=BB2_4246 Depth=3
	s_or_b32 exec_lo, exec_lo, s75
	s_delay_alu instid0(VALU_DEP_1) | instskip(NEXT) | instid1(VALU_DEP_2)
	v_dual_lshlrev_b32 v18, 24, v61 :: v_dual_lshlrev_b32 v2, 20, v2
	v_lshl_add_u32 v15, v15, 23, 0x3c000000
	s_delay_alu instid0(VALU_DEP_2) | instskip(NEXT) | instid1(VALU_DEP_1)
	v_and_b32_e32 v18, 0x80000000, v18
	v_or3_b32 v15, v2, v18, v15
.LBB2_4432:                             ;   in Loop: Header=BB2_4246 Depth=3
	s_or_b32 exec_lo, exec_lo, s74
.LBB2_4433:                             ;   in Loop: Header=BB2_4246 Depth=3
	s_delay_alu instid0(SALU_CYCLE_1)
	s_or_b32 exec_lo, exec_lo, s45
.LBB2_4434:                             ;   in Loop: Header=BB2_4246 Depth=3
	s_delay_alu instid0(SALU_CYCLE_1) | instskip(SKIP_3) | instid1(VALU_DEP_1)
	s_or_b32 exec_lo, exec_lo, s13
	s_wait_loadcnt_dscnt 0x202
	v_and_b32_e32 v2, 0xff, v59
	s_mov_b32 s13, exec_lo
	v_cmpx_ne_u16_e32 0, v2
	s_cbranch_execz .LBB2_4442
; %bb.4435:                             ;   in Loop: Header=BB2_4246 Depth=3
	v_bfrev_b32_e32 v14, 1
	s_mov_b32 s45, exec_lo
	v_cmpx_ne_u16_e32 0x80, v2
	s_cbranch_execz .LBB2_4441
; %bb.4436:                             ;   in Loop: Header=BB2_4246 Depth=3
	v_and_b32_e32 v118, 0x7f, v59
	v_mov_b32_e32 v14, 0x7f800001
	s_mov_b32 s74, exec_lo
	s_delay_alu instid0(VALU_DEP_2)
	v_cmpx_ne_u32_e32 0x7f, v118
	s_cbranch_execz .LBB2_4440
; %bb.4437:                             ;   in Loop: Header=BB2_4246 Depth=3
	v_and_b32_e32 v2, 7, v2
	v_lshrrev_b32_e32 v14, 3, v118
	s_mov_b32 s75, exec_lo
	v_cmpx_gt_u32_e32 8, v118
; %bb.4438:                             ;   in Loop: Header=BB2_4246 Depth=3
	s_delay_alu instid0(VALU_DEP_3) | instskip(NEXT) | instid1(VALU_DEP_1)
	v_clz_i32_u32_e32 v14, v2
	v_min_u32_e32 v14, 32, v14
	s_delay_alu instid0(VALU_DEP_1) | instskip(SKIP_1) | instid1(VALU_DEP_2)
	v_subrev_nc_u32_e32 v18, 28, v14
	v_sub_nc_u32_e32 v14, 29, v14
	v_lshlrev_b64_e32 v[118:119], v18, v[2:3]
	s_delay_alu instid0(VALU_DEP_1)
	v_and_b32_e32 v2, 7, v118
; %bb.4439:                             ;   in Loop: Header=BB2_4246 Depth=3
	s_or_b32 exec_lo, exec_lo, s75
	s_delay_alu instid0(VALU_DEP_1) | instskip(SKIP_1) | instid1(VALU_DEP_2)
	v_dual_lshlrev_b32 v18, 24, v59 :: v_dual_lshlrev_b32 v2, 20, v2
	v_lshl_add_u32 v14, v14, 23, 0x3c000000
	v_and_b32_e32 v18, 0x80000000, v18
	s_delay_alu instid0(VALU_DEP_1)
	v_or3_b32 v14, v2, v18, v14
.LBB2_4440:                             ;   in Loop: Header=BB2_4246 Depth=3
	s_or_b32 exec_lo, exec_lo, s74
.LBB2_4441:                             ;   in Loop: Header=BB2_4246 Depth=3
	s_delay_alu instid0(SALU_CYCLE_1)
	s_or_b32 exec_lo, exec_lo, s45
.LBB2_4442:                             ;   in Loop: Header=BB2_4246 Depth=3
	s_delay_alu instid0(SALU_CYCLE_1) | instskip(NEXT) | instid1(VALU_DEP_1)
	s_or_b32 exec_lo, exec_lo, s13
	v_add_f32_e32 v14, v15, v14
                                        ; implicit-def: $vgpr59
	s_mov_b32 s13, exec_lo
	s_delay_alu instid0(VALU_DEP_1) | instskip(SKIP_1) | instid1(VALU_DEP_2)
	v_and_b32_e32 v2, 0x7f800000, v14
	v_lshrrev_b32_e32 v15, 24, v14
	v_cmpx_ne_u64_e32 0x7f800000, v[2:3]
	s_xor_b32 s45, exec_lo, s13
	s_cbranch_execz .LBB2_4460
; %bb.4443:                             ;   in Loop: Header=BB2_4246 Depth=3
	v_and_b32_e32 v2, 0x7fffffff, v14
	v_and_b32_e32 v61, 0x80, v15
                                        ; implicit-def: $vgpr59
	s_mov_b32 s13, exec_lo
	s_delay_alu instid0(VALU_DEP_2)
	v_cmpx_gt_u64_e32 0x43e00001, v[2:3]
	s_xor_b32 s74, exec_lo, s13
	s_cbranch_execz .LBB2_4457
; %bb.4444:                             ;   in Loop: Header=BB2_4246 Depth=3
	v_mov_b32_e32 v59, 0
	s_mov_b32 s75, exec_lo
	v_cmpx_ne_u32_e32 0, v14
	s_cbranch_execz .LBB2_4456
; %bb.4445:                             ;   in Loop: Header=BB2_4246 Depth=3
	v_bfe_u32 v59, v14, 23, 8
	s_delay_alu instid0(VALU_DEP_1) | instskip(SKIP_1) | instid1(VALU_DEP_2)
	v_sub_nc_u32_e32 v2, 0x79, v59
	v_cmp_gt_u32_e32 vcc_lo, 0x7a, v59
	v_cndmask_b32_e32 v2, 0, v2, vcc_lo
	v_cmp_eq_u32_e32 vcc_lo, 0, v59
	s_delay_alu instid0(VALU_DEP_2) | instskip(SKIP_1) | instid1(VALU_DEP_2)
	v_cndmask_b32_e64 v72, v2, 0x78, vcc_lo
	v_and_b32_e32 v2, 0x7fffff, v14
	v_add_nc_u32_e32 v14, 20, v72
	s_delay_alu instid0(VALU_DEP_2) | instskip(SKIP_1) | instid1(VALU_DEP_3)
	v_or_b32_e32 v18, 0x800000, v2
	v_add_nc_u32_e32 v19, 19, v72
	v_lshlrev_b64_e64 v[14:15], v14, -1
	s_delay_alu instid0(VALU_DEP_3) | instskip(NEXT) | instid1(VALU_DEP_3)
	v_cndmask_b32_e32 v2, v18, v2, vcc_lo
	v_lshlrev_b64_e64 v[118:119], v19, 1
	s_delay_alu instid0(VALU_DEP_3) | instskip(NEXT) | instid1(VALU_DEP_3)
	v_bfi_b32 v93, v15, 0, 0
	v_bfi_b32 v92, v14, 0, v2
	v_lshrrev_b64 v[14:15], v72, v[2:3]
	s_delay_alu instid0(VALU_DEP_2) | instskip(NEXT) | instid1(VALU_DEP_2)
	v_cmp_eq_u64_e64 s13, v[92:93], v[118:119]
	v_mov_b64_e32 v[118:119], v[14:15]
	s_and_saveexec_b32 s76, s13
; %bb.4446:                             ;   in Loop: Header=BB2_4246 Depth=3
	v_bfe_u32 v2, v14, 20, 1
	s_delay_alu instid0(VALU_DEP_1) | instskip(NEXT) | instid1(VALU_DEP_1)
	v_add_nc_u64_e32 v[118:119], v[14:15], v[2:3]
	v_add_nc_u64_e32 v[118:119], -1, v[118:119]
; %bb.4447:                             ;   in Loop: Header=BB2_4246 Depth=3
	s_or_b32 exec_lo, exec_lo, s76
	v_add_nc_u32_e32 v2, 0xffffff81, v59
	v_lshrrev_b32_e32 v15, 23, v14
	s_mov_b32 s13, exec_lo
	s_delay_alu instid0(VALU_DEP_2) | instskip(NEXT) | instid1(VALU_DEP_1)
	v_cndmask_b32_e64 v2, v2, 0xffffff82, vcc_lo
	v_add3_u32 v119, v72, v2, v15
	v_and_b32_e32 v2, 0xfffff, v118
                                        ; implicit-def: $vgpr118
	s_delay_alu instid0(VALU_DEP_1) | instskip(NEXT) | instid1(VALU_DEP_1)
	v_dual_add_nc_u32 v59, 6, v119 :: v_dual_add_nc_u32 v2, v2, v14
                                        ; implicit-def: $vgpr14_vgpr15
	v_cmpx_ne_u32_e32 0, v59
	s_xor_b32 s13, exec_lo, s13
; %bb.4448:                             ;   in Loop: Header=BB2_4246 Depth=3
	s_delay_alu instid0(VALU_DEP_2) | instskip(SKIP_1) | instid1(VALU_DEP_1)
	v_cmp_lt_u64_e32 vcc_lo, 0xffffff, v[2:3]
	v_add_nc_u32_e32 v14, 7, v119
	v_cndmask_b32_e32 v118, v59, v14, vcc_lo
	v_cndmask_b32_e64 v14, 0, 1, vcc_lo
	s_delay_alu instid0(VALU_DEP_1)
	v_lshrrev_b64 v[14:15], v14, v[2:3]
; %bb.4449:                             ;   in Loop: Header=BB2_4246 Depth=3
	s_and_not1_saveexec_b32 s13, s13
; %bb.4450:                             ;   in Loop: Header=BB2_4246 Depth=3
	v_mov_b64_e32 v[14:15], v[2:3]
	v_bfe_u32 v118, v2, 23, 1
; %bb.4451:                             ;   in Loop: Header=BB2_4246 Depth=3
	s_or_b32 exec_lo, exec_lo, s13
	s_delay_alu instid0(VALU_DEP_2) | instskip(NEXT) | instid1(VALU_DEP_2)
	v_lshrrev_b64 v[14:15], 20, v[14:15]
	v_cmp_gt_i32_e32 vcc_lo, 16, v118
	v_cmp_ne_u32_e64 s13, 0, v118
                                        ; implicit-def: $vgpr59
	s_delay_alu instid0(VALU_DEP_3) | instskip(NEXT) | instid1(VALU_DEP_1)
	v_dual_cndmask_b32 v15, 0, v15 :: v_dual_cndmask_b32 v14, 7, v14
	v_cmp_ne_u64_e32 vcc_lo, 0, v[14:15]
	s_or_b32 s13, s13, vcc_lo
	s_delay_alu instid0(SALU_CYCLE_1) | instskip(NEXT) | instid1(SALU_CYCLE_1)
	s_and_saveexec_b32 s76, s13
	s_xor_b32 s13, exec_lo, s76
; %bb.4452:                             ;   in Loop: Header=BB2_4246 Depth=3
	v_min_i32_e32 v2, 15, v118
	s_delay_alu instid0(VALU_DEP_1) | instskip(NEXT) | instid1(VALU_DEP_1)
	v_lshl_or_b32 v2, v2, 3, v61
                                        ; implicit-def: $vgpr61
	v_and_or_b32 v59, v14, 7, v2
; %bb.4453:                             ;   in Loop: Header=BB2_4246 Depth=3
	s_and_not1_saveexec_b32 s13, s13
; %bb.4454:                             ;   in Loop: Header=BB2_4246 Depth=3
	v_mov_b32_e32 v59, v61
; %bb.4455:                             ;   in Loop: Header=BB2_4246 Depth=3
	s_or_b32 exec_lo, exec_lo, s13
.LBB2_4456:                             ;   in Loop: Header=BB2_4246 Depth=3
	s_delay_alu instid0(SALU_CYCLE_1)
	s_or_b32 exec_lo, exec_lo, s75
                                        ; implicit-def: $vgpr61
.LBB2_4457:                             ;   in Loop: Header=BB2_4246 Depth=3
	s_and_not1_saveexec_b32 s13, s74
; %bb.4458:                             ;   in Loop: Header=BB2_4246 Depth=3
	v_or_b32_e32 v59, 0x7e, v61
; %bb.4459:                             ;   in Loop: Header=BB2_4246 Depth=3
	s_or_b32 exec_lo, exec_lo, s13
                                        ; implicit-def: $vgpr15
.LBB2_4460:                             ;   in Loop: Header=BB2_4246 Depth=3
	s_and_not1_saveexec_b32 s13, s45
; %bb.4461:                             ;   in Loop: Header=BB2_4246 Depth=3
	v_or_b32_e32 v59, 0x7f, v15
; %bb.4462:                             ;   in Loop: Header=BB2_4246 Depth=3
	s_or_b32 exec_lo, exec_lo, s13
	v_and_b32_e32 v2, 0xff, v58
	v_dual_mov_b32 v14, 0 :: v_dual_mov_b32 v15, 0
	s_mov_b32 s13, exec_lo
	s_delay_alu instid0(VALU_DEP_2)
	v_cmpx_ne_u16_e32 0, v2
	s_cbranch_execz .LBB2_4470
; %bb.4463:                             ;   in Loop: Header=BB2_4246 Depth=3
	v_bfrev_b32_e32 v15, 1
	s_mov_b32 s45, exec_lo
	v_cmpx_ne_u16_e32 0x80, v2
	s_cbranch_execz .LBB2_4469
; %bb.4464:                             ;   in Loop: Header=BB2_4246 Depth=3
	v_and_b32_e32 v118, 0x7f, v58
	v_mov_b32_e32 v15, 0x7f800001
	s_mov_b32 s74, exec_lo
	s_delay_alu instid0(VALU_DEP_2)
	v_cmpx_ne_u32_e32 0x7f, v118
	s_cbranch_execz .LBB2_4468
; %bb.4465:                             ;   in Loop: Header=BB2_4246 Depth=3
	v_and_b32_e32 v2, 7, v2
	v_lshrrev_b32_e32 v15, 3, v118
	s_mov_b32 s75, exec_lo
	v_cmpx_gt_u32_e32 8, v118
; %bb.4466:                             ;   in Loop: Header=BB2_4246 Depth=3
	s_delay_alu instid0(VALU_DEP_3) | instskip(NEXT) | instid1(VALU_DEP_1)
	v_clz_i32_u32_e32 v15, v2
	v_min_u32_e32 v15, 32, v15
	s_delay_alu instid0(VALU_DEP_1) | instskip(NEXT) | instid1(VALU_DEP_1)
	v_subrev_nc_u32_e32 v18, 28, v15
	v_lshlrev_b64_e32 v[118:119], v18, v[2:3]
	s_delay_alu instid0(VALU_DEP_1)
	v_dual_sub_nc_u32 v15, 29, v15 :: v_dual_bitop2_b32 v2, 7, v118 bitop3:0x40
; %bb.4467:                             ;   in Loop: Header=BB2_4246 Depth=3
	s_or_b32 exec_lo, exec_lo, s75
	v_lshlrev_b32_e32 v18, 24, v58
	s_delay_alu instid0(VALU_DEP_2) | instskip(NEXT) | instid1(VALU_DEP_3)
	v_lshlrev_b32_e32 v2, 20, v2
	v_lshl_add_u32 v15, v15, 23, 0x3c000000
	s_delay_alu instid0(VALU_DEP_3) | instskip(NEXT) | instid1(VALU_DEP_1)
	v_and_b32_e32 v18, 0x80000000, v18
	v_or3_b32 v15, v2, v18, v15
.LBB2_4468:                             ;   in Loop: Header=BB2_4246 Depth=3
	s_or_b32 exec_lo, exec_lo, s74
.LBB2_4469:                             ;   in Loop: Header=BB2_4246 Depth=3
	s_delay_alu instid0(SALU_CYCLE_1)
	s_or_b32 exec_lo, exec_lo, s45
.LBB2_4470:                             ;   in Loop: Header=BB2_4246 Depth=3
	s_delay_alu instid0(SALU_CYCLE_1) | instskip(SKIP_3) | instid1(VALU_DEP_1)
	s_or_b32 exec_lo, exec_lo, s13
	s_wait_loadcnt_dscnt 0x101
	v_and_b32_e32 v2, 0xff, v56
	s_mov_b32 s13, exec_lo
	v_cmpx_ne_u16_e32 0, v2
	s_cbranch_execz .LBB2_4478
; %bb.4471:                             ;   in Loop: Header=BB2_4246 Depth=3
	v_bfrev_b32_e32 v14, 1
	s_mov_b32 s45, exec_lo
	v_cmpx_ne_u16_e32 0x80, v2
	s_cbranch_execz .LBB2_4477
; %bb.4472:                             ;   in Loop: Header=BB2_4246 Depth=3
	v_and_b32_e32 v118, 0x7f, v56
	v_mov_b32_e32 v14, 0x7f800001
	s_mov_b32 s74, exec_lo
	s_delay_alu instid0(VALU_DEP_2)
	v_cmpx_ne_u32_e32 0x7f, v118
	s_cbranch_execz .LBB2_4476
; %bb.4473:                             ;   in Loop: Header=BB2_4246 Depth=3
	v_and_b32_e32 v2, 7, v2
	v_lshrrev_b32_e32 v14, 3, v118
	s_mov_b32 s75, exec_lo
	v_cmpx_gt_u32_e32 8, v118
; %bb.4474:                             ;   in Loop: Header=BB2_4246 Depth=3
	s_delay_alu instid0(VALU_DEP_3) | instskip(NEXT) | instid1(VALU_DEP_1)
	v_clz_i32_u32_e32 v14, v2
	v_min_u32_e32 v14, 32, v14
	s_delay_alu instid0(VALU_DEP_1) | instskip(SKIP_1) | instid1(VALU_DEP_2)
	v_subrev_nc_u32_e32 v18, 28, v14
	v_sub_nc_u32_e32 v14, 29, v14
	v_lshlrev_b64_e32 v[118:119], v18, v[2:3]
	s_delay_alu instid0(VALU_DEP_1)
	v_and_b32_e32 v2, 7, v118
; %bb.4475:                             ;   in Loop: Header=BB2_4246 Depth=3
	s_or_b32 exec_lo, exec_lo, s75
	s_delay_alu instid0(VALU_DEP_1) | instskip(SKIP_1) | instid1(VALU_DEP_2)
	v_dual_lshlrev_b32 v18, 24, v56 :: v_dual_lshlrev_b32 v2, 20, v2
	v_lshl_add_u32 v14, v14, 23, 0x3c000000
	v_and_b32_e32 v18, 0x80000000, v18
	s_delay_alu instid0(VALU_DEP_1)
	v_or3_b32 v14, v2, v18, v14
.LBB2_4476:                             ;   in Loop: Header=BB2_4246 Depth=3
	s_or_b32 exec_lo, exec_lo, s74
.LBB2_4477:                             ;   in Loop: Header=BB2_4246 Depth=3
	s_delay_alu instid0(SALU_CYCLE_1)
	s_or_b32 exec_lo, exec_lo, s45
.LBB2_4478:                             ;   in Loop: Header=BB2_4246 Depth=3
	s_delay_alu instid0(SALU_CYCLE_1) | instskip(NEXT) | instid1(VALU_DEP_1)
	s_or_b32 exec_lo, exec_lo, s13
	v_add_f32_e32 v14, v15, v14
                                        ; implicit-def: $vgpr56
	s_mov_b32 s13, exec_lo
	s_delay_alu instid0(VALU_DEP_1) | instskip(SKIP_1) | instid1(VALU_DEP_2)
	v_and_b32_e32 v2, 0x7f800000, v14
	v_lshrrev_b32_e32 v15, 24, v14
	v_cmpx_ne_u64_e32 0x7f800000, v[2:3]
	s_xor_b32 s45, exec_lo, s13
	s_cbranch_execz .LBB2_4496
; %bb.4479:                             ;   in Loop: Header=BB2_4246 Depth=3
	v_and_b32_e32 v2, 0x7fffffff, v14
	v_and_b32_e32 v58, 0x80, v15
                                        ; implicit-def: $vgpr56
	s_mov_b32 s13, exec_lo
	s_delay_alu instid0(VALU_DEP_2)
	v_cmpx_gt_u64_e32 0x43e00001, v[2:3]
	s_xor_b32 s74, exec_lo, s13
	s_cbranch_execz .LBB2_4493
; %bb.4480:                             ;   in Loop: Header=BB2_4246 Depth=3
	v_mov_b32_e32 v56, 0
	s_mov_b32 s75, exec_lo
	v_cmpx_ne_u32_e32 0, v14
	s_cbranch_execz .LBB2_4492
; %bb.4481:                             ;   in Loop: Header=BB2_4246 Depth=3
	v_bfe_u32 v56, v14, 23, 8
	s_delay_alu instid0(VALU_DEP_1) | instskip(SKIP_1) | instid1(VALU_DEP_2)
	v_sub_nc_u32_e32 v2, 0x79, v56
	v_cmp_gt_u32_e32 vcc_lo, 0x7a, v56
	v_cndmask_b32_e32 v2, 0, v2, vcc_lo
	v_cmp_eq_u32_e32 vcc_lo, 0, v56
	s_delay_alu instid0(VALU_DEP_2) | instskip(SKIP_1) | instid1(VALU_DEP_2)
	v_cndmask_b32_e64 v61, v2, 0x78, vcc_lo
	v_and_b32_e32 v2, 0x7fffff, v14
	v_add_nc_u32_e32 v14, 20, v61
	s_delay_alu instid0(VALU_DEP_2) | instskip(SKIP_1) | instid1(VALU_DEP_3)
	v_or_b32_e32 v18, 0x800000, v2
	v_add_nc_u32_e32 v19, 19, v61
	v_lshlrev_b64_e64 v[14:15], v14, -1
	s_delay_alu instid0(VALU_DEP_3) | instskip(NEXT) | instid1(VALU_DEP_3)
	v_cndmask_b32_e32 v2, v18, v2, vcc_lo
	v_lshlrev_b64_e64 v[118:119], v19, 1
	s_delay_alu instid0(VALU_DEP_3) | instskip(NEXT) | instid1(VALU_DEP_3)
	v_bfi_b32 v73, v15, 0, 0
	v_bfi_b32 v72, v14, 0, v2
	v_lshrrev_b64 v[14:15], v61, v[2:3]
	s_delay_alu instid0(VALU_DEP_2) | instskip(NEXT) | instid1(VALU_DEP_2)
	v_cmp_eq_u64_e64 s13, v[72:73], v[118:119]
	v_mov_b64_e32 v[118:119], v[14:15]
	s_and_saveexec_b32 s76, s13
; %bb.4482:                             ;   in Loop: Header=BB2_4246 Depth=3
	v_bfe_u32 v2, v14, 20, 1
	s_delay_alu instid0(VALU_DEP_1) | instskip(NEXT) | instid1(VALU_DEP_1)
	v_add_nc_u64_e32 v[118:119], v[14:15], v[2:3]
	v_add_nc_u64_e32 v[118:119], -1, v[118:119]
; %bb.4483:                             ;   in Loop: Header=BB2_4246 Depth=3
	s_or_b32 exec_lo, exec_lo, s76
	v_add_nc_u32_e32 v2, 0xffffff81, v56
	v_lshrrev_b32_e32 v15, 23, v14
	s_mov_b32 s13, exec_lo
	s_delay_alu instid0(VALU_DEP_2) | instskip(NEXT) | instid1(VALU_DEP_1)
	v_cndmask_b32_e64 v2, v2, 0xffffff82, vcc_lo
	v_add3_u32 v119, v61, v2, v15
	v_and_b32_e32 v2, 0xfffff, v118
                                        ; implicit-def: $vgpr118
	s_delay_alu instid0(VALU_DEP_1) | instskip(NEXT) | instid1(VALU_DEP_1)
	v_dual_add_nc_u32 v56, 6, v119 :: v_dual_add_nc_u32 v2, v2, v14
                                        ; implicit-def: $vgpr14_vgpr15
	v_cmpx_ne_u32_e32 0, v56
	s_xor_b32 s13, exec_lo, s13
; %bb.4484:                             ;   in Loop: Header=BB2_4246 Depth=3
	s_delay_alu instid0(VALU_DEP_2) | instskip(SKIP_1) | instid1(VALU_DEP_1)
	v_cmp_lt_u64_e32 vcc_lo, 0xffffff, v[2:3]
	v_add_nc_u32_e32 v14, 7, v119
	v_cndmask_b32_e32 v118, v56, v14, vcc_lo
	v_cndmask_b32_e64 v14, 0, 1, vcc_lo
	s_delay_alu instid0(VALU_DEP_1)
	v_lshrrev_b64 v[14:15], v14, v[2:3]
; %bb.4485:                             ;   in Loop: Header=BB2_4246 Depth=3
	s_and_not1_saveexec_b32 s13, s13
; %bb.4486:                             ;   in Loop: Header=BB2_4246 Depth=3
	v_mov_b64_e32 v[14:15], v[2:3]
	v_bfe_u32 v118, v2, 23, 1
; %bb.4487:                             ;   in Loop: Header=BB2_4246 Depth=3
	s_or_b32 exec_lo, exec_lo, s13
	s_delay_alu instid0(VALU_DEP_2) | instskip(NEXT) | instid1(VALU_DEP_2)
	v_lshrrev_b64 v[14:15], 20, v[14:15]
	v_cmp_gt_i32_e32 vcc_lo, 16, v118
	v_cmp_ne_u32_e64 s13, 0, v118
                                        ; implicit-def: $vgpr56
	s_delay_alu instid0(VALU_DEP_3) | instskip(NEXT) | instid1(VALU_DEP_1)
	v_dual_cndmask_b32 v15, 0, v15 :: v_dual_cndmask_b32 v14, 7, v14
	v_cmp_ne_u64_e32 vcc_lo, 0, v[14:15]
	s_or_b32 s13, s13, vcc_lo
	s_delay_alu instid0(SALU_CYCLE_1) | instskip(NEXT) | instid1(SALU_CYCLE_1)
	s_and_saveexec_b32 s76, s13
	s_xor_b32 s13, exec_lo, s76
; %bb.4488:                             ;   in Loop: Header=BB2_4246 Depth=3
	v_min_i32_e32 v2, 15, v118
	s_delay_alu instid0(VALU_DEP_1) | instskip(NEXT) | instid1(VALU_DEP_1)
	v_lshl_or_b32 v2, v2, 3, v58
                                        ; implicit-def: $vgpr58
	v_and_or_b32 v56, v14, 7, v2
; %bb.4489:                             ;   in Loop: Header=BB2_4246 Depth=3
	s_and_not1_saveexec_b32 s13, s13
; %bb.4490:                             ;   in Loop: Header=BB2_4246 Depth=3
	v_mov_b32_e32 v56, v58
; %bb.4491:                             ;   in Loop: Header=BB2_4246 Depth=3
	s_or_b32 exec_lo, exec_lo, s13
.LBB2_4492:                             ;   in Loop: Header=BB2_4246 Depth=3
	s_delay_alu instid0(SALU_CYCLE_1)
	s_or_b32 exec_lo, exec_lo, s75
                                        ; implicit-def: $vgpr58
.LBB2_4493:                             ;   in Loop: Header=BB2_4246 Depth=3
	s_and_not1_saveexec_b32 s13, s74
; %bb.4494:                             ;   in Loop: Header=BB2_4246 Depth=3
	v_or_b32_e32 v56, 0x7e, v58
; %bb.4495:                             ;   in Loop: Header=BB2_4246 Depth=3
	s_or_b32 exec_lo, exec_lo, s13
                                        ; implicit-def: $vgpr15
.LBB2_4496:                             ;   in Loop: Header=BB2_4246 Depth=3
	s_and_not1_saveexec_b32 s13, s45
; %bb.4497:                             ;   in Loop: Header=BB2_4246 Depth=3
	v_or_b32_e32 v56, 0x7f, v15
; %bb.4498:                             ;   in Loop: Header=BB2_4246 Depth=3
	s_or_b32 exec_lo, exec_lo, s13
	v_and_b32_e32 v2, 0xff, v47
	v_dual_mov_b32 v14, 0 :: v_dual_mov_b32 v15, 0
	s_mov_b32 s13, exec_lo
	s_delay_alu instid0(VALU_DEP_2)
	v_cmpx_ne_u16_e32 0, v2
	s_cbranch_execz .LBB2_4506
; %bb.4499:                             ;   in Loop: Header=BB2_4246 Depth=3
	v_bfrev_b32_e32 v15, 1
	s_mov_b32 s45, exec_lo
	v_cmpx_ne_u16_e32 0x80, v2
	s_cbranch_execz .LBB2_4505
; %bb.4500:                             ;   in Loop: Header=BB2_4246 Depth=3
	v_and_b32_e32 v118, 0x7f, v47
	v_mov_b32_e32 v15, 0x7f800001
	s_mov_b32 s74, exec_lo
	s_delay_alu instid0(VALU_DEP_2)
	v_cmpx_ne_u32_e32 0x7f, v118
	s_cbranch_execz .LBB2_4504
; %bb.4501:                             ;   in Loop: Header=BB2_4246 Depth=3
	v_and_b32_e32 v2, 7, v2
	v_lshrrev_b32_e32 v15, 3, v118
	s_mov_b32 s75, exec_lo
	v_cmpx_gt_u32_e32 8, v118
; %bb.4502:                             ;   in Loop: Header=BB2_4246 Depth=3
	s_delay_alu instid0(VALU_DEP_3) | instskip(NEXT) | instid1(VALU_DEP_1)
	v_clz_i32_u32_e32 v15, v2
	v_min_u32_e32 v15, 32, v15
	s_delay_alu instid0(VALU_DEP_1) | instskip(NEXT) | instid1(VALU_DEP_1)
	v_subrev_nc_u32_e32 v18, 28, v15
	v_lshlrev_b64_e32 v[118:119], v18, v[2:3]
	s_delay_alu instid0(VALU_DEP_1)
	v_dual_sub_nc_u32 v15, 29, v15 :: v_dual_bitop2_b32 v2, 7, v118 bitop3:0x40
; %bb.4503:                             ;   in Loop: Header=BB2_4246 Depth=3
	s_or_b32 exec_lo, exec_lo, s75
	s_delay_alu instid0(VALU_DEP_1) | instskip(NEXT) | instid1(VALU_DEP_2)
	v_dual_lshlrev_b32 v18, 24, v47 :: v_dual_lshlrev_b32 v2, 20, v2
	v_lshl_add_u32 v15, v15, 23, 0x3c000000
	s_delay_alu instid0(VALU_DEP_2) | instskip(NEXT) | instid1(VALU_DEP_1)
	v_and_b32_e32 v18, 0x80000000, v18
	v_or3_b32 v15, v2, v18, v15
.LBB2_4504:                             ;   in Loop: Header=BB2_4246 Depth=3
	s_or_b32 exec_lo, exec_lo, s74
.LBB2_4505:                             ;   in Loop: Header=BB2_4246 Depth=3
	s_delay_alu instid0(SALU_CYCLE_1)
	s_or_b32 exec_lo, exec_lo, s45
.LBB2_4506:                             ;   in Loop: Header=BB2_4246 Depth=3
	s_delay_alu instid0(SALU_CYCLE_1) | instskip(SKIP_3) | instid1(VALU_DEP_1)
	s_or_b32 exec_lo, exec_lo, s13
	s_wait_loadcnt_dscnt 0x0
	v_and_b32_e32 v2, 0xff, v40
	s_mov_b32 s13, exec_lo
	v_cmpx_ne_u16_e32 0, v2
	s_cbranch_execz .LBB2_4514
; %bb.4507:                             ;   in Loop: Header=BB2_4246 Depth=3
	v_bfrev_b32_e32 v14, 1
	s_mov_b32 s45, exec_lo
	v_cmpx_ne_u16_e32 0x80, v2
	s_cbranch_execz .LBB2_4513
; %bb.4508:                             ;   in Loop: Header=BB2_4246 Depth=3
	v_and_b32_e32 v118, 0x7f, v40
	v_mov_b32_e32 v14, 0x7f800001
	s_mov_b32 s74, exec_lo
	s_delay_alu instid0(VALU_DEP_2)
	v_cmpx_ne_u32_e32 0x7f, v118
	s_cbranch_execz .LBB2_4512
; %bb.4509:                             ;   in Loop: Header=BB2_4246 Depth=3
	v_and_b32_e32 v2, 7, v2
	v_lshrrev_b32_e32 v14, 3, v118
	s_mov_b32 s75, exec_lo
	v_cmpx_gt_u32_e32 8, v118
; %bb.4510:                             ;   in Loop: Header=BB2_4246 Depth=3
	s_delay_alu instid0(VALU_DEP_3) | instskip(NEXT) | instid1(VALU_DEP_1)
	v_clz_i32_u32_e32 v14, v2
	v_min_u32_e32 v14, 32, v14
	s_delay_alu instid0(VALU_DEP_1) | instskip(SKIP_1) | instid1(VALU_DEP_2)
	v_subrev_nc_u32_e32 v18, 28, v14
	v_sub_nc_u32_e32 v14, 29, v14
	v_lshlrev_b64_e32 v[118:119], v18, v[2:3]
	s_delay_alu instid0(VALU_DEP_1)
	v_and_b32_e32 v2, 7, v118
; %bb.4511:                             ;   in Loop: Header=BB2_4246 Depth=3
	s_or_b32 exec_lo, exec_lo, s75
	s_delay_alu instid0(VALU_DEP_1) | instskip(SKIP_1) | instid1(VALU_DEP_2)
	v_dual_lshlrev_b32 v18, 24, v40 :: v_dual_lshlrev_b32 v2, 20, v2
	v_lshl_add_u32 v14, v14, 23, 0x3c000000
	v_and_b32_e32 v18, 0x80000000, v18
	s_delay_alu instid0(VALU_DEP_1)
	v_or3_b32 v14, v2, v18, v14
.LBB2_4512:                             ;   in Loop: Header=BB2_4246 Depth=3
	s_or_b32 exec_lo, exec_lo, s74
.LBB2_4513:                             ;   in Loop: Header=BB2_4246 Depth=3
	s_delay_alu instid0(SALU_CYCLE_1)
	s_or_b32 exec_lo, exec_lo, s45
.LBB2_4514:                             ;   in Loop: Header=BB2_4246 Depth=3
	s_delay_alu instid0(SALU_CYCLE_1) | instskip(NEXT) | instid1(VALU_DEP_1)
	s_or_b32 exec_lo, exec_lo, s13
	v_add_f32_e32 v14, v15, v14
	s_delay_alu instid0(VALU_DEP_1) | instskip(SKIP_1) | instid1(VALU_DEP_2)
	v_and_b32_e32 v2, 0x7f800000, v14
	v_lshrrev_b32_e32 v15, 24, v14
	v_cmp_ne_u64_e32 vcc_lo, 0x7f800000, v[2:3]
                                        ; implicit-def: $vgpr2
	s_and_saveexec_b32 s13, vcc_lo
	s_delay_alu instid0(SALU_CYCLE_1)
	s_xor_b32 s45, exec_lo, s13
	s_cbranch_execz .LBB2_4532
; %bb.4515:                             ;   in Loop: Header=BB2_4246 Depth=3
	v_and_b32_e32 v2, 0x7fffffff, v14
	v_and_b32_e32 v40, 0x80, v15
	s_delay_alu instid0(VALU_DEP_2) | instskip(SKIP_1) | instid1(SALU_CYCLE_1)
	v_cmp_gt_u64_e32 vcc_lo, 0x43e00001, v[2:3]
                                        ; implicit-def: $vgpr2
	s_and_saveexec_b32 s13, vcc_lo
	s_xor_b32 s74, exec_lo, s13
	s_cbranch_execz .LBB2_4529
; %bb.4516:                             ;   in Loop: Header=BB2_4246 Depth=3
	v_mov_b32_e32 v2, 0
	s_mov_b32 s75, exec_lo
	v_cmpx_ne_u32_e32 0, v14
	s_cbranch_execz .LBB2_4528
; %bb.4517:                             ;   in Loop: Header=BB2_4246 Depth=3
	v_bfe_u32 v47, v14, 23, 8
	s_delay_alu instid0(VALU_DEP_1) | instskip(SKIP_1) | instid1(VALU_DEP_2)
	v_sub_nc_u32_e32 v2, 0x79, v47
	v_cmp_gt_u32_e32 vcc_lo, 0x7a, v47
	v_cndmask_b32_e32 v2, 0, v2, vcc_lo
	v_cmp_eq_u32_e32 vcc_lo, 0, v47
	s_delay_alu instid0(VALU_DEP_2) | instskip(SKIP_1) | instid1(VALU_DEP_2)
	v_cndmask_b32_e64 v58, v2, 0x78, vcc_lo
	v_and_b32_e32 v2, 0x7fffff, v14
	v_dual_add_nc_u32 v14, 20, v58 :: v_dual_add_nc_u32 v19, 19, v58
	s_delay_alu instid0(VALU_DEP_2) | instskip(NEXT) | instid1(VALU_DEP_2)
	v_or_b32_e32 v18, 0x800000, v2
	v_lshlrev_b64_e64 v[14:15], v14, -1
	s_delay_alu instid0(VALU_DEP_3) | instskip(NEXT) | instid1(VALU_DEP_3)
	v_lshlrev_b64_e64 v[118:119], v19, 1
	v_cndmask_b32_e32 v2, v18, v2, vcc_lo
	s_delay_alu instid0(VALU_DEP_3) | instskip(NEXT) | instid1(VALU_DEP_2)
	v_bfi_b32 v73, v15, 0, 0
	v_bfi_b32 v72, v14, 0, v2
	v_lshrrev_b64 v[14:15], v58, v[2:3]
	s_delay_alu instid0(VALU_DEP_2) | instskip(NEXT) | instid1(VALU_DEP_2)
	v_cmp_eq_u64_e64 s13, v[72:73], v[118:119]
	v_mov_b64_e32 v[118:119], v[14:15]
	s_and_saveexec_b32 s76, s13
; %bb.4518:                             ;   in Loop: Header=BB2_4246 Depth=3
	v_bfe_u32 v2, v14, 20, 1
	s_delay_alu instid0(VALU_DEP_1) | instskip(NEXT) | instid1(VALU_DEP_1)
	v_add_nc_u64_e32 v[118:119], v[14:15], v[2:3]
	v_add_nc_u64_e32 v[118:119], -1, v[118:119]
; %bb.4519:                             ;   in Loop: Header=BB2_4246 Depth=3
	s_or_b32 exec_lo, exec_lo, s76
	v_add_nc_u32_e32 v2, 0xffffff81, v47
	v_lshrrev_b32_e32 v15, 23, v14
	s_mov_b32 s13, exec_lo
	s_delay_alu instid0(VALU_DEP_2) | instskip(NEXT) | instid1(VALU_DEP_1)
	v_cndmask_b32_e64 v2, v2, 0xffffff82, vcc_lo
	v_add3_u32 v119, v58, v2, v15
	v_and_b32_e32 v2, 0xfffff, v118
                                        ; implicit-def: $vgpr118
	s_delay_alu instid0(VALU_DEP_1) | instskip(NEXT) | instid1(VALU_DEP_1)
	v_dual_add_nc_u32 v47, 6, v119 :: v_dual_add_nc_u32 v2, v2, v14
                                        ; implicit-def: $vgpr14_vgpr15
	v_cmpx_ne_u32_e32 0, v47
	s_xor_b32 s13, exec_lo, s13
; %bb.4520:                             ;   in Loop: Header=BB2_4246 Depth=3
	s_delay_alu instid0(VALU_DEP_2) | instskip(SKIP_1) | instid1(VALU_DEP_1)
	v_cmp_lt_u64_e32 vcc_lo, 0xffffff, v[2:3]
	v_add_nc_u32_e32 v14, 7, v119
	v_cndmask_b32_e32 v118, v47, v14, vcc_lo
	v_cndmask_b32_e64 v14, 0, 1, vcc_lo
	s_delay_alu instid0(VALU_DEP_1)
	v_lshrrev_b64 v[14:15], v14, v[2:3]
; %bb.4521:                             ;   in Loop: Header=BB2_4246 Depth=3
	s_and_not1_saveexec_b32 s13, s13
; %bb.4522:                             ;   in Loop: Header=BB2_4246 Depth=3
	v_mov_b64_e32 v[14:15], v[2:3]
	v_bfe_u32 v118, v2, 23, 1
; %bb.4523:                             ;   in Loop: Header=BB2_4246 Depth=3
	s_or_b32 exec_lo, exec_lo, s13
	s_delay_alu instid0(VALU_DEP_2) | instskip(NEXT) | instid1(VALU_DEP_2)
	v_lshrrev_b64 v[14:15], 20, v[14:15]
	v_cmp_gt_i32_e32 vcc_lo, 16, v118
	v_cmp_ne_u32_e64 s13, 0, v118
                                        ; implicit-def: $vgpr2
	s_delay_alu instid0(VALU_DEP_3) | instskip(NEXT) | instid1(VALU_DEP_1)
	v_dual_cndmask_b32 v15, 0, v15 :: v_dual_cndmask_b32 v14, 7, v14
	v_cmp_ne_u64_e32 vcc_lo, 0, v[14:15]
	s_or_b32 s13, s13, vcc_lo
	s_delay_alu instid0(SALU_CYCLE_1) | instskip(NEXT) | instid1(SALU_CYCLE_1)
	s_and_saveexec_b32 s76, s13
	s_xor_b32 s13, exec_lo, s76
; %bb.4524:                             ;   in Loop: Header=BB2_4246 Depth=3
	v_min_i32_e32 v2, 15, v118
	s_delay_alu instid0(VALU_DEP_1) | instskip(NEXT) | instid1(VALU_DEP_1)
	v_lshl_or_b32 v2, v2, 3, v40
                                        ; implicit-def: $vgpr40
	v_and_or_b32 v2, v14, 7, v2
; %bb.4525:                             ;   in Loop: Header=BB2_4246 Depth=3
	s_and_not1_saveexec_b32 s13, s13
; %bb.4526:                             ;   in Loop: Header=BB2_4246 Depth=3
	v_mov_b32_e32 v2, v40
; %bb.4527:                             ;   in Loop: Header=BB2_4246 Depth=3
	s_or_b32 exec_lo, exec_lo, s13
.LBB2_4528:                             ;   in Loop: Header=BB2_4246 Depth=3
	s_delay_alu instid0(SALU_CYCLE_1)
	s_or_b32 exec_lo, exec_lo, s75
                                        ; implicit-def: $vgpr40
.LBB2_4529:                             ;   in Loop: Header=BB2_4246 Depth=3
	s_and_not1_saveexec_b32 s13, s74
; %bb.4530:                             ;   in Loop: Header=BB2_4246 Depth=3
	v_or_b32_e32 v2, 0x7e, v40
; %bb.4531:                             ;   in Loop: Header=BB2_4246 Depth=3
	s_or_b32 exec_lo, exec_lo, s13
                                        ; implicit-def: $vgpr15
.LBB2_4532:                             ;   in Loop: Header=BB2_4246 Depth=3
	s_and_not1_saveexec_b32 s13, s45
	s_cbranch_execz .LBB2_4245
; %bb.4533:                             ;   in Loop: Header=BB2_4246 Depth=3
	v_or_b32_e32 v2, 0x7f, v15
	s_branch .LBB2_4245
.LBB2_4534:                             ;   in Loop: Header=BB2_1811 Depth=2
	s_or_b32 exec_lo, exec_lo, s44
.LBB2_4535:                             ;   in Loop: Header=BB2_1811 Depth=2
	s_delay_alu instid0(SALU_CYCLE_1) | instskip(SKIP_1) | instid1(VALU_DEP_1)
	s_or_b32 exec_lo, exec_lo, s15
	v_lshlrev_b32_e32 v2, 8, v46
	v_cmp_ne_u32_e32 vcc_lo, v43, v2
	s_and_b32 exec_lo, exec_lo, vcc_lo
	s_cbranch_execz .LBB2_4575
; %bb.4536:                             ;   in Loop: Header=BB2_1811 Depth=2
	v_dual_add_nc_u32 v8, v44, v45 :: v_dual_lshlrev_b32 v9, 5, v115
	s_delay_alu instid0(VALU_DEP_1) | instskip(NEXT) | instid1(VALU_DEP_1)
	v_and_b32_e32 v8, 0xffffffe0, v8
	v_sub_nc_u32_e32 v8, v44, v8
	s_delay_alu instid0(VALU_DEP_1) | instskip(NEXT) | instid1(VALU_DEP_1)
	v_sub_nc_u32_e32 v8, v8, v9
	v_add_nc_u32_e32 v2, v2, v8
	s_delay_alu instid0(VALU_DEP_1) | instskip(NEXT) | instid1(VALU_DEP_1)
	v_sub_nc_u32_e32 v115, v43, v2
	v_cmp_lt_i32_e32 vcc_lo, 0, v115
	s_and_b32 exec_lo, exec_lo, vcc_lo
	s_cbranch_execz .LBB2_4575
; %bb.4537:                             ;   in Loop: Header=BB2_1811 Depth=2
	s_trap 2
	ds_load_b128 v[8:11], v0
	ds_load_b64 v[12:13], v0
	v_add_nc_u32_e32 v14, v2, v42
	s_mov_b32 s15, 0
	s_delay_alu instid0(VALU_DEP_1) | instskip(SKIP_1) | instid1(VALU_DEP_1)
	v_ashrrev_i32_e32 v15, 31, v14
	s_wait_dscnt 0x1
	v_add_nc_u64_e32 v[8:9], v[8:9], v[14:15]
	v_add_nc_u64_e32 v[10:11], v[10:11], v[14:15]
	s_wait_dscnt 0x0
	v_add_nc_u64_e32 v[12:13], v[12:13], v[14:15]
	s_branch .LBB2_4539
.LBB2_4538:                             ;   in Loop: Header=BB2_4539 Depth=3
	s_or_b32 exec_lo, exec_lo, s13
	v_sub_nc_u32_e32 v115, v115, v38
	flat_store_b8 v[12:13], v2 th:TH_STORE_NT
	v_add_nc_u64_e32 v[8:9], v[8:9], v[38:39]
	v_add_nc_u64_e32 v[10:11], v[10:11], v[38:39]
	s_wait_xcnt 0x0
	v_add_nc_u64_e32 v[12:13], v[12:13], v[38:39]
	v_cmp_gt_i32_e32 vcc_lo, 1, v115
	s_or_b32 s15, vcc_lo, s15
	s_delay_alu instid0(SALU_CYCLE_1)
	s_and_not1_b32 exec_lo, exec_lo, s15
	s_cbranch_execz .LBB2_4575
.LBB2_4539:                             ;   Parent Loop BB2_47 Depth=1
                                        ;     Parent Loop BB2_1811 Depth=2
                                        ; =>    This Inner Loop Header: Depth=3
	flat_load_u8 v119, v[8:9] th:TH_LOAD_NT
	flat_load_u8 v14, v[10:11] th:TH_LOAD_NT
	v_dual_mov_b32 v15, 0 :: v_dual_mov_b32 v118, 0
	s_mov_b32 s13, exec_lo
	s_wait_loadcnt_dscnt 0x101
	s_wait_xcnt 0x0
	v_cmpx_ne_u16_e32 0, v119
	s_cbranch_execz .LBB2_4547
; %bb.4540:                             ;   in Loop: Header=BB2_4539 Depth=3
	v_bfrev_b32_e32 v118, 1
	s_mov_b32 s44, exec_lo
	v_cmpx_ne_u16_e32 0x80, v119
	s_cbranch_execz .LBB2_4546
; %bb.4541:                             ;   in Loop: Header=BB2_4539 Depth=3
	v_and_b32_e32 v2, 0xffff, v119
	v_mov_b32_e32 v118, 0x7f800001
	s_mov_b32 s45, exec_lo
	s_delay_alu instid0(VALU_DEP_2) | instskip(NEXT) | instid1(VALU_DEP_1)
	v_and_b32_e32 v40, 0x7f, v2
	v_cmpx_ne_u32_e32 0x7f, v40
	s_cbranch_execz .LBB2_4545
; %bb.4542:                             ;   in Loop: Header=BB2_4539 Depth=3
	v_dual_lshrrev_b32 v118, 3, v40 :: v_dual_bitop2_b32 v2, 7, v2 bitop3:0x40
	s_mov_b32 s74, exec_lo
	v_cmpx_gt_u32_e32 8, v40
; %bb.4543:                             ;   in Loop: Header=BB2_4539 Depth=3
	s_delay_alu instid0(VALU_DEP_2) | instskip(NEXT) | instid1(VALU_DEP_1)
	v_clz_i32_u32_e32 v18, v2
	v_min_u32_e32 v18, 32, v18
	s_delay_alu instid0(VALU_DEP_1) | instskip(NEXT) | instid1(VALU_DEP_1)
	v_subrev_nc_u32_e32 v19, 28, v18
	v_lshlrev_b64_e32 v[40:41], v19, v[2:3]
	s_delay_alu instid0(VALU_DEP_1)
	v_dual_sub_nc_u32 v118, 29, v18 :: v_dual_bitop2_b32 v2, 7, v40 bitop3:0x40
; %bb.4544:                             ;   in Loop: Header=BB2_4539 Depth=3
	s_or_b32 exec_lo, exec_lo, s74
	s_delay_alu instid0(VALU_DEP_1) | instskip(NEXT) | instid1(VALU_DEP_2)
	v_dual_lshlrev_b32 v18, 24, v119 :: v_dual_lshlrev_b32 v2, 20, v2
	v_lshl_add_u32 v19, v118, 23, 0x3c000000
	s_delay_alu instid0(VALU_DEP_2) | instskip(NEXT) | instid1(VALU_DEP_1)
	v_and_b32_e32 v18, 0x80000000, v18
	v_or3_b32 v118, v2, v18, v19
.LBB2_4545:                             ;   in Loop: Header=BB2_4539 Depth=3
	s_or_b32 exec_lo, exec_lo, s45
.LBB2_4546:                             ;   in Loop: Header=BB2_4539 Depth=3
	s_delay_alu instid0(SALU_CYCLE_1)
	s_or_b32 exec_lo, exec_lo, s44
.LBB2_4547:                             ;   in Loop: Header=BB2_4539 Depth=3
	s_delay_alu instid0(SALU_CYCLE_1) | instskip(SKIP_3) | instid1(VALU_DEP_1)
	s_or_b32 exec_lo, exec_lo, s13
	s_wait_loadcnt_dscnt 0x0
	v_and_b32_e32 v2, 0xff, v14
	s_mov_b32 s13, exec_lo
	v_cmpx_ne_u16_e32 0, v2
	s_cbranch_execz .LBB2_4555
; %bb.4548:                             ;   in Loop: Header=BB2_4539 Depth=3
	v_bfrev_b32_e32 v15, 1
	s_mov_b32 s44, exec_lo
	v_cmpx_ne_u16_e32 0x80, v2
	s_cbranch_execz .LBB2_4554
; %bb.4549:                             ;   in Loop: Header=BB2_4539 Depth=3
	v_and_b32_e32 v119, 0x7f, v14
	v_mov_b32_e32 v15, 0x7f800001
	s_mov_b32 s45, exec_lo
	s_delay_alu instid0(VALU_DEP_2)
	v_cmpx_ne_u32_e32 0x7f, v119
	s_cbranch_execz .LBB2_4553
; %bb.4550:                             ;   in Loop: Header=BB2_4539 Depth=3
	v_dual_lshrrev_b32 v15, 3, v119 :: v_dual_bitop2_b32 v2, 7, v2 bitop3:0x40
	s_mov_b32 s74, exec_lo
	v_cmpx_gt_u32_e32 8, v119
; %bb.4551:                             ;   in Loop: Header=BB2_4539 Depth=3
	s_delay_alu instid0(VALU_DEP_2) | instskip(NEXT) | instid1(VALU_DEP_1)
	v_clz_i32_u32_e32 v15, v2
	v_min_u32_e32 v15, 32, v15
	s_delay_alu instid0(VALU_DEP_1) | instskip(NEXT) | instid1(VALU_DEP_1)
	v_subrev_nc_u32_e32 v18, 28, v15
	v_lshlrev_b64_e32 v[40:41], v18, v[2:3]
	s_delay_alu instid0(VALU_DEP_1)
	v_dual_sub_nc_u32 v15, 29, v15 :: v_dual_bitop2_b32 v2, 7, v40 bitop3:0x40
; %bb.4552:                             ;   in Loop: Header=BB2_4539 Depth=3
	s_or_b32 exec_lo, exec_lo, s74
	v_lshlrev_b32_e32 v14, 24, v14
	s_delay_alu instid0(VALU_DEP_2) | instskip(NEXT) | instid1(VALU_DEP_3)
	v_lshlrev_b32_e32 v2, 20, v2
	v_lshl_add_u32 v15, v15, 23, 0x3c000000
	s_delay_alu instid0(VALU_DEP_3) | instskip(NEXT) | instid1(VALU_DEP_1)
	v_and_b32_e32 v14, 0x80000000, v14
	v_or3_b32 v15, v2, v14, v15
.LBB2_4553:                             ;   in Loop: Header=BB2_4539 Depth=3
	s_or_b32 exec_lo, exec_lo, s45
.LBB2_4554:                             ;   in Loop: Header=BB2_4539 Depth=3
	s_delay_alu instid0(SALU_CYCLE_1)
	s_or_b32 exec_lo, exec_lo, s44
.LBB2_4555:                             ;   in Loop: Header=BB2_4539 Depth=3
	s_delay_alu instid0(SALU_CYCLE_1) | instskip(NEXT) | instid1(VALU_DEP_1)
	s_or_b32 exec_lo, exec_lo, s13
	v_add_f32_e32 v14, v118, v15
	s_delay_alu instid0(VALU_DEP_1) | instskip(NEXT) | instid1(VALU_DEP_1)
	v_and_b32_e32 v2, 0x7f800000, v14
	v_cmp_ne_u64_e32 vcc_lo, 0x7f800000, v[2:3]
                                        ; implicit-def: $vgpr2
	s_and_saveexec_b32 s13, vcc_lo
	s_delay_alu instid0(SALU_CYCLE_1)
	s_xor_b32 s44, exec_lo, s13
	s_cbranch_execz .LBB2_4573
; %bb.4556:                             ;   in Loop: Header=BB2_4539 Depth=3
	v_and_b32_e32 v2, 0x7fffffff, v14
	v_lshrrev_b32_e32 v15, 24, v14
	s_delay_alu instid0(VALU_DEP_2) | instskip(NEXT) | instid1(VALU_DEP_2)
	v_cmp_gt_u64_e32 vcc_lo, 0x43e00001, v[2:3]
	v_and_b32_e32 v40, 0x80, v15
                                        ; implicit-def: $vgpr2
	s_and_saveexec_b32 s13, vcc_lo
	s_delay_alu instid0(SALU_CYCLE_1)
	s_xor_b32 s45, exec_lo, s13
	s_cbranch_execz .LBB2_4570
; %bb.4557:                             ;   in Loop: Header=BB2_4539 Depth=3
	v_mov_b32_e32 v2, 0
	s_mov_b32 s74, exec_lo
	v_cmpx_ne_u32_e32 0, v14
	s_cbranch_execz .LBB2_4569
; %bb.4558:                             ;   in Loop: Header=BB2_4539 Depth=3
	v_bfe_u32 v41, v14, 23, 8
	s_delay_alu instid0(VALU_DEP_1) | instskip(SKIP_1) | instid1(VALU_DEP_2)
	v_sub_nc_u32_e32 v2, 0x79, v41
	v_cmp_gt_u32_e32 vcc_lo, 0x7a, v41
	v_cndmask_b32_e32 v2, 0, v2, vcc_lo
	v_cmp_eq_u32_e32 vcc_lo, 0, v41
	s_delay_alu instid0(VALU_DEP_2) | instskip(SKIP_1) | instid1(VALU_DEP_2)
	v_cndmask_b32_e64 v42, v2, 0x78, vcc_lo
	v_and_b32_e32 v2, 0x7fffff, v14
	v_dual_add_nc_u32 v14, 20, v42 :: v_dual_add_nc_u32 v19, 19, v42
	s_delay_alu instid0(VALU_DEP_2) | instskip(NEXT) | instid1(VALU_DEP_2)
	v_or_b32_e32 v18, 0x800000, v2
	v_lshlrev_b64_e64 v[14:15], v14, -1
	s_delay_alu instid0(VALU_DEP_3) | instskip(NEXT) | instid1(VALU_DEP_3)
	v_lshlrev_b64_e64 v[118:119], v19, 1
	v_cndmask_b32_e32 v2, v18, v2, vcc_lo
	s_delay_alu instid0(VALU_DEP_3) | instskip(NEXT) | instid1(VALU_DEP_2)
	v_bfi_b32 v45, v15, 0, 0
	v_bfi_b32 v44, v14, 0, v2
	v_lshrrev_b64 v[14:15], v42, v[2:3]
	s_delay_alu instid0(VALU_DEP_2) | instskip(NEXT) | instid1(VALU_DEP_2)
	v_cmp_eq_u64_e64 s13, v[44:45], v[118:119]
	v_mov_b64_e32 v[118:119], v[14:15]
	s_and_saveexec_b32 s75, s13
; %bb.4559:                             ;   in Loop: Header=BB2_4539 Depth=3
	v_bfe_u32 v2, v14, 20, 1
	s_delay_alu instid0(VALU_DEP_1) | instskip(NEXT) | instid1(VALU_DEP_1)
	v_add_nc_u64_e32 v[118:119], v[14:15], v[2:3]
	v_add_nc_u64_e32 v[118:119], -1, v[118:119]
; %bb.4560:                             ;   in Loop: Header=BB2_4539 Depth=3
	s_or_b32 exec_lo, exec_lo, s75
	v_add_nc_u32_e32 v2, 0xffffff81, v41
	v_lshrrev_b32_e32 v15, 23, v14
	s_mov_b32 s13, exec_lo
	s_delay_alu instid0(VALU_DEP_2) | instskip(NEXT) | instid1(VALU_DEP_1)
	v_cndmask_b32_e64 v2, v2, 0xffffff82, vcc_lo
	v_add3_u32 v119, v42, v2, v15
	v_and_b32_e32 v2, 0xfffff, v118
                                        ; implicit-def: $vgpr118
	s_delay_alu instid0(VALU_DEP_1) | instskip(NEXT) | instid1(VALU_DEP_1)
	v_dual_add_nc_u32 v41, 6, v119 :: v_dual_add_nc_u32 v2, v2, v14
                                        ; implicit-def: $vgpr14_vgpr15
	v_cmpx_ne_u32_e32 0, v41
	s_xor_b32 s13, exec_lo, s13
; %bb.4561:                             ;   in Loop: Header=BB2_4539 Depth=3
	s_delay_alu instid0(VALU_DEP_2) | instskip(SKIP_1) | instid1(VALU_DEP_1)
	v_cmp_lt_u64_e32 vcc_lo, 0xffffff, v[2:3]
	v_add_nc_u32_e32 v14, 7, v119
	v_cndmask_b32_e32 v118, v41, v14, vcc_lo
	v_cndmask_b32_e64 v14, 0, 1, vcc_lo
	s_delay_alu instid0(VALU_DEP_1)
	v_lshrrev_b64 v[14:15], v14, v[2:3]
; %bb.4562:                             ;   in Loop: Header=BB2_4539 Depth=3
	s_and_not1_saveexec_b32 s13, s13
; %bb.4563:                             ;   in Loop: Header=BB2_4539 Depth=3
	v_mov_b64_e32 v[14:15], v[2:3]
	v_bfe_u32 v118, v2, 23, 1
; %bb.4564:                             ;   in Loop: Header=BB2_4539 Depth=3
	s_or_b32 exec_lo, exec_lo, s13
	s_delay_alu instid0(VALU_DEP_2) | instskip(NEXT) | instid1(VALU_DEP_2)
	v_lshrrev_b64 v[14:15], 20, v[14:15]
	v_cmp_gt_i32_e32 vcc_lo, 16, v118
	v_cmp_ne_u32_e64 s13, 0, v118
                                        ; implicit-def: $vgpr2
	s_delay_alu instid0(VALU_DEP_3) | instskip(NEXT) | instid1(VALU_DEP_1)
	v_dual_cndmask_b32 v15, 0, v15 :: v_dual_cndmask_b32 v14, 7, v14
	v_cmp_ne_u64_e32 vcc_lo, 0, v[14:15]
	s_or_b32 s13, s13, vcc_lo
	s_delay_alu instid0(SALU_CYCLE_1) | instskip(NEXT) | instid1(SALU_CYCLE_1)
	s_and_saveexec_b32 s75, s13
	s_xor_b32 s13, exec_lo, s75
; %bb.4565:                             ;   in Loop: Header=BB2_4539 Depth=3
	v_min_i32_e32 v2, 15, v118
	s_delay_alu instid0(VALU_DEP_1) | instskip(NEXT) | instid1(VALU_DEP_1)
	v_lshl_or_b32 v2, v2, 3, v40
                                        ; implicit-def: $vgpr40
	v_and_or_b32 v2, v14, 7, v2
; %bb.4566:                             ;   in Loop: Header=BB2_4539 Depth=3
	s_and_not1_saveexec_b32 s13, s13
; %bb.4567:                             ;   in Loop: Header=BB2_4539 Depth=3
	v_mov_b32_e32 v2, v40
; %bb.4568:                             ;   in Loop: Header=BB2_4539 Depth=3
	s_or_b32 exec_lo, exec_lo, s13
.LBB2_4569:                             ;   in Loop: Header=BB2_4539 Depth=3
	s_delay_alu instid0(SALU_CYCLE_1)
	s_or_b32 exec_lo, exec_lo, s74
                                        ; implicit-def: $vgpr40
.LBB2_4570:                             ;   in Loop: Header=BB2_4539 Depth=3
	s_and_not1_saveexec_b32 s13, s45
; %bb.4571:                             ;   in Loop: Header=BB2_4539 Depth=3
	v_or_b32_e32 v2, 0x7e, v40
; %bb.4572:                             ;   in Loop: Header=BB2_4539 Depth=3
	s_or_b32 exec_lo, exec_lo, s13
                                        ; implicit-def: $vgpr14
.LBB2_4573:                             ;   in Loop: Header=BB2_4539 Depth=3
	s_and_not1_saveexec_b32 s13, s44
	s_cbranch_execz .LBB2_4538
; %bb.4574:                             ;   in Loop: Header=BB2_4539 Depth=3
	v_lshrrev_b32_e32 v2, 24, v14
	s_delay_alu instid0(VALU_DEP_1)
	v_or_b32_e32 v2, 0x7f, v2
	s_branch .LBB2_4538
.LBB2_4575:                             ;   in Loop: Header=BB2_1811 Depth=2
	s_or_b32 exec_lo, exec_lo, s14
.LBB2_4576:                             ;   in Loop: Header=BB2_1811 Depth=2
	v_cmp_lt_i32_e64 s13, 0, v113
	s_and_saveexec_b32 s14, s2
	s_cbranch_execz .LBB2_4595
.LBB2_4577:                             ;   in Loop: Header=BB2_1811 Depth=2
	s_and_saveexec_b32 s15, s3
	s_delay_alu instid0(SALU_CYCLE_1)
	s_xor_b32 s15, exec_lo, s15
	s_cbranch_execz .LBB2_4592
; %bb.4578:                             ;   in Loop: Header=BB2_1811 Depth=2
	s_and_saveexec_b32 s44, s6
	s_cbranch_execz .LBB2_4591
; %bb.4579:                             ;   in Loop: Header=BB2_1811 Depth=2
	s_mov_b32 s74, exec_lo
	s_mov_b32 s45, exec_lo
	v_mbcnt_lo_u32_b32 v2, s74, 0
	global_wb scope:SCOPE_DEV
	s_wait_storecnt 0x0
	s_wait_loadcnt_dscnt 0x0
	global_inv scope:SCOPE_DEV
	v_cmpx_eq_u32_e32 0, v2
	s_cbranch_execz .LBB2_4581
; %bb.4580:                             ;   in Loop: Header=BB2_1811 Depth=2
	s_bcnt1_i32_b32 s74, s74
	s_delay_alu instid0(SALU_CYCLE_1)
	v_mov_b32_e32 v2, s74
	s_wait_loadcnt 0x0
	ds_add_u64 v0, v[2:3]
	s_trap 2
.LBB2_4581:                             ;   in Loop: Header=BB2_1811 Depth=2
	s_or_b32 exec_lo, exec_lo, s45
	s_trap 2
	ds_load_b64 v[8:9], v0
	s_wait_dscnt 0x0
	v_add_nc_u64_e32 v[32:33], v[32:33], v[36:37]
	s_mov_b32 s45, exec_lo
	s_delay_alu instid0(VALU_DEP_1)
	v_cmpx_lt_u64_e64 v[8:9], v[32:33]
	s_cbranch_execz .LBB2_4590
; %bb.4582:                             ;   in Loop: Header=BB2_1811 Depth=2
	s_mov_b32 s74, 0
	s_mov_b32 s77, 0
                                        ; implicit-def: $sgpr75
                                        ; implicit-def: $sgpr76
	s_branch .LBB2_4584
.LBB2_4583:                             ;   in Loop: Header=BB2_4584 Depth=3
	s_or_b32 exec_lo, exec_lo, s79
	s_delay_alu instid0(SALU_CYCLE_1) | instskip(NEXT) | instid1(SALU_CYCLE_1)
	s_and_b32 s78, exec_lo, s88
	s_or_b32 s74, s78, s74
	s_and_not1_b32 s75, s75, exec_lo
	s_and_b32 s78, s76, exec_lo
	s_delay_alu instid0(SALU_CYCLE_1)
	s_or_b32 s75, s75, s78
	s_and_not1_b32 exec_lo, exec_lo, s74
	s_cbranch_execz .LBB2_4588
.LBB2_4584:                             ;   Parent Loop BB2_47 Depth=1
                                        ;     Parent Loop BB2_1811 Depth=2
                                        ; =>    This Inner Loop Header: Depth=3
	s_add_co_i32 s77, s77, 1
	s_delay_alu instid0(SALU_CYCLE_1) | instskip(SKIP_1) | instid1(SALU_CYCLE_1)
	s_cmp_lg_u32 s77, 0x2710
	s_cselect_b32 s78, -1, 0
	s_and_b32 vcc_lo, exec_lo, s78
	s_cbranch_vccz .LBB2_4586
; %bb.4585:                             ;   in Loop: Header=BB2_4584 Depth=3
	s_mov_b32 s88, -1
	s_or_b32 s76, s76, exec_lo
	s_and_saveexec_b32 s79, s78
	s_cbranch_execz .LBB2_4583
	s_branch .LBB2_4587
.LBB2_4586:                             ;   in Loop: Header=BB2_4584 Depth=3
	s_trap 2
	ds_load_b64 v[8:9], v0
	s_and_not1_b32 s78, s78, exec_lo
	s_mov_b32 s77, 0
	s_wait_loadcnt_dscnt 0x0
	flat_load_b32 v2, v[8:9] scope:SCOPE_SYS
	s_wait_loadcnt_dscnt 0x0
	global_inv scope:SCOPE_SYS
	v_cmp_eq_u32_e32 vcc_lo, 0, v2
	s_and_b32 s79, vcc_lo, exec_lo
	s_delay_alu instid0(SALU_CYCLE_1)
	s_or_b32 s78, s78, s79
	s_mov_b32 s88, -1
	s_or_b32 s76, s76, exec_lo
	s_and_saveexec_b32 s79, s78
	s_cbranch_execz .LBB2_4583
.LBB2_4587:                             ;   in Loop: Header=BB2_4584 Depth=3
	s_sleep 1
	s_trap 2
	ds_load_b64 v[8:9], v0
	s_wait_dscnt 0x0
	s_and_not1_b32 s76, s76, exec_lo
	v_cmp_ge_u64_e32 vcc_lo, v[8:9], v[32:33]
	s_or_not1_b32 s88, vcc_lo, exec_lo
	s_branch .LBB2_4583
.LBB2_4588:                             ;   in Loop: Header=BB2_1811 Depth=2
	s_or_b32 exec_lo, exec_lo, s74
	s_and_saveexec_b32 s74, s75
	s_delay_alu instid0(SALU_CYCLE_1)
	s_xor_b32 s74, exec_lo, s74
	s_cbranch_execz .LBB2_4590
; %bb.4589:                             ;   in Loop: Header=BB2_1811 Depth=2
	ds_store_b32 v0, v75
	s_trap 2
.LBB2_4590:                             ;   in Loop: Header=BB2_1811 Depth=2
	s_or_b32 exec_lo, exec_lo, s45
	;;#ASMSTART
	s_wakeup
	;;#ASMEND
.LBB2_4591:                             ;   in Loop: Header=BB2_1811 Depth=2
	s_or_b32 exec_lo, exec_lo, s44
.LBB2_4592:                             ;   in Loop: Header=BB2_1811 Depth=2
	s_and_not1_saveexec_b32 s15, s15
	s_cbranch_execz .LBB2_4594
; %bb.4593:                             ;   in Loop: Header=BB2_1811 Depth=2
	global_wb scope:SCOPE_DEV
	s_wait_storecnt 0x0
	s_wait_loadcnt_dscnt 0x0
	global_inv scope:SCOPE_DEV
	s_barrier_signal -1
	s_barrier_wait -1
.LBB2_4594:                             ;   in Loop: Header=BB2_1811 Depth=2
	s_or_b32 exec_lo, exec_lo, s15
.LBB2_4595:                             ;   in Loop: Header=BB2_1811 Depth=2
	s_delay_alu instid0(SALU_CYCLE_1) | instskip(SKIP_2) | instid1(SALU_CYCLE_1)
	s_or_b32 exec_lo, exec_lo, s14
	v_and_b32_e32 v8, 16, v30
	s_and_saveexec_b32 s14, s7
	s_xor_b32 s14, exec_lo, s14
	s_cbranch_execz .LBB2_4599
; %bb.4596:                             ;   in Loop: Header=BB2_1811 Depth=2
	v_and_b32_e32 v2, 16, v30
	v_and_b32_e32 v8, 16, v30
	s_delay_alu instid0(VALU_DEP_2) | instskip(SKIP_1) | instid1(SALU_CYCLE_1)
	v_cmp_ne_u32_e32 vcc_lo, 0, v2
	s_and_b32 s15, vcc_lo, s13
	s_and_saveexec_b32 s13, s15
	s_cbranch_execz .LBB2_4598
; %bb.4597:                             ;   in Loop: Header=BB2_1811 Depth=2
	v_mov_b32_e32 v8, 1
	global_wb scope:SCOPE_SYS
	s_wait_storecnt 0x0
	s_wait_loadcnt_dscnt 0x0
	global_inv scope:SCOPE_SYS
.LBB2_4598:                             ;   in Loop: Header=BB2_1811 Depth=2
	s_or_b32 exec_lo, exec_lo, s13
.LBB2_4599:                             ;   in Loop: Header=BB2_1811 Depth=2
	s_and_not1_saveexec_b32 s13, s14
	s_cbranch_execz .LBB2_4618
; %bb.4600:                             ;   in Loop: Header=BB2_1811 Depth=2
	s_and_saveexec_b32 s14, s3
	s_delay_alu instid0(SALU_CYCLE_1)
	s_xor_b32 s14, exec_lo, s14
	s_cbranch_execz .LBB2_4615
; %bb.4601:                             ;   in Loop: Header=BB2_1811 Depth=2
	s_and_saveexec_b32 s15, s6
	s_cbranch_execz .LBB2_4614
; %bb.4602:                             ;   in Loop: Header=BB2_1811 Depth=2
	s_mov_b32 s45, exec_lo
	s_mov_b32 s44, exec_lo
	v_mbcnt_lo_u32_b32 v2, s45, 0
	;;#ASMSTART
	s_waitcnt lgkmcnt(0) vmcnt(0)
	;;#ASMEND
	s_delay_alu instid0(VALU_DEP_1)
	v_cmpx_eq_u32_e32 0, v2
	s_cbranch_execz .LBB2_4604
; %bb.4603:                             ;   in Loop: Header=BB2_1811 Depth=2
	s_bcnt1_i32_b32 s45, s45
	s_delay_alu instid0(SALU_CYCLE_1)
	v_mov_b32_e32 v2, s45
	s_wait_storecnt 0x0
	s_wait_loadcnt_dscnt 0x0
	ds_add_u64 v0, v[2:3]
	s_trap 2
.LBB2_4604:                             ;   in Loop: Header=BB2_1811 Depth=2
	s_or_b32 exec_lo, exec_lo, s44
	s_trap 2
	ds_load_b64 v[10:11], v0
	s_wait_dscnt 0x0
	v_add_nc_u64_e32 v[32:33], v[32:33], v[36:37]
	s_mov_b32 s44, exec_lo
	s_delay_alu instid0(VALU_DEP_1)
	v_cmpx_lt_u64_e64 v[10:11], v[32:33]
	s_cbranch_execz .LBB2_4613
; %bb.4605:                             ;   in Loop: Header=BB2_1811 Depth=2
	s_mov_b32 s45, 0
	s_mov_b32 s76, 0
                                        ; implicit-def: $sgpr74
                                        ; implicit-def: $sgpr75
	s_branch .LBB2_4607
.LBB2_4606:                             ;   in Loop: Header=BB2_4607 Depth=3
	s_or_b32 exec_lo, exec_lo, s78
	s_delay_alu instid0(SALU_CYCLE_1) | instskip(NEXT) | instid1(SALU_CYCLE_1)
	s_and_b32 s77, exec_lo, s79
	s_or_b32 s45, s77, s45
	s_and_not1_b32 s74, s74, exec_lo
	s_and_b32 s77, s75, exec_lo
	s_delay_alu instid0(SALU_CYCLE_1)
	s_or_b32 s74, s74, s77
	s_and_not1_b32 exec_lo, exec_lo, s45
	s_cbranch_execz .LBB2_4611
.LBB2_4607:                             ;   Parent Loop BB2_47 Depth=1
                                        ;     Parent Loop BB2_1811 Depth=2
                                        ; =>    This Inner Loop Header: Depth=3
	s_add_co_i32 s76, s76, 1
	s_delay_alu instid0(SALU_CYCLE_1) | instskip(SKIP_1) | instid1(SALU_CYCLE_1)
	s_cmp_lg_u32 s76, 0x2710
	s_cselect_b32 s77, -1, 0
	s_and_b32 vcc_lo, exec_lo, s77
	s_cbranch_vccz .LBB2_4609
; %bb.4608:                             ;   in Loop: Header=BB2_4607 Depth=3
	s_mov_b32 s79, -1
	s_or_b32 s75, s75, exec_lo
	s_and_saveexec_b32 s78, s77
	s_cbranch_execz .LBB2_4606
	s_branch .LBB2_4610
.LBB2_4609:                             ;   in Loop: Header=BB2_4607 Depth=3
	s_trap 2
	ds_load_b64 v[10:11], v0
	s_and_not1_b32 s77, s77, exec_lo
	s_mov_b32 s76, 0
	s_wait_storecnt 0x0
	s_wait_loadcnt_dscnt 0x0
	flat_load_b32 v2, v[10:11] scope:SCOPE_SYS
	s_wait_loadcnt_dscnt 0x0
	global_inv scope:SCOPE_SYS
	v_cmp_eq_u32_e32 vcc_lo, 0, v2
	s_and_b32 s78, vcc_lo, exec_lo
	s_delay_alu instid0(SALU_CYCLE_1)
	s_or_b32 s77, s77, s78
	s_mov_b32 s79, -1
	s_or_b32 s75, s75, exec_lo
	s_and_saveexec_b32 s78, s77
	s_cbranch_execz .LBB2_4606
.LBB2_4610:                             ;   in Loop: Header=BB2_4607 Depth=3
	s_sleep 1
	s_trap 2
	ds_load_b64 v[10:11], v0
	s_wait_dscnt 0x0
	s_and_not1_b32 s75, s75, exec_lo
	v_cmp_ge_u64_e32 vcc_lo, v[10:11], v[32:33]
	s_or_not1_b32 s79, vcc_lo, exec_lo
	s_branch .LBB2_4606
.LBB2_4611:                             ;   in Loop: Header=BB2_1811 Depth=2
	s_or_b32 exec_lo, exec_lo, s45
	s_and_saveexec_b32 s45, s74
	s_delay_alu instid0(SALU_CYCLE_1)
	s_xor_b32 s45, exec_lo, s45
	s_cbranch_execz .LBB2_4613
; %bb.4612:                             ;   in Loop: Header=BB2_1811 Depth=2
	ds_store_b32 v0, v75
	s_trap 2
.LBB2_4613:                             ;   in Loop: Header=BB2_1811 Depth=2
	s_or_b32 exec_lo, exec_lo, s44
	;;#ASMSTART
	s_wakeup
	;;#ASMEND
.LBB2_4614:                             ;   in Loop: Header=BB2_1811 Depth=2
	s_or_b32 exec_lo, exec_lo, s15
.LBB2_4615:                             ;   in Loop: Header=BB2_1811 Depth=2
	s_and_not1_saveexec_b32 s14, s14
	s_cbranch_execz .LBB2_4617
; %bb.4616:                             ;   in Loop: Header=BB2_1811 Depth=2
	;;#ASMSTART
	s_waitcnt lgkmcnt(0) vmcnt(0)
	;;#ASMEND
	s_barrier_signal -1
	s_barrier_wait -1
.LBB2_4617:                             ;   in Loop: Header=BB2_1811 Depth=2
	s_or_b32 exec_lo, exec_lo, s14
.LBB2_4618:                             ;   in Loop: Header=BB2_1811 Depth=2
	s_delay_alu instid0(SALU_CYCLE_1) | instskip(SKIP_2) | instid1(SALU_CYCLE_1)
	s_or_b32 exec_lo, exec_lo, s13
	v_cmp_ne_u32_e32 vcc_lo, 0, v8
	s_xor_b32 s13, s4, -1
	s_and_b32 s14, vcc_lo, s13
	s_delay_alu instid0(SALU_CYCLE_1)
	s_and_saveexec_b32 s13, s14
	s_cbranch_execz .LBB2_4620
; %bb.4619:                             ;   in Loop: Header=BB2_1811 Depth=2
	global_wb scope:SCOPE_SYS
	s_wait_storecnt 0x0
	s_wait_loadcnt_dscnt 0x0
	flat_store_b32 v[28:29], v75 scope:SCOPE_SYS
.LBB2_4620:                             ;   in Loop: Header=BB2_1811 Depth=2
	s_wait_xcnt 0x0
	s_or_b32 exec_lo, exec_lo, s13
	v_and_b32_e32 v2, 48, v30
	s_mov_b32 s13, exec_lo
	s_delay_alu instid0(VALU_DEP_1)
	v_cmpx_ne_u32_e32 0, v2
	s_cbranch_execz .LBB2_1810
; %bb.4621:                             ;   in Loop: Header=BB2_1811 Depth=2
	v_add_nc_u64_e32 v[98:99], 2, v[98:99]
	global_wb scope:SCOPE_SYS
	s_wait_storecnt 0x0
	s_wait_loadcnt_dscnt 0x0
	flat_store_b64 v[22:23], v[98:99] scope:SCOPE_SYS
	s_branch .LBB2_1810
.LBB2_4622:                             ;   in Loop: Header=BB2_47 Depth=1
	s_or_b32 exec_lo, exec_lo, s41
.LBB2_4623:                             ;   in Loop: Header=BB2_47 Depth=1
	s_delay_alu instid0(SALU_CYCLE_1) | instskip(NEXT) | instid1(SALU_CYCLE_1)
	s_or_b32 exec_lo, exec_lo, s18
	s_mov_b32 s14, exec_lo
	v_cmpx_gt_i32_e32 2, v2
	s_cbranch_execz .LBB2_4699
; %bb.4624:                             ;   in Loop: Header=BB2_47 Depth=1
	v_cmp_eq_u32_e64 s18, 0, v2
	s_mov_b32 s15, 0
	s_branch .LBB2_4626
.LBB2_4625:                             ;   in Loop: Header=BB2_4626 Depth=2
	s_wait_xcnt 0x0
	s_or_b32 exec_lo, exec_lo, s13
	v_add_nc_u32_e32 v114, v112, v114
	s_mov_b32 s18, 0
	s_and_not1_b32 exec_lo, exec_lo, s15
	s_cbranch_execz .LBB2_4698
.LBB2_4626:                             ;   Parent Loop BB2_47 Depth=1
                                        ; =>  This Loop Header: Depth=2
                                        ;       Child Loop BB2_4632 Depth 3
                                        ;       Child Loop BB2_4660 Depth 3
	;; [unrolled: 1-line block ×3, first 2 shown]
	s_delay_alu instid0(VALU_DEP_1) | instskip(SKIP_2) | instid1(VALU_DEP_2)
	v_sub_nc_u32_e32 v2, v90, v114
	v_and_b32_e32 v8, 12, v30
	s_mov_b32 s41, exec_lo
	v_min_i32_e32 v112, v112, v2
	s_delay_alu instid0(VALU_DEP_2)
	v_cmpx_ne_u32_e32 0, v8
	s_cbranch_execz .LBB2_4652
; %bb.4627:                             ;   in Loop: Header=BB2_4626 Depth=2
	v_and_b32_e32 v2, 8, v30
	v_add_nc_u64_e32 v[8:9], 2, v[98:99]
	s_mov_b32 s44, exec_lo
	s_wait_loadcnt_dscnt 0x1
	s_delay_alu instid0(VALU_DEP_2) | instskip(NEXT) | instid1(VALU_DEP_1)
	v_add_nc_u64_e32 v[10:11], v[34:35], v[2:3]
	v_cmpx_lt_u64_e64 v[10:11], v[8:9]
	s_cbranch_execz .LBB2_4639
; %bb.4628:                             ;   in Loop: Header=BB2_4626 Depth=2
	v_and_b32_e32 v10, 64, v30
	s_mov_b32 s45, 0
	s_mov_b32 s75, 0
                                        ; implicit-def: $sgpr72
                                        ; implicit-def: $sgpr73
                                        ; implicit-def: $sgpr74
	s_delay_alu instid0(VALU_DEP_1)
	v_cmp_eq_u32_e32 vcc_lo, 0, v10
	s_branch .LBB2_4632
.LBB2_4629:                             ;   in Loop: Header=BB2_4632 Depth=3
	s_wait_loadcnt_dscnt 0x0
	v_add_nc_u64_e32 v[12:13], v[34:35], v[2:3]
	s_or_b32 s78, s78, exec_lo
	s_delay_alu instid0(VALU_DEP_1)
	v_cmp_ge_u64_e64 s13, v[12:13], v[8:9]
	s_or_not1_b32 s77, s13, exec_lo
.LBB2_4630:                             ;   in Loop: Header=BB2_4632 Depth=3
	s_or_b32 exec_lo, exec_lo, s88
	s_delay_alu instid0(SALU_CYCLE_1)
	s_and_not1_b32 s13, s74, exec_lo
	s_and_b32 s74, s78, exec_lo
	s_and_not1_b32 s73, s73, exec_lo
	s_and_b32 s77, s77, exec_lo
	s_or_b32 s74, s13, s74
	s_or_b32 s73, s73, s77
.LBB2_4631:                             ;   in Loop: Header=BB2_4632 Depth=3
	s_or_b32 exec_lo, exec_lo, s76
	s_delay_alu instid0(SALU_CYCLE_1) | instskip(NEXT) | instid1(SALU_CYCLE_1)
	s_and_b32 s13, exec_lo, s73
	s_or_b32 s45, s13, s45
	s_and_not1_b32 s13, s72, exec_lo
	s_and_b32 s72, s74, exec_lo
	s_delay_alu instid0(SALU_CYCLE_1)
	s_or_b32 s72, s13, s72
	s_and_not1_b32 exec_lo, exec_lo, s45
	s_cbranch_execz .LBB2_4636
.LBB2_4632:                             ;   Parent Loop BB2_47 Depth=1
                                        ;     Parent Loop BB2_4626 Depth=2
                                        ; =>    This Inner Loop Header: Depth=3
	s_sleep 1
	s_wait_loadcnt_dscnt 0x0
	flat_load_b64 v[34:35], v[22:23] scope:SCOPE_SYS
	s_or_b32 s74, s74, exec_lo
	s_or_b32 s73, s73, exec_lo
                                        ; implicit-def: $vgpr10
	s_wait_xcnt 0x0
	s_and_saveexec_b32 s76, vcc_lo
	s_cbranch_execz .LBB2_4631
; %bb.4633:                             ;   in Loop: Header=BB2_4632 Depth=3
	s_cmp_lt_i32 s75, 0x270f
	s_mov_b32 s77, -1
	s_cselect_b32 s79, -1, 0
	s_cmp_gt_i32 s75, 0x270e
	s_cbranch_scc0 .LBB2_4635
; %bb.4634:                             ;   in Loop: Header=BB2_4632 Depth=3
	s_trap 2
	ds_load_b64 v[10:11], v0
	s_and_not1_b32 s75, s79, exec_lo
	s_mov_b32 s78, 0
	s_wait_storecnt 0x0
	s_wait_loadcnt_dscnt 0x0
	flat_load_b32 v10, v[10:11] scope:SCOPE_SYS
	s_wait_loadcnt_dscnt 0x0
	global_inv scope:SCOPE_SYS
	v_cmp_eq_u32_e64 s13, 0, v10
	s_and_b32 s13, s13, exec_lo
	s_delay_alu instid0(SALU_CYCLE_1)
	s_or_b32 s79, s75, s13
	s_mov_b32 s75, 0
	s_and_saveexec_b32 s88, s79
	s_cbranch_execz .LBB2_4630
	s_branch .LBB2_4629
.LBB2_4635:                             ;   in Loop: Header=BB2_4632 Depth=3
	s_add_co_i32 s75, s75, 1
	s_mov_b32 s78, -1
                                        ; implicit-def: $vgpr10
	s_and_saveexec_b32 s88, s79
	s_cbranch_execz .LBB2_4630
	s_branch .LBB2_4629
.LBB2_4636:                             ;   in Loop: Header=BB2_4626 Depth=2
	s_or_b32 exec_lo, exec_lo, s45
	s_xor_b32 s13, s72, -1
	s_delay_alu instid0(SALU_CYCLE_1) | instskip(NEXT) | instid1(SALU_CYCLE_1)
	s_and_saveexec_b32 s45, s13
	s_xor_b32 s13, exec_lo, s45
	s_cbranch_execz .LBB2_4638
; %bb.4637:                             ;   in Loop: Header=BB2_4626 Depth=2
	v_or_b32_e32 v30, 64, v30
	s_wait_storecnt 0x0
	s_wait_loadcnt_dscnt 0x0
	ds_store_b32 v0, v10
	s_trap 2
.LBB2_4638:                             ;   in Loop: Header=BB2_4626 Depth=2
	s_or_b32 exec_lo, exec_lo, s13
.LBB2_4639:                             ;   in Loop: Header=BB2_4626 Depth=2
	s_delay_alu instid0(SALU_CYCLE_1) | instskip(SKIP_2) | instid1(VALU_DEP_1)
	s_or_b32 exec_lo, exec_lo, s44
	v_and_b32_e32 v10, 0x108, v30
	;;#ASMSTART
	s_wakeup
	;;#ASMEND
	v_cmp_ne_u32_e32 vcc_lo, 0x108, v10
                                        ; implicit-def: $vgpr10_vgpr11
	s_and_saveexec_b32 s13, vcc_lo
	s_delay_alu instid0(SALU_CYCLE_1)
	s_xor_b32 s13, exec_lo, s13
; %bb.4640:                             ;   in Loop: Header=BB2_4626 Depth=2
	v_dual_mov_b32 v11, v3 :: v_dual_bitop2_b32 v10, 7, v98 bitop3:0x40
                                        ; implicit-def: $vgpr98_vgpr99
; %bb.4641:                             ;   in Loop: Header=BB2_4626 Depth=2
	s_and_not1_saveexec_b32 s13, s13
	s_cbranch_execz .LBB2_4643
; %bb.4642:                             ;   in Loop: Header=BB2_4626 Depth=2
	v_dual_ashrrev_i32 v113, 31, v112 :: v_dual_bitop2_b32 v10, 7, v98 bitop3:0x40
	v_mov_b32_e32 v11, v3
	s_delay_alu instid0(VALU_DEP_2)
	v_mad_nc_u64_u32 v[12:13], v10, 24, v[6:7]
	flat_store_b64 v[12:13], v[112:113] offset:8
.LBB2_4643:                             ;   in Loop: Header=BB2_4626 Depth=2
	s_wait_xcnt 0x0
	s_or_b32 exec_lo, exec_lo, s13
	v_and_b32_e32 v12, 0x100, v30
	s_mov_b32 s13, -1
	s_delay_alu instid0(VALU_DEP_1)
	v_cmp_ne_u32_e32 vcc_lo, 0, v12
                                        ; implicit-def: $vgpr12_vgpr13
	s_and_saveexec_b32 s44, vcc_lo
	s_cbranch_execz .LBB2_4647
; %bb.4644:                             ;   in Loop: Header=BB2_4626 Depth=2
	v_mad_nc_u64_u32 v[14:15], v10, 24, v[6:7]
	s_delay_alu instid0(VALU_DEP_1)
	v_mad_u32 v15, v11, 24, v15
	flat_load_b32 v12, v[14:15]
	s_wait_loadcnt_dscnt 0x0
	v_cmp_eq_u32_e64 s13, 1, v12
	v_cmp_ne_u32_e32 vcc_lo, 1, v12
                                        ; implicit-def: $vgpr12_vgpr13
	s_wait_xcnt 0x0
	s_and_saveexec_b32 s45, s13
	s_cbranch_execz .LBB2_4646
; %bb.4645:                             ;   in Loop: Header=BB2_4626 Depth=2
	flat_load_b32 v12, v[14:15] offset:4 scope:SCOPE_SYS
	s_wait_loadcnt_dscnt 0x0
	v_ashrrev_i32_e32 v13, 31, v12
.LBB2_4646:                             ;   in Loop: Header=BB2_4626 Depth=2
	s_wait_xcnt 0x0
	s_or_b32 exec_lo, exec_lo, s45
	s_delay_alu instid0(SALU_CYCLE_1)
	s_or_not1_b32 s13, vcc_lo, exec_lo
.LBB2_4647:                             ;   in Loop: Header=BB2_4626 Depth=2
	s_or_b32 exec_lo, exec_lo, s44
	s_and_saveexec_b32 s44, s13
; %bb.4648:                             ;   in Loop: Header=BB2_4626 Depth=2
	v_mul_u64_e32 v[12:13], v[10:11], v[24:25]
; %bb.4649:                             ;   in Loop: Header=BB2_4626 Depth=2
	s_or_b32 exec_lo, exec_lo, s44
	v_cmp_eq_u32_e32 vcc_lo, 0, v2
	s_delay_alu instid0(VALU_DEP_2) | instskip(SKIP_3) | instid1(VALU_DEP_1)
	v_add_nc_u64_e32 v[10:11], v[26:27], v[12:13]
	v_and_b32_e32 v14, 0x2000, v30
	s_mov_b32 s13, exec_lo
	v_cndmask_b32_e32 v2, 0xd0, v76, vcc_lo
	v_add_nc_u32_e32 v2, v0, v2
	ds_store_b64 v2, v[10:11] offset:584
	v_cmpx_ne_u32_e32 0, v14
	s_cbranch_execz .LBB2_4651
; %bb.4650:                             ;   in Loop: Header=BB2_4626 Depth=2
	ds_load_b64 v[10:11], v0 offset:872
	s_wait_dscnt 0x0
	v_add_nc_u64_e32 v[10:11], 1, v[10:11]
	ds_store_b64 v0, v[10:11] offset:872
.LBB2_4651:                             ;   in Loop: Header=BB2_4626 Depth=2
	s_or_b32 exec_lo, exec_lo, s13
	v_mov_b64_e32 v[98:99], v[8:9]
.LBB2_4652:                             ;   in Loop: Header=BB2_4626 Depth=2
	s_or_b32 exec_lo, exec_lo, s41
	s_xor_b32 s13, s18, -1
	s_delay_alu instid0(SALU_CYCLE_1) | instskip(NEXT) | instid1(SALU_CYCLE_1)
	s_and_b32 s13, exec_lo, s13
	s_or_b32 s15, s13, s15
	s_and_saveexec_b32 s13, s2
	s_cbranch_execz .LBB2_4671
; %bb.4653:                             ;   in Loop: Header=BB2_4626 Depth=2
	s_and_saveexec_b32 s18, s3
	s_delay_alu instid0(SALU_CYCLE_1)
	s_xor_b32 s18, exec_lo, s18
	s_cbranch_execz .LBB2_4668
; %bb.4654:                             ;   in Loop: Header=BB2_4626 Depth=2
	s_and_saveexec_b32 s41, s6
	s_cbranch_execz .LBB2_4667
; %bb.4655:                             ;   in Loop: Header=BB2_4626 Depth=2
	s_mov_b32 s45, exec_lo
	s_mov_b32 s44, exec_lo
	v_mbcnt_lo_u32_b32 v2, s45, 0
	global_wb scope:SCOPE_DEV
	s_wait_storecnt 0x0
	s_wait_loadcnt_dscnt 0x0
	global_inv scope:SCOPE_DEV
	v_cmpx_eq_u32_e32 0, v2
	s_cbranch_execz .LBB2_4657
; %bb.4656:                             ;   in Loop: Header=BB2_4626 Depth=2
	s_bcnt1_i32_b32 s45, s45
	s_delay_alu instid0(SALU_CYCLE_1)
	v_mov_b32_e32 v2, s45
	s_wait_loadcnt 0x0
	ds_add_u64 v0, v[2:3]
	s_trap 2
.LBB2_4657:                             ;   in Loop: Header=BB2_4626 Depth=2
	s_or_b32 exec_lo, exec_lo, s44
	s_trap 2
	ds_load_b64 v[8:9], v0
	s_wait_dscnt 0x0
	v_add_nc_u64_e32 v[32:33], v[32:33], v[36:37]
	s_mov_b32 s44, exec_lo
	s_delay_alu instid0(VALU_DEP_1)
	v_cmpx_lt_u64_e64 v[8:9], v[32:33]
	s_cbranch_execz .LBB2_4666
; %bb.4658:                             ;   in Loop: Header=BB2_4626 Depth=2
	s_mov_b32 s45, 0
	s_mov_b32 s74, 0
                                        ; implicit-def: $sgpr72
                                        ; implicit-def: $sgpr73
	s_branch .LBB2_4660
.LBB2_4659:                             ;   in Loop: Header=BB2_4660 Depth=3
	s_or_b32 exec_lo, exec_lo, s76
	s_delay_alu instid0(SALU_CYCLE_1) | instskip(NEXT) | instid1(SALU_CYCLE_1)
	s_and_b32 s75, exec_lo, s77
	s_or_b32 s45, s75, s45
	s_and_not1_b32 s72, s72, exec_lo
	s_and_b32 s75, s73, exec_lo
	s_delay_alu instid0(SALU_CYCLE_1)
	s_or_b32 s72, s72, s75
	s_and_not1_b32 exec_lo, exec_lo, s45
	s_cbranch_execz .LBB2_4664
.LBB2_4660:                             ;   Parent Loop BB2_47 Depth=1
                                        ;     Parent Loop BB2_4626 Depth=2
                                        ; =>    This Inner Loop Header: Depth=3
	s_add_co_i32 s74, s74, 1
	s_delay_alu instid0(SALU_CYCLE_1) | instskip(SKIP_1) | instid1(SALU_CYCLE_1)
	s_cmp_lg_u32 s74, 0x2710
	s_cselect_b32 s75, -1, 0
	s_and_b32 vcc_lo, exec_lo, s75
	s_cbranch_vccz .LBB2_4662
; %bb.4661:                             ;   in Loop: Header=BB2_4660 Depth=3
	s_mov_b32 s77, -1
	s_or_b32 s73, s73, exec_lo
	s_and_saveexec_b32 s76, s75
	s_cbranch_execz .LBB2_4659
	s_branch .LBB2_4663
.LBB2_4662:                             ;   in Loop: Header=BB2_4660 Depth=3
	s_trap 2
	ds_load_b64 v[8:9], v0
	s_and_not1_b32 s75, s75, exec_lo
	s_mov_b32 s74, 0
	s_wait_loadcnt_dscnt 0x0
	flat_load_b32 v2, v[8:9] scope:SCOPE_SYS
	s_wait_loadcnt_dscnt 0x0
	global_inv scope:SCOPE_SYS
	v_cmp_eq_u32_e32 vcc_lo, 0, v2
	s_and_b32 s76, vcc_lo, exec_lo
	s_delay_alu instid0(SALU_CYCLE_1)
	s_or_b32 s75, s75, s76
	s_mov_b32 s77, -1
	s_or_b32 s73, s73, exec_lo
	s_and_saveexec_b32 s76, s75
	s_cbranch_execz .LBB2_4659
.LBB2_4663:                             ;   in Loop: Header=BB2_4660 Depth=3
	s_sleep 1
	s_trap 2
	ds_load_b64 v[8:9], v0
	s_wait_dscnt 0x0
	s_and_not1_b32 s73, s73, exec_lo
	v_cmp_ge_u64_e32 vcc_lo, v[8:9], v[32:33]
	s_or_not1_b32 s77, vcc_lo, exec_lo
	s_branch .LBB2_4659
.LBB2_4664:                             ;   in Loop: Header=BB2_4626 Depth=2
	s_or_b32 exec_lo, exec_lo, s45
	s_and_saveexec_b32 s45, s72
	s_delay_alu instid0(SALU_CYCLE_1)
	s_xor_b32 s45, exec_lo, s45
	s_cbranch_execz .LBB2_4666
; %bb.4665:                             ;   in Loop: Header=BB2_4626 Depth=2
	ds_store_b32 v0, v75
	s_trap 2
.LBB2_4666:                             ;   in Loop: Header=BB2_4626 Depth=2
	s_or_b32 exec_lo, exec_lo, s44
	;;#ASMSTART
	s_wakeup
	;;#ASMEND
.LBB2_4667:                             ;   in Loop: Header=BB2_4626 Depth=2
	s_or_b32 exec_lo, exec_lo, s41
.LBB2_4668:                             ;   in Loop: Header=BB2_4626 Depth=2
	s_and_not1_saveexec_b32 s18, s18
	s_cbranch_execz .LBB2_4670
; %bb.4669:                             ;   in Loop: Header=BB2_4626 Depth=2
	global_wb scope:SCOPE_DEV
	s_wait_storecnt 0x0
	s_wait_loadcnt_dscnt 0x0
	global_inv scope:SCOPE_DEV
	s_barrier_signal -1
	s_barrier_wait -1
.LBB2_4670:                             ;   in Loop: Header=BB2_4626 Depth=2
	s_or_b32 exec_lo, exec_lo, s18
.LBB2_4671:                             ;   in Loop: Header=BB2_4626 Depth=2
	s_delay_alu instid0(SALU_CYCLE_1) | instskip(SKIP_2) | instid1(SALU_CYCLE_1)
	s_or_b32 exec_lo, exec_lo, s13
	v_and_b32_e32 v8, 16, v30
	s_and_saveexec_b32 s13, s7
	s_xor_b32 s18, exec_lo, s13
	s_cbranch_execz .LBB2_4675
; %bb.4672:                             ;   in Loop: Header=BB2_4626 Depth=2
	s_trap 2
	ds_load_b32 v2, v0
	v_cmp_lt_i32_e32 vcc_lo, 0, v112
	v_and_b32_e32 v8, 16, v30
	s_wait_dscnt 0x0
	v_readfirstlane_b32 s13, v2
	v_and_b32_e32 v2, 16, v30
	s_cmp_eq_u32 s13, 0
	s_delay_alu instid0(VALU_DEP_1) | instskip(SKIP_1) | instid1(SALU_CYCLE_1)
	v_cmp_ne_u32_e64 s13, 0, v2
	s_cselect_b32 s41, -1, 0
	s_and_b32 s41, vcc_lo, s41
	s_delay_alu instid0(SALU_CYCLE_1) | instskip(NEXT) | instid1(SALU_CYCLE_1)
	s_and_b32 s41, s13, s41
	s_and_saveexec_b32 s13, s41
	s_cbranch_execz .LBB2_4674
; %bb.4673:                             ;   in Loop: Header=BB2_4626 Depth=2
	v_mov_b32_e32 v8, 1
	global_wb scope:SCOPE_SYS
	s_wait_loadcnt 0x0
	s_wait_storecnt 0x0
	global_inv scope:SCOPE_SYS
.LBB2_4674:                             ;   in Loop: Header=BB2_4626 Depth=2
	s_or_b32 exec_lo, exec_lo, s13
.LBB2_4675:                             ;   in Loop: Header=BB2_4626 Depth=2
	s_and_not1_saveexec_b32 s13, s18
	s_cbranch_execz .LBB2_4694
; %bb.4676:                             ;   in Loop: Header=BB2_4626 Depth=2
	s_and_saveexec_b32 s18, s3
	s_delay_alu instid0(SALU_CYCLE_1)
	s_xor_b32 s18, exec_lo, s18
	s_cbranch_execz .LBB2_4691
; %bb.4677:                             ;   in Loop: Header=BB2_4626 Depth=2
	s_and_saveexec_b32 s41, s6
	s_cbranch_execz .LBB2_4690
; %bb.4678:                             ;   in Loop: Header=BB2_4626 Depth=2
	s_mov_b32 s45, exec_lo
	s_mov_b32 s44, exec_lo
	v_mbcnt_lo_u32_b32 v2, s45, 0
	;;#ASMSTART
	s_waitcnt lgkmcnt(0) vmcnt(0)
	;;#ASMEND
	s_delay_alu instid0(VALU_DEP_1)
	v_cmpx_eq_u32_e32 0, v2
	s_cbranch_execz .LBB2_4680
; %bb.4679:                             ;   in Loop: Header=BB2_4626 Depth=2
	s_bcnt1_i32_b32 s45, s45
	s_delay_alu instid0(SALU_CYCLE_1)
	v_mov_b32_e32 v2, s45
	s_wait_storecnt 0x0
	s_wait_loadcnt_dscnt 0x0
	ds_add_u64 v0, v[2:3]
	s_trap 2
.LBB2_4680:                             ;   in Loop: Header=BB2_4626 Depth=2
	s_or_b32 exec_lo, exec_lo, s44
	s_trap 2
	ds_load_b64 v[10:11], v0
	s_wait_dscnt 0x0
	v_add_nc_u64_e32 v[32:33], v[32:33], v[36:37]
	s_mov_b32 s44, exec_lo
	s_delay_alu instid0(VALU_DEP_1)
	v_cmpx_lt_u64_e64 v[10:11], v[32:33]
	s_cbranch_execz .LBB2_4689
; %bb.4681:                             ;   in Loop: Header=BB2_4626 Depth=2
	s_mov_b32 s45, 0
	s_mov_b32 s74, 0
                                        ; implicit-def: $sgpr72
                                        ; implicit-def: $sgpr73
	s_branch .LBB2_4683
.LBB2_4682:                             ;   in Loop: Header=BB2_4683 Depth=3
	s_or_b32 exec_lo, exec_lo, s76
	s_delay_alu instid0(SALU_CYCLE_1) | instskip(NEXT) | instid1(SALU_CYCLE_1)
	s_and_b32 s75, exec_lo, s77
	s_or_b32 s45, s75, s45
	s_and_not1_b32 s72, s72, exec_lo
	s_and_b32 s75, s73, exec_lo
	s_delay_alu instid0(SALU_CYCLE_1)
	s_or_b32 s72, s72, s75
	s_and_not1_b32 exec_lo, exec_lo, s45
	s_cbranch_execz .LBB2_4687
.LBB2_4683:                             ;   Parent Loop BB2_47 Depth=1
                                        ;     Parent Loop BB2_4626 Depth=2
                                        ; =>    This Inner Loop Header: Depth=3
	s_add_co_i32 s74, s74, 1
	s_delay_alu instid0(SALU_CYCLE_1) | instskip(SKIP_1) | instid1(SALU_CYCLE_1)
	s_cmp_lg_u32 s74, 0x2710
	s_cselect_b32 s75, -1, 0
	s_and_b32 vcc_lo, exec_lo, s75
	s_cbranch_vccz .LBB2_4685
; %bb.4684:                             ;   in Loop: Header=BB2_4683 Depth=3
	s_mov_b32 s77, -1
	s_or_b32 s73, s73, exec_lo
	s_and_saveexec_b32 s76, s75
	s_cbranch_execz .LBB2_4682
	s_branch .LBB2_4686
.LBB2_4685:                             ;   in Loop: Header=BB2_4683 Depth=3
	s_trap 2
	ds_load_b64 v[10:11], v0
	s_and_not1_b32 s75, s75, exec_lo
	s_mov_b32 s74, 0
	s_wait_storecnt 0x0
	s_wait_loadcnt_dscnt 0x0
	flat_load_b32 v2, v[10:11] scope:SCOPE_SYS
	s_wait_loadcnt_dscnt 0x0
	global_inv scope:SCOPE_SYS
	v_cmp_eq_u32_e32 vcc_lo, 0, v2
	s_and_b32 s76, vcc_lo, exec_lo
	s_delay_alu instid0(SALU_CYCLE_1)
	s_or_b32 s75, s75, s76
	s_mov_b32 s77, -1
	s_or_b32 s73, s73, exec_lo
	s_and_saveexec_b32 s76, s75
	s_cbranch_execz .LBB2_4682
.LBB2_4686:                             ;   in Loop: Header=BB2_4683 Depth=3
	s_sleep 1
	s_trap 2
	ds_load_b64 v[10:11], v0
	s_wait_dscnt 0x0
	s_and_not1_b32 s73, s73, exec_lo
	v_cmp_ge_u64_e32 vcc_lo, v[10:11], v[32:33]
	s_or_not1_b32 s77, vcc_lo, exec_lo
	s_branch .LBB2_4682
.LBB2_4687:                             ;   in Loop: Header=BB2_4626 Depth=2
	s_or_b32 exec_lo, exec_lo, s45
	s_and_saveexec_b32 s45, s72
	s_delay_alu instid0(SALU_CYCLE_1)
	s_xor_b32 s45, exec_lo, s45
	s_cbranch_execz .LBB2_4689
; %bb.4688:                             ;   in Loop: Header=BB2_4626 Depth=2
	ds_store_b32 v0, v75
	s_trap 2
.LBB2_4689:                             ;   in Loop: Header=BB2_4626 Depth=2
	s_or_b32 exec_lo, exec_lo, s44
	;;#ASMSTART
	s_wakeup
	;;#ASMEND
.LBB2_4690:                             ;   in Loop: Header=BB2_4626 Depth=2
	s_or_b32 exec_lo, exec_lo, s41
.LBB2_4691:                             ;   in Loop: Header=BB2_4626 Depth=2
	s_and_not1_saveexec_b32 s18, s18
	s_cbranch_execz .LBB2_4693
; %bb.4692:                             ;   in Loop: Header=BB2_4626 Depth=2
	;;#ASMSTART
	s_waitcnt lgkmcnt(0) vmcnt(0)
	;;#ASMEND
	s_barrier_signal -1
	s_barrier_wait -1
.LBB2_4693:                             ;   in Loop: Header=BB2_4626 Depth=2
	s_or_b32 exec_lo, exec_lo, s18
.LBB2_4694:                             ;   in Loop: Header=BB2_4626 Depth=2
	s_delay_alu instid0(SALU_CYCLE_1) | instskip(SKIP_2) | instid1(SALU_CYCLE_1)
	s_or_b32 exec_lo, exec_lo, s13
	v_cmp_ne_u32_e32 vcc_lo, 0, v8
	s_xor_b32 s13, s4, -1
	s_and_b32 s18, vcc_lo, s13
	s_delay_alu instid0(SALU_CYCLE_1)
	s_and_saveexec_b32 s13, s18
	s_cbranch_execz .LBB2_4696
; %bb.4695:                             ;   in Loop: Header=BB2_4626 Depth=2
	global_wb scope:SCOPE_SYS
	s_wait_storecnt 0x0
	s_wait_loadcnt_dscnt 0x0
	flat_store_b32 v[28:29], v75 scope:SCOPE_SYS
.LBB2_4696:                             ;   in Loop: Header=BB2_4626 Depth=2
	s_wait_xcnt 0x0
	s_or_b32 exec_lo, exec_lo, s13
	v_and_b32_e32 v2, 48, v30
	s_mov_b32 s13, exec_lo
	s_delay_alu instid0(VALU_DEP_1)
	v_cmpx_ne_u32_e32 0, v2
	s_cbranch_execz .LBB2_4625
; %bb.4697:                             ;   in Loop: Header=BB2_4626 Depth=2
	v_add_nc_u64_e32 v[98:99], 2, v[98:99]
	global_wb scope:SCOPE_SYS
	s_wait_storecnt 0x0
	s_wait_loadcnt_dscnt 0x0
	flat_store_b64 v[22:23], v[98:99] scope:SCOPE_SYS
	s_branch .LBB2_4625
.LBB2_4698:                             ;   in Loop: Header=BB2_47 Depth=1
	s_or_b32 exec_lo, exec_lo, s15
.LBB2_4699:                             ;   in Loop: Header=BB2_47 Depth=1
	s_delay_alu instid0(SALU_CYCLE_1) | instskip(NEXT) | instid1(SALU_CYCLE_1)
	s_or_b32 exec_lo, exec_lo, s14
	s_and_not1_b32 vcc_lo, exec_lo, s58
	s_cbranch_vccnz .LBB2_4962
; %bb.4700:                             ;   in Loop: Header=BB2_47 Depth=1
	s_mov_b32 s18, 1
.LBB2_4701:                             ;   Parent Loop BB2_47 Depth=1
                                        ; =>  This Loop Header: Depth=2
                                        ;       Child Loop BB2_4704 Depth 3
                                        ;         Child Loop BB2_4712 Depth 4
                                        ;         Child Loop BB2_4740 Depth 4
	;; [unrolled: 1-line block ×4, first 2 shown]
                                        ;           Child Loop BB2_4783 Depth 5
                                        ;         Child Loop BB2_4789 Depth 4
                                        ;           Child Loop BB2_4790 Depth 5
                                        ;         Child Loop BB2_4799 Depth 4
                                        ;         Child Loop BB2_4804 Depth 4
                                        ;           Child Loop BB2_4805 Depth 5
                                        ;         Child Loop BB2_4817 Depth 4
                                        ;         Child Loop BB2_4822 Depth 4
	;; [unrolled: 1-line block ×6, first 2 shown]
                                        ;       Child Loop BB2_4887 Depth 3
                                        ;         Child Loop BB2_4893 Depth 4
                                        ;         Child Loop BB2_4921 Depth 4
	;; [unrolled: 1-line block ×3, first 2 shown]
	s_delay_alu instid0(SALU_CYCLE_1) | instskip(SKIP_4) | instid1(SALU_CYCLE_1)
	s_sub_co_i32 s13, s56, s18
	s_mov_b32 s72, 0
	s_cmp_ge_i32 s13, s16
	v_mov_b32_e32 v14, 0
	s_cselect_b32 s14, s16, 0
	s_sub_co_i32 s14, s13, s14
	s_delay_alu instid0(SALU_CYCLE_1) | instskip(NEXT) | instid1(SALU_CYCLE_1)
	s_ashr_i32 s15, s14, 31
	v_mul_u64_e32 v[8:9], s[14:15], v[96:97]
	s_delay_alu instid0(VALU_DEP_1) | instskip(NEXT) | instid1(VALU_DEP_1)
	v_sub_nc_u64_e32 v[10:11], v[100:101], v[8:9]
	v_min_i64 v[10:11], v[96:97], v[10:11]
	s_delay_alu instid0(VALU_DEP_1) | instskip(SKIP_1) | instid1(VALU_DEP_2)
	v_max_i32_e32 v46, 0, v10
	v_cmp_lt_i32_e32 vcc_lo, 0, v10
	v_add_nc_u32_e32 v2, 31, v46
	s_and_b32 s13, s61, vcc_lo
	s_delay_alu instid0(VALU_DEP_1) | instskip(NEXT) | instid1(VALU_DEP_1)
	v_lshrrev_b32_e32 v2, 1, v2
	v_and_b32_e32 v11, 0x3ffffff0, v2
	s_delay_alu instid0(VALU_DEP_1)
	v_dual_mov_b32 v2, 0 :: v_dual_max_i32 v12, s57, v11
	s_and_saveexec_b32 s41, s13
	s_cbranch_execz .LBB2_4884
; %bb.4702:                             ;   in Loop: Header=BB2_4701 Depth=2
	v_add_nc_u64_e32 v[112:113], v[8:9], v[102:103]
	v_mov_b32_e32 v14, 0
	s_mov_b32 s74, 1
	s_mov_b32 s73, -1
	s_branch .LBB2_4704
.LBB2_4703:                             ;   in Loop: Header=BB2_4704 Depth=3
	s_wait_xcnt 0x0
	s_or_b32 exec_lo, exec_lo, s13
	v_dual_add_nc_u32 v14, v12, v14 :: v_dual_mov_b32 v2, s74
	s_xor_b32 s13, s73, -1
	s_mov_b32 s73, 0
	s_mov_b32 s74, 2
	s_delay_alu instid0(VALU_DEP_1) | instskip(SKIP_1) | instid1(SALU_CYCLE_1)
	v_cmp_ge_i32_e32 vcc_lo, v14, v46
	s_or_b32 s13, s13, vcc_lo
	s_and_b32 s13, exec_lo, s13
	s_delay_alu instid0(SALU_CYCLE_1) | instskip(NEXT) | instid1(SALU_CYCLE_1)
	s_or_b32 s72, s13, s72
	s_and_not1_b32 exec_lo, exec_lo, s72
	s_cbranch_execz .LBB2_4883
.LBB2_4704:                             ;   Parent Loop BB2_47 Depth=1
                                        ;     Parent Loop BB2_4701 Depth=2
                                        ; =>    This Loop Header: Depth=3
                                        ;         Child Loop BB2_4712 Depth 4
                                        ;         Child Loop BB2_4740 Depth 4
	;; [unrolled: 1-line block ×4, first 2 shown]
                                        ;           Child Loop BB2_4783 Depth 5
                                        ;         Child Loop BB2_4789 Depth 4
                                        ;           Child Loop BB2_4790 Depth 5
                                        ;         Child Loop BB2_4799 Depth 4
                                        ;         Child Loop BB2_4804 Depth 4
                                        ;           Child Loop BB2_4805 Depth 5
                                        ;         Child Loop BB2_4817 Depth 4
                                        ;         Child Loop BB2_4822 Depth 4
	;; [unrolled: 1-line block ×6, first 2 shown]
	s_and_saveexec_b32 s13, s0
	s_cbranch_execz .LBB2_4706
; %bb.4705:                             ;   in Loop: Header=BB2_4704 Depth=3
	s_trap 2
	ds_load_b128 v[8:11], v0
	s_wait_dscnt 0x0
	v_add_nc_u64_e32 v[18:19], v[10:11], v[112:113]
	v_cmp_ne_u64_e32 vcc_lo, 0, v[10:11]
	v_ashrrev_i32_e32 v15, 31, v14
	v_add_nc_u64_e32 v[8:9], v[8:9], v[112:113]
	s_delay_alu instid0(VALU_DEP_2) | instskip(NEXT) | instid1(VALU_DEP_1)
	v_add_nc_u64_e32 v[18:19], v[18:19], v[14:15]
	v_cndmask_b32_e32 v11, 0, v19, vcc_lo
	s_delay_alu instid0(VALU_DEP_3) | instskip(NEXT) | instid1(VALU_DEP_3)
	v_add_nc_u64_e32 v[8:9], v[8:9], v[14:15]
	v_cndmask_b32_e32 v10, 0, v18, vcc_lo
	ds_store_b64 v0, v[8:9]
	ds_store_b64 v0, v[10:11]
.LBB2_4706:                             ;   in Loop: Header=BB2_4704 Depth=3
	s_or_b32 exec_lo, exec_lo, s13
	v_sub_nc_u32_e32 v2, v46, v14
	v_and_b32_e32 v8, 12, v30
	s_mov_b32 s14, exec_lo
	s_delay_alu instid0(VALU_DEP_2) | instskip(NEXT) | instid1(VALU_DEP_2)
	v_min_i32_e32 v12, v12, v2
	v_cmpx_ne_u32_e32 0, v8
	s_cbranch_execz .LBB2_4732
; %bb.4707:                             ;   in Loop: Header=BB2_4704 Depth=3
	v_and_b32_e32 v2, 8, v30
	v_add_nc_u64_e32 v[8:9], 2, v[98:99]
	s_mov_b32 s15, exec_lo
	s_wait_loadcnt_dscnt 0x1
	s_delay_alu instid0(VALU_DEP_2) | instskip(NEXT) | instid1(VALU_DEP_1)
	v_add_nc_u64_e32 v[10:11], v[34:35], v[2:3]
	v_cmpx_lt_u64_e64 v[10:11], v[8:9]
	s_cbranch_execz .LBB2_4719
; %bb.4708:                             ;   in Loop: Header=BB2_4704 Depth=3
	v_and_b32_e32 v10, 64, v30
	s_mov_b32 s44, 0
	s_mov_b32 s77, 0
                                        ; implicit-def: $sgpr45
                                        ; implicit-def: $sgpr75
                                        ; implicit-def: $sgpr76
	s_delay_alu instid0(VALU_DEP_1)
	v_cmp_eq_u32_e32 vcc_lo, 0, v10
	s_branch .LBB2_4712
.LBB2_4709:                             ;   in Loop: Header=BB2_4712 Depth=4
	s_wait_loadcnt_dscnt 0x0
	v_add_nc_u64_e32 v[18:19], v[34:35], v[2:3]
	s_or_b32 s88, s88, exec_lo
	s_delay_alu instid0(VALU_DEP_1)
	v_cmp_ge_u64_e64 s13, v[18:19], v[8:9]
	s_or_not1_b32 s79, s13, exec_lo
.LBB2_4710:                             ;   in Loop: Header=BB2_4712 Depth=4
	s_or_b32 exec_lo, exec_lo, s90
	s_delay_alu instid0(SALU_CYCLE_1)
	s_and_not1_b32 s13, s76, exec_lo
	s_and_b32 s76, s88, exec_lo
	s_and_not1_b32 s75, s75, exec_lo
	s_and_b32 s79, s79, exec_lo
	s_or_b32 s76, s13, s76
	s_or_b32 s75, s75, s79
.LBB2_4711:                             ;   in Loop: Header=BB2_4712 Depth=4
	s_or_b32 exec_lo, exec_lo, s78
	s_delay_alu instid0(SALU_CYCLE_1) | instskip(NEXT) | instid1(SALU_CYCLE_1)
	s_and_b32 s13, exec_lo, s75
	s_or_b32 s44, s13, s44
	s_and_not1_b32 s13, s45, exec_lo
	s_and_b32 s45, s76, exec_lo
	s_delay_alu instid0(SALU_CYCLE_1)
	s_or_b32 s45, s13, s45
	s_and_not1_b32 exec_lo, exec_lo, s44
	s_cbranch_execz .LBB2_4716
.LBB2_4712:                             ;   Parent Loop BB2_47 Depth=1
                                        ;     Parent Loop BB2_4701 Depth=2
                                        ;       Parent Loop BB2_4704 Depth=3
                                        ; =>      This Inner Loop Header: Depth=4
	s_sleep 1
	s_wait_loadcnt_dscnt 0x0
	flat_load_b64 v[34:35], v[22:23] scope:SCOPE_SYS
	s_or_b32 s76, s76, exec_lo
	s_or_b32 s75, s75, exec_lo
                                        ; implicit-def: $vgpr10
	s_wait_xcnt 0x0
	s_and_saveexec_b32 s78, vcc_lo
	s_cbranch_execz .LBB2_4711
; %bb.4713:                             ;   in Loop: Header=BB2_4712 Depth=4
	s_cmp_lt_i32 s77, 0x270f
	s_mov_b32 s79, -1
	s_cselect_b32 s89, -1, 0
	s_cmp_gt_i32 s77, 0x270e
	s_cbranch_scc0 .LBB2_4715
; %bb.4714:                             ;   in Loop: Header=BB2_4712 Depth=4
	s_trap 2
	ds_load_b64 v[10:11], v0
	s_and_not1_b32 s77, s89, exec_lo
	s_mov_b32 s88, 0
	s_wait_storecnt 0x0
	s_wait_loadcnt_dscnt 0x0
	flat_load_b32 v10, v[10:11] scope:SCOPE_SYS
	s_wait_loadcnt_dscnt 0x0
	global_inv scope:SCOPE_SYS
	v_cmp_eq_u32_e64 s13, 0, v10
	s_and_b32 s13, s13, exec_lo
	s_delay_alu instid0(SALU_CYCLE_1)
	s_or_b32 s89, s77, s13
	s_mov_b32 s77, 0
	s_and_saveexec_b32 s90, s89
	s_cbranch_execz .LBB2_4710
	s_branch .LBB2_4709
.LBB2_4715:                             ;   in Loop: Header=BB2_4712 Depth=4
	s_add_co_i32 s77, s77, 1
	s_mov_b32 s88, -1
                                        ; implicit-def: $vgpr10
	s_and_saveexec_b32 s90, s89
	s_cbranch_execz .LBB2_4710
	s_branch .LBB2_4709
.LBB2_4716:                             ;   in Loop: Header=BB2_4704 Depth=3
	s_or_b32 exec_lo, exec_lo, s44
	s_xor_b32 s13, s45, -1
	s_delay_alu instid0(SALU_CYCLE_1) | instskip(NEXT) | instid1(SALU_CYCLE_1)
	s_and_saveexec_b32 s44, s13
	s_xor_b32 s13, exec_lo, s44
	s_cbranch_execz .LBB2_4718
; %bb.4717:                             ;   in Loop: Header=BB2_4704 Depth=3
	v_or_b32_e32 v30, 64, v30
	s_wait_storecnt 0x0
	s_wait_loadcnt_dscnt 0x0
	ds_store_b32 v0, v10
	s_trap 2
.LBB2_4718:                             ;   in Loop: Header=BB2_4704 Depth=3
	s_or_b32 exec_lo, exec_lo, s13
.LBB2_4719:                             ;   in Loop: Header=BB2_4704 Depth=3
	s_delay_alu instid0(SALU_CYCLE_1) | instskip(SKIP_2) | instid1(VALU_DEP_1)
	s_or_b32 exec_lo, exec_lo, s15
	v_and_b32_e32 v10, 0x108, v30
	;;#ASMSTART
	s_wakeup
	;;#ASMEND
	v_cmp_ne_u32_e32 vcc_lo, 0x108, v10
                                        ; implicit-def: $vgpr10_vgpr11
	s_and_saveexec_b32 s13, vcc_lo
	s_delay_alu instid0(SALU_CYCLE_1)
	s_xor_b32 s13, exec_lo, s13
; %bb.4720:                             ;   in Loop: Header=BB2_4704 Depth=3
	v_dual_mov_b32 v11, v3 :: v_dual_bitop2_b32 v10, 7, v98 bitop3:0x40
                                        ; implicit-def: $vgpr98_vgpr99
; %bb.4721:                             ;   in Loop: Header=BB2_4704 Depth=3
	s_and_not1_saveexec_b32 s13, s13
	s_cbranch_execz .LBB2_4723
; %bb.4722:                             ;   in Loop: Header=BB2_4704 Depth=3
	v_dual_ashrrev_i32 v13, 31, v12 :: v_dual_bitop2_b32 v10, 7, v98 bitop3:0x40
	v_mov_b32_e32 v11, v3
	s_delay_alu instid0(VALU_DEP_2)
	v_mad_nc_u64_u32 v[18:19], v10, 24, v[6:7]
	flat_store_b64 v[18:19], v[12:13] offset:8
.LBB2_4723:                             ;   in Loop: Header=BB2_4704 Depth=3
	s_wait_xcnt 0x0
	s_or_b32 exec_lo, exec_lo, s13
	v_and_b32_e32 v13, 0x100, v30
	s_mov_b32 s13, -1
	s_mov_b32 s15, exec_lo
                                        ; implicit-def: $vgpr98_vgpr99
	s_delay_alu instid0(VALU_DEP_1)
	v_cmpx_ne_u32_e32 0, v13
	s_cbranch_execz .LBB2_4727
; %bb.4724:                             ;   in Loop: Header=BB2_4704 Depth=3
	v_mad_nc_u64_u32 v[114:115], v10, 24, v[6:7]
	s_mov_b32 s44, exec_lo
                                        ; implicit-def: $vgpr98_vgpr99
	s_delay_alu instid0(VALU_DEP_1)
	v_mad_u32 v115, v11, 24, v115
	flat_load_b32 v13, v[114:115]
	s_wait_loadcnt_dscnt 0x0
	v_cmp_ne_u32_e32 vcc_lo, 1, v13
	s_wait_xcnt 0x0
	v_cmpx_eq_u32_e32 1, v13
	s_cbranch_execz .LBB2_4726
; %bb.4725:                             ;   in Loop: Header=BB2_4704 Depth=3
	flat_load_b32 v98, v[114:115] offset:4 scope:SCOPE_SYS
	s_wait_loadcnt_dscnt 0x0
	v_ashrrev_i32_e32 v99, 31, v98
.LBB2_4726:                             ;   in Loop: Header=BB2_4704 Depth=3
	s_wait_xcnt 0x0
	s_or_b32 exec_lo, exec_lo, s44
	s_delay_alu instid0(SALU_CYCLE_1)
	s_or_not1_b32 s13, vcc_lo, exec_lo
.LBB2_4727:                             ;   in Loop: Header=BB2_4704 Depth=3
	s_or_b32 exec_lo, exec_lo, s15
	s_and_saveexec_b32 s15, s13
; %bb.4728:                             ;   in Loop: Header=BB2_4704 Depth=3
	v_mul_u64_e32 v[98:99], v[10:11], v[24:25]
; %bb.4729:                             ;   in Loop: Header=BB2_4704 Depth=3
	s_or_b32 exec_lo, exec_lo, s15
	v_cmp_eq_u32_e32 vcc_lo, 0, v2
	s_delay_alu instid0(VALU_DEP_2) | instskip(SKIP_3) | instid1(VALU_DEP_1)
	v_add_nc_u64_e32 v[10:11], v[26:27], v[98:99]
	v_and_b32_e32 v13, 0x2000, v30
	s_mov_b32 s13, exec_lo
	v_cndmask_b32_e32 v2, 0xd0, v78, vcc_lo
	v_add_nc_u32_e32 v2, v0, v2
	ds_store_b64 v2, v[10:11] offset:584
	v_cmpx_ne_u32_e32 0, v13
	s_cbranch_execz .LBB2_4731
; %bb.4730:                             ;   in Loop: Header=BB2_4704 Depth=3
	ds_load_b64 v[10:11], v0 offset:872
	s_wait_dscnt 0x0
	v_add_nc_u64_e32 v[10:11], 1, v[10:11]
	ds_store_b64 v0, v[10:11] offset:872
.LBB2_4731:                             ;   in Loop: Header=BB2_4704 Depth=3
	s_or_b32 exec_lo, exec_lo, s13
	v_mov_b64_e32 v[98:99], v[8:9]
.LBB2_4732:                             ;   in Loop: Header=BB2_4704 Depth=3
	s_or_b32 exec_lo, exec_lo, s14
	s_and_saveexec_b32 s13, s2
	s_cbranch_execz .LBB2_4751
; %bb.4733:                             ;   in Loop: Header=BB2_4704 Depth=3
	s_and_saveexec_b32 s14, s3
	s_delay_alu instid0(SALU_CYCLE_1)
	s_xor_b32 s14, exec_lo, s14
	s_cbranch_execz .LBB2_4748
; %bb.4734:                             ;   in Loop: Header=BB2_4704 Depth=3
	s_and_saveexec_b32 s15, s6
	s_cbranch_execz .LBB2_4747
; %bb.4735:                             ;   in Loop: Header=BB2_4704 Depth=3
	s_mov_b32 s45, exec_lo
	s_mov_b32 s44, exec_lo
	v_mbcnt_lo_u32_b32 v2, s45, 0
	global_wb scope:SCOPE_DEV
	s_wait_storecnt 0x0
	s_wait_loadcnt_dscnt 0x0
	global_inv scope:SCOPE_DEV
	v_cmpx_eq_u32_e32 0, v2
	s_cbranch_execz .LBB2_4737
; %bb.4736:                             ;   in Loop: Header=BB2_4704 Depth=3
	s_bcnt1_i32_b32 s45, s45
	s_delay_alu instid0(SALU_CYCLE_1)
	v_mov_b32_e32 v2, s45
	s_wait_loadcnt 0x0
	ds_add_u64 v0, v[2:3]
	s_trap 2
.LBB2_4737:                             ;   in Loop: Header=BB2_4704 Depth=3
	s_or_b32 exec_lo, exec_lo, s44
	s_trap 2
	ds_load_b64 v[8:9], v0
	s_wait_dscnt 0x0
	v_add_nc_u64_e32 v[32:33], v[32:33], v[36:37]
	s_mov_b32 s44, exec_lo
	s_delay_alu instid0(VALU_DEP_1)
	v_cmpx_lt_u64_e64 v[8:9], v[32:33]
	s_cbranch_execz .LBB2_4746
; %bb.4738:                             ;   in Loop: Header=BB2_4704 Depth=3
	s_mov_b32 s45, 0
	s_mov_b32 s77, 0
                                        ; implicit-def: $sgpr75
                                        ; implicit-def: $sgpr76
	s_branch .LBB2_4740
.LBB2_4739:                             ;   in Loop: Header=BB2_4740 Depth=4
	s_or_b32 exec_lo, exec_lo, s79
	s_delay_alu instid0(SALU_CYCLE_1) | instskip(NEXT) | instid1(SALU_CYCLE_1)
	s_and_b32 s78, exec_lo, s88
	s_or_b32 s45, s78, s45
	s_and_not1_b32 s75, s75, exec_lo
	s_and_b32 s78, s76, exec_lo
	s_delay_alu instid0(SALU_CYCLE_1)
	s_or_b32 s75, s75, s78
	s_and_not1_b32 exec_lo, exec_lo, s45
	s_cbranch_execz .LBB2_4744
.LBB2_4740:                             ;   Parent Loop BB2_47 Depth=1
                                        ;     Parent Loop BB2_4701 Depth=2
                                        ;       Parent Loop BB2_4704 Depth=3
                                        ; =>      This Inner Loop Header: Depth=4
	s_add_co_i32 s77, s77, 1
	s_delay_alu instid0(SALU_CYCLE_1) | instskip(SKIP_1) | instid1(SALU_CYCLE_1)
	s_cmp_lg_u32 s77, 0x2710
	s_cselect_b32 s78, -1, 0
	s_and_b32 vcc_lo, exec_lo, s78
	s_cbranch_vccz .LBB2_4742
; %bb.4741:                             ;   in Loop: Header=BB2_4740 Depth=4
	s_mov_b32 s88, -1
	s_or_b32 s76, s76, exec_lo
	s_and_saveexec_b32 s79, s78
	s_cbranch_execz .LBB2_4739
	s_branch .LBB2_4743
.LBB2_4742:                             ;   in Loop: Header=BB2_4740 Depth=4
	s_trap 2
	ds_load_b64 v[8:9], v0
	s_and_not1_b32 s78, s78, exec_lo
	s_mov_b32 s77, 0
	s_wait_loadcnt_dscnt 0x0
	flat_load_b32 v2, v[8:9] scope:SCOPE_SYS
	s_wait_loadcnt_dscnt 0x0
	global_inv scope:SCOPE_SYS
	v_cmp_eq_u32_e32 vcc_lo, 0, v2
	s_and_b32 s79, vcc_lo, exec_lo
	s_delay_alu instid0(SALU_CYCLE_1)
	s_or_b32 s78, s78, s79
	s_mov_b32 s88, -1
	s_or_b32 s76, s76, exec_lo
	s_and_saveexec_b32 s79, s78
	s_cbranch_execz .LBB2_4739
.LBB2_4743:                             ;   in Loop: Header=BB2_4740 Depth=4
	s_sleep 1
	s_trap 2
	ds_load_b64 v[8:9], v0
	s_wait_dscnt 0x0
	s_and_not1_b32 s76, s76, exec_lo
	v_cmp_ge_u64_e32 vcc_lo, v[8:9], v[32:33]
	s_or_not1_b32 s88, vcc_lo, exec_lo
	s_branch .LBB2_4739
.LBB2_4744:                             ;   in Loop: Header=BB2_4704 Depth=3
	s_or_b32 exec_lo, exec_lo, s45
	s_and_saveexec_b32 s45, s75
	s_delay_alu instid0(SALU_CYCLE_1)
	s_xor_b32 s45, exec_lo, s45
	s_cbranch_execz .LBB2_4746
; %bb.4745:                             ;   in Loop: Header=BB2_4704 Depth=3
	ds_store_b32 v0, v75
	s_trap 2
.LBB2_4746:                             ;   in Loop: Header=BB2_4704 Depth=3
	s_or_b32 exec_lo, exec_lo, s44
	;;#ASMSTART
	s_wakeup
	;;#ASMEND
.LBB2_4747:                             ;   in Loop: Header=BB2_4704 Depth=3
	s_or_b32 exec_lo, exec_lo, s15
.LBB2_4748:                             ;   in Loop: Header=BB2_4704 Depth=3
	s_and_not1_saveexec_b32 s14, s14
	s_cbranch_execz .LBB2_4750
; %bb.4749:                             ;   in Loop: Header=BB2_4704 Depth=3
	global_wb scope:SCOPE_DEV
	s_wait_storecnt 0x0
	s_wait_loadcnt_dscnt 0x0
	global_inv scope:SCOPE_DEV
	s_barrier_signal -1
	s_barrier_wait -1
.LBB2_4750:                             ;   in Loop: Header=BB2_4704 Depth=3
	s_or_b32 exec_lo, exec_lo, s14
.LBB2_4751:                             ;   in Loop: Header=BB2_4704 Depth=3
	s_delay_alu instid0(SALU_CYCLE_1) | instskip(SKIP_4) | instid1(VALU_DEP_1)
	s_or_b32 exec_lo, exec_lo, s13
	s_trap 2
	ds_load_b32 v8, v0
	v_and_b32_e32 v2, 0x4000, v30
	s_xor_b32 s13, s1, -1
	v_cmp_ne_u32_e32 vcc_lo, 0, v2
	s_and_b32 s14, s13, vcc_lo
	s_delay_alu instid0(SALU_CYCLE_1)
	s_and_saveexec_b32 s13, s14
	s_cbranch_execz .LBB2_4770
; %bb.4752:                             ;   in Loop: Header=BB2_4704 Depth=3
	s_and_saveexec_b32 s14, s3
	s_delay_alu instid0(SALU_CYCLE_1)
	s_xor_b32 s14, exec_lo, s14
	s_cbranch_execz .LBB2_4767
; %bb.4753:                             ;   in Loop: Header=BB2_4704 Depth=3
	s_and_saveexec_b32 s15, s6
	s_cbranch_execz .LBB2_4766
; %bb.4754:                             ;   in Loop: Header=BB2_4704 Depth=3
	s_mov_b32 s45, exec_lo
	s_mov_b32 s44, exec_lo
	v_mbcnt_lo_u32_b32 v2, s45, 0
	global_wb scope:SCOPE_DEV
	s_wait_storecnt 0x0
	s_wait_loadcnt_dscnt 0x0
	global_inv scope:SCOPE_DEV
	v_cmpx_eq_u32_e32 0, v2
	s_cbranch_execz .LBB2_4756
; %bb.4755:                             ;   in Loop: Header=BB2_4704 Depth=3
	s_bcnt1_i32_b32 s45, s45
	s_delay_alu instid0(SALU_CYCLE_1)
	v_mov_b32_e32 v2, s45
	s_wait_loadcnt 0x0
	ds_add_u64 v0, v[2:3]
	s_trap 2
.LBB2_4756:                             ;   in Loop: Header=BB2_4704 Depth=3
	s_or_b32 exec_lo, exec_lo, s44
	s_trap 2
	ds_load_b64 v[10:11], v0
	s_wait_dscnt 0x0
	v_add_nc_u64_e32 v[32:33], v[32:33], v[36:37]
	s_mov_b32 s44, exec_lo
	s_delay_alu instid0(VALU_DEP_1)
	v_cmpx_lt_u64_e64 v[10:11], v[32:33]
	s_cbranch_execz .LBB2_4765
; %bb.4757:                             ;   in Loop: Header=BB2_4704 Depth=3
	s_mov_b32 s45, 0
	s_mov_b32 s77, 0
                                        ; implicit-def: $sgpr75
                                        ; implicit-def: $sgpr76
	s_branch .LBB2_4759
.LBB2_4758:                             ;   in Loop: Header=BB2_4759 Depth=4
	s_or_b32 exec_lo, exec_lo, s79
	s_delay_alu instid0(SALU_CYCLE_1) | instskip(NEXT) | instid1(SALU_CYCLE_1)
	s_and_b32 s78, exec_lo, s88
	s_or_b32 s45, s78, s45
	s_and_not1_b32 s75, s75, exec_lo
	s_and_b32 s78, s76, exec_lo
	s_delay_alu instid0(SALU_CYCLE_1)
	s_or_b32 s75, s75, s78
	s_and_not1_b32 exec_lo, exec_lo, s45
	s_cbranch_execz .LBB2_4763
.LBB2_4759:                             ;   Parent Loop BB2_47 Depth=1
                                        ;     Parent Loop BB2_4701 Depth=2
                                        ;       Parent Loop BB2_4704 Depth=3
                                        ; =>      This Inner Loop Header: Depth=4
	s_add_co_i32 s77, s77, 1
	s_delay_alu instid0(SALU_CYCLE_1) | instskip(SKIP_1) | instid1(SALU_CYCLE_1)
	s_cmp_lg_u32 s77, 0x2710
	s_cselect_b32 s78, -1, 0
	s_and_b32 vcc_lo, exec_lo, s78
	s_cbranch_vccz .LBB2_4761
; %bb.4760:                             ;   in Loop: Header=BB2_4759 Depth=4
	s_mov_b32 s88, -1
	s_or_b32 s76, s76, exec_lo
	s_and_saveexec_b32 s79, s78
	s_cbranch_execz .LBB2_4758
	s_branch .LBB2_4762
.LBB2_4761:                             ;   in Loop: Header=BB2_4759 Depth=4
	s_trap 2
	ds_load_b64 v[10:11], v0
	s_and_not1_b32 s78, s78, exec_lo
	s_mov_b32 s77, 0
	s_wait_loadcnt_dscnt 0x0
	flat_load_b32 v2, v[10:11] scope:SCOPE_SYS
	s_wait_loadcnt_dscnt 0x0
	global_inv scope:SCOPE_SYS
	v_cmp_eq_u32_e32 vcc_lo, 0, v2
	s_and_b32 s79, vcc_lo, exec_lo
	s_delay_alu instid0(SALU_CYCLE_1)
	s_or_b32 s78, s78, s79
	s_mov_b32 s88, -1
	s_or_b32 s76, s76, exec_lo
	s_and_saveexec_b32 s79, s78
	s_cbranch_execz .LBB2_4758
.LBB2_4762:                             ;   in Loop: Header=BB2_4759 Depth=4
	s_sleep 1
	s_trap 2
	ds_load_b64 v[10:11], v0
	s_wait_dscnt 0x0
	s_and_not1_b32 s76, s76, exec_lo
	v_cmp_ge_u64_e32 vcc_lo, v[10:11], v[32:33]
	s_or_not1_b32 s88, vcc_lo, exec_lo
	s_branch .LBB2_4758
.LBB2_4763:                             ;   in Loop: Header=BB2_4704 Depth=3
	s_or_b32 exec_lo, exec_lo, s45
	s_and_saveexec_b32 s45, s75
	s_delay_alu instid0(SALU_CYCLE_1)
	s_xor_b32 s45, exec_lo, s45
	s_cbranch_execz .LBB2_4765
; %bb.4764:                             ;   in Loop: Header=BB2_4704 Depth=3
	ds_store_b32 v0, v75
	s_trap 2
.LBB2_4765:                             ;   in Loop: Header=BB2_4704 Depth=3
	s_or_b32 exec_lo, exec_lo, s44
	;;#ASMSTART
	s_wakeup
	;;#ASMEND
.LBB2_4766:                             ;   in Loop: Header=BB2_4704 Depth=3
	s_or_b32 exec_lo, exec_lo, s15
.LBB2_4767:                             ;   in Loop: Header=BB2_4704 Depth=3
	s_and_not1_saveexec_b32 s14, s14
	s_cbranch_execz .LBB2_4769
; %bb.4768:                             ;   in Loop: Header=BB2_4704 Depth=3
	global_wb scope:SCOPE_DEV
	s_wait_storecnt 0x0
	s_wait_loadcnt_dscnt 0x0
	global_inv scope:SCOPE_DEV
	s_barrier_signal -1
	s_barrier_wait -1
.LBB2_4769:                             ;   in Loop: Header=BB2_4704 Depth=3
	s_or_b32 exec_lo, exec_lo, s14
.LBB2_4770:                             ;   in Loop: Header=BB2_4704 Depth=3
	s_delay_alu instid0(SALU_CYCLE_1)
	s_or_b32 exec_lo, exec_lo, s13
	s_trap 2
	ds_load_b64 v[114:115], v0
	s_wait_dscnt 0x0
	v_cmp_eq_u64_e32 vcc_lo, 0, v[114:115]
	s_cbranch_vccnz .LBB2_4779
; %bb.4771:                             ;   in Loop: Header=BB2_4704 Depth=3
	s_trap 2
	ds_load_b64 v[116:117], v0
	s_wait_dscnt 0x0
	v_cmp_eq_u64_e32 vcc_lo, 0, v[116:117]
	s_cbranch_vccnz .LBB2_4779
; %bb.4772:                             ;   in Loop: Header=BB2_4704 Depth=3
	s_trap 2
	ds_load_b64 v[118:119], v0
	v_cmp_eq_u32_e64 s13, 0, v8
	s_delay_alu instid0(VALU_DEP_1)
	v_cndmask_b32_e64 v2, 0, v12, s13
	s_mov_b32 s13, -1
	s_wait_dscnt 0x0
	v_cmp_ne_u64_e32 vcc_lo, 0, v[118:119]
	s_cbranch_vccz .LBB2_4808
; %bb.4773:                             ;   in Loop: Header=BB2_4704 Depth=3
	s_and_saveexec_b32 s14, s11
	s_cbranch_execz .LBB2_4775
; %bb.4774:                             ;   in Loop: Header=BB2_4704 Depth=3
	ds_load_b32 v8, v0 offset:720
	s_wait_dscnt 0x0
	v_and_b32_e32 v8, 15, v8
	s_delay_alu instid0(VALU_DEP_1)
	v_cmp_eq_u32_e32 vcc_lo, 0, v8
	s_or_not1_b32 s13, vcc_lo, exec_lo
.LBB2_4775:                             ;   in Loop: Header=BB2_4704 Depth=3
	s_or_b32 exec_lo, exec_lo, s14
	s_and_saveexec_b32 s14, s12
	s_cbranch_execz .LBB2_4777
; %bb.4776:                             ;   in Loop: Header=BB2_4704 Depth=3
	ds_load_b32 v8, v0 offset:784
	s_wait_dscnt 0x0
	v_and_b32_e32 v8, 15, v8
	s_delay_alu instid0(VALU_DEP_1) | instskip(SKIP_3) | instid1(SALU_CYCLE_1)
	v_cmp_eq_u32_e32 vcc_lo, 0, v8
	s_and_b32 s15, s13, vcc_lo
	s_and_not1_b32 s13, s13, exec_lo
	s_and_b32 s15, s15, exec_lo
	s_or_b32 s13, s13, s15
.LBB2_4777:                             ;   in Loop: Header=BB2_4704 Depth=3
	s_or_b32 exec_lo, exec_lo, s14
	s_xor_b32 s13, s13, -1
	v_dual_mov_b32 v13, 0 :: v_dual_mov_b32 v15, v2
	v_cndmask_b32_e64 v8, 0, 1, s13
	v_mov_b32_e32 v40, v0
	s_mov_b32 s14, -1
	s_delay_alu instid0(VALU_DEP_2)
	v_cmp_ne_u32_e32 vcc_lo, 0, v8
	v_mov_b32_e32 v8, v79
	s_cbranch_vccz .LBB2_4780
; %bb.4778:                             ;   in Loop: Header=BB2_4704 Depth=3
	s_and_saveexec_b32 s15, s14
	s_cbranch_execnz .LBB2_4797
	s_branch .LBB2_4807
.LBB2_4779:                             ;   in Loop: Header=BB2_4704 Depth=3
	s_mov_b32 s13, 0
	s_and_saveexec_b32 s14, s2
	s_cbranch_execnz .LBB2_4838
	s_branch .LBB2_4856
.LBB2_4780:                             ;   in Loop: Header=BB2_4704 Depth=3
	v_ashrrev_i32_e32 v8, 31, v2
	s_mov_b32 s75, exec_lo
	s_delay_alu instid0(VALU_DEP_1) | instskip(NEXT) | instid1(VALU_DEP_1)
	v_dual_sub_nc_u32 v13, v2, v50 :: v_dual_lshrrev_b32 v8, 23, v8
	v_add_nc_u32_e32 v8, v2, v8
	s_delay_alu instid0(VALU_DEP_1) | instskip(NEXT) | instid1(VALU_DEP_1)
	v_and_b32_e32 v47, 0xfffffe00, v8
	v_dual_ashrrev_i32 v8, 9, v8 :: v_dual_sub_nc_u32 v57, v2, v47
	s_delay_alu instid0(VALU_DEP_1) | instskip(NEXT) | instid1(VALU_DEP_1)
	v_cmp_lt_i32_e64 s13, 15, v57
	v_add_co_ci_u32_e64 v58, null, v8, v89, s13
	v_cmpx_lt_i32_e32 15, v13
	s_cbranch_execz .LBB2_4786
; %bb.4781:                             ;   in Loop: Header=BB2_4704 Depth=3
	v_add_nc_u64_e32 v[40:41], v[114:115], v[50:51]
	v_add_nc_u64_e32 v[42:43], v[116:117], v[50:51]
	v_add_nc_u64_e32 v[44:45], v[118:119], v[50:51]
	s_mov_b32 s76, 0
.LBB2_4782:                             ;   Parent Loop BB2_47 Depth=1
                                        ;     Parent Loop BB2_4701 Depth=2
                                        ;       Parent Loop BB2_4704 Depth=3
                                        ; =>      This Loop Header: Depth=4
                                        ;           Child Loop BB2_4783 Depth 5
	global_load_b128 v[8:11], v[40:41], off th:TH_LOAD_NT
	s_mov_b64 s[44:45], 0
	s_mov_b32 s77, -1
.LBB2_4783:                             ;   Parent Loop BB2_47 Depth=1
                                        ;     Parent Loop BB2_4701 Depth=2
                                        ;       Parent Loop BB2_4704 Depth=3
                                        ;         Parent Loop BB2_4782 Depth=4
                                        ; =>        This Inner Loop Header: Depth=5
	s_cmp_eq_u32 s44, 1
	s_cselect_b32 vcc_lo, -1, 0
	s_cmp_eq_u32 s44, 0
	s_wait_xcnt 0x0
	v_dual_cndmask_b32 v19, v43, v45 :: v_dual_cndmask_b32 v18, v42, v44
	s_cselect_b32 s14, -1, 0
	s_and_b32 s15, exec_lo, s77
	s_mov_b64 s[44:45], 1
	s_mov_b32 s77, 0
	v_add_nc_u64_e32 v[60:61], 0x200, v[18:19]
	s_wait_loadcnt 0x0
	global_store_b128 v[18:19], v[8:11], off th:TH_STORE_NT
	v_dual_cndmask_b32 v45, v45, v61 :: v_dual_cndmask_b32 v44, v44, v60
	v_dual_cndmask_b32 v43, v43, v61, s14 :: v_dual_cndmask_b32 v42, v42, v60, s14
	s_mov_b32 vcc_lo, s15
	s_cbranch_vccnz .LBB2_4783
; %bb.4784:                             ;   in Loop: Header=BB2_4782 Depth=4
	v_dual_sub_nc_u32 v13, v13, v66 :: v_dual_sub_nc_u32 v58, v58, v36
	s_delay_alu instid0(VALU_DEP_2)
	v_add_nc_u64_e32 v[42:43], v[42:43], v[80:81]
	v_add_nc_u64_e32 v[44:45], v[44:45], v[80:81]
	s_wait_xcnt 0x1
	v_add_nc_u64_e32 v[40:41], v[84:85], v[40:41]
	v_cmp_gt_i32_e32 vcc_lo, 16, v13
	s_or_b32 s76, vcc_lo, s76
	s_wait_xcnt 0x0
	s_and_not1_b32 exec_lo, exec_lo, s76
	s_cbranch_execnz .LBB2_4782
; %bb.4785:                             ;   in Loop: Header=BB2_4704 Depth=3
	s_or_b32 exec_lo, exec_lo, s76
.LBB2_4786:                             ;   in Loop: Header=BB2_4704 Depth=3
	s_delay_alu instid0(SALU_CYCLE_1) | instskip(SKIP_3) | instid1(VALU_DEP_1)
	s_or_b32 exec_lo, exec_lo, s75
	v_dual_mov_b32 v13, 0 :: v_dual_bitop2_b32 v9, 15, v2 bitop3:0x40
	s_mov_b32 s14, 0
	s_mov_b32 s75, exec_lo
                                        ; implicit-def: $vgpr15
                                        ; implicit-def: $vgpr40
                                        ; implicit-def: $vgpr8
	v_cndmask_b32_e64 v56, v57, v9, s13
	s_delay_alu instid0(VALU_DEP_1)
	v_cmpx_ne_u32_e32 0, v56
	s_cbranch_execz .LBB2_4796
; %bb.4787:                             ;   in Loop: Header=BB2_4704 Depth=3
	v_cmp_lt_i32_e32 vcc_lo, 0, v58
	s_mov_b32 s76, exec_lo
	v_dual_ashrrev_i32 v11, 31, v56 :: v_dual_sub_nc_u32 v9, v57, v9
	s_delay_alu instid0(VALU_DEP_1) | instskip(NEXT) | instid1(VALU_DEP_1)
	v_dual_cndmask_b32 v8, 0, v36 :: v_dual_lshrrev_b32 v11, 23, v11
	v_sub_nc_u32_e32 v8, v8, v58
	s_delay_alu instid0(VALU_DEP_1) | instskip(NEXT) | instid1(VALU_DEP_1)
	v_lshl_add_u32 v8, v8, 5, v88
	v_ashrrev_i32_e32 v10, 31, v8
	s_delay_alu instid0(VALU_DEP_1) | instskip(NEXT) | instid1(VALU_DEP_1)
	v_lshrrev_b32_e32 v10, 27, v10
	v_add_nc_u32_e32 v10, v8, v10
	s_delay_alu instid0(VALU_DEP_1) | instskip(NEXT) | instid1(VALU_DEP_1)
	v_and_b32_e32 v13, 0xffffffe0, v10
	v_sub_nc_u32_e32 v59, v8, v13
	v_dual_add_nc_u32 v11, v56, v11 :: v_dual_ashrrev_i32 v10, 5, v10
	s_delay_alu instid0(VALU_DEP_2) | instskip(NEXT) | instid1(VALU_DEP_2)
	v_lshlrev_b32_e32 v8, 4, v59
	v_and_b32_e32 v58, 0xfffffe00, v11
	v_ashrrev_i32_e32 v11, 9, v11
	s_delay_alu instid0(VALU_DEP_3) | instskip(NEXT) | instid1(VALU_DEP_3)
	v_lshl_add_u32 v8, v10, 9, v8
	v_dual_sub_nc_u32 v57, v56, v58 :: v_dual_cndmask_b32 v9, 0, v9, s13
	s_delay_alu instid0(VALU_DEP_2) | instskip(NEXT) | instid1(VALU_DEP_2)
	v_sub_nc_u32_e32 v13, v56, v8
	v_cmp_lt_i32_e64 s13, 15, v57
	s_delay_alu instid0(VALU_DEP_1) | instskip(NEXT) | instid1(VALU_DEP_1)
	v_add_co_ci_u32_e64 v11, null, 0, v11, s13
	v_dual_add_nc_u32 v47, v9, v47 :: v_dual_sub_nc_u32 v60, v11, v10
	s_delay_alu instid0(VALU_DEP_4)
	v_cmpx_lt_i32_e32 15, v13
	s_cbranch_execz .LBB2_4793
; %bb.4788:                             ;   in Loop: Header=BB2_4704 Depth=3
	s_delay_alu instid0(VALU_DEP_2) | instskip(SKIP_1) | instid1(VALU_DEP_1)
	v_add_nc_u32_e32 v8, v8, v47
	s_mov_b32 s77, 0
	v_ashrrev_i32_e32 v9, 31, v8
	s_delay_alu instid0(VALU_DEP_1)
	v_add_nc_u64_e32 v[40:41], v[8:9], v[114:115]
	v_add_nc_u64_e32 v[42:43], v[8:9], v[116:117]
	;; [unrolled: 1-line block ×3, first 2 shown]
.LBB2_4789:                             ;   Parent Loop BB2_47 Depth=1
                                        ;     Parent Loop BB2_4701 Depth=2
                                        ;       Parent Loop BB2_4704 Depth=3
                                        ; =>      This Loop Header: Depth=4
                                        ;           Child Loop BB2_4790 Depth 5
	global_load_b128 v[8:11], v[40:41], off th:TH_LOAD_NT
	s_mov_b64 s[44:45], 0
	s_mov_b32 s78, -1
.LBB2_4790:                             ;   Parent Loop BB2_47 Depth=1
                                        ;     Parent Loop BB2_4701 Depth=2
                                        ;       Parent Loop BB2_4704 Depth=3
                                        ;         Parent Loop BB2_4789 Depth=4
                                        ; =>        This Inner Loop Header: Depth=5
	s_cmp_eq_u32 s44, 1
	s_cselect_b32 vcc_lo, -1, 0
	s_cmp_eq_u32 s44, 0
	s_wait_xcnt 0x0
	v_dual_cndmask_b32 v19, v43, v45 :: v_dual_cndmask_b32 v18, v42, v44
	s_cselect_b32 s14, -1, 0
	s_and_b32 s15, exec_lo, s78
	s_mov_b64 s[44:45], 1
	s_mov_b32 s78, 0
	v_add_nc_u64_e32 v[62:63], 0x200, v[18:19]
	s_wait_loadcnt 0x0
	global_store_b128 v[18:19], v[8:11], off th:TH_STORE_NT
	v_dual_cndmask_b32 v45, v45, v63 :: v_dual_cndmask_b32 v44, v44, v62
	v_dual_cndmask_b32 v43, v43, v63, s14 :: v_dual_cndmask_b32 v42, v42, v62, s14
	s_mov_b32 vcc_lo, s15
	s_cbranch_vccnz .LBB2_4790
; %bb.4791:                             ;   in Loop: Header=BB2_4789 Depth=4
	v_dual_sub_nc_u32 v13, v13, v66 :: v_dual_sub_nc_u32 v60, v60, v36
	s_delay_alu instid0(VALU_DEP_2)
	v_add_nc_u64_e32 v[42:43], v[42:43], v[80:81]
	v_add_nc_u64_e32 v[44:45], v[44:45], v[80:81]
	s_wait_xcnt 0x1
	v_add_nc_u64_e32 v[40:41], v[84:85], v[40:41]
	v_cmp_gt_i32_e32 vcc_lo, 16, v13
	s_or_b32 s77, vcc_lo, s77
	s_wait_xcnt 0x0
	s_and_not1_b32 exec_lo, exec_lo, s77
	s_cbranch_execnz .LBB2_4789
; %bb.4792:                             ;   in Loop: Header=BB2_4704 Depth=3
	s_or_b32 exec_lo, exec_lo, s77
.LBB2_4793:                             ;   in Loop: Header=BB2_4704 Depth=3
	s_delay_alu instid0(SALU_CYCLE_1) | instskip(SKIP_3) | instid1(VALU_DEP_1)
	s_or_b32 exec_lo, exec_lo, s76
	v_dual_mov_b32 v13, 0 :: v_dual_bitop2_b32 v9, 15, v56 bitop3:0x40
	s_mov_b32 s14, 0
	s_mov_b32 s15, exec_lo
                                        ; implicit-def: $vgpr40
                                        ; implicit-def: $vgpr8
	v_cndmask_b32_e64 v15, v57, v9, s13
	s_delay_alu instid0(VALU_DEP_1)
	v_cmpx_ne_u32_e32 0, v15
	s_cbranch_execz .LBB2_4795
; %bb.4794:                             ;   in Loop: Header=BB2_4704 Depth=3
	v_cmp_lt_i32_e32 vcc_lo, 0, v60
	s_mov_b32 s14, exec_lo
	v_dual_cndmask_b32 v8, 0, v36 :: v_dual_sub_nc_u32 v9, v57, v9
	s_delay_alu instid0(VALU_DEP_1) | instskip(NEXT) | instid1(VALU_DEP_1)
	v_dual_cndmask_b32 v9, 0, v9, s13 :: v_dual_sub_nc_u32 v8, v8, v60
	v_add3_u32 v13, v58, v47, v9
	s_delay_alu instid0(VALU_DEP_2) | instskip(NEXT) | instid1(VALU_DEP_1)
	v_lshl_add_u32 v40, v8, 5, v59
	v_ashrrev_i32_e32 v8, 31, v40
	s_delay_alu instid0(VALU_DEP_1) | instskip(NEXT) | instid1(VALU_DEP_1)
	v_lshrrev_b32_e32 v8, 27, v8
	v_add_nc_u32_e32 v8, v40, v8
	s_delay_alu instid0(VALU_DEP_1)
	v_ashrrev_i32_e32 v8, 5, v8
.LBB2_4795:                             ;   in Loop: Header=BB2_4704 Depth=3
	s_or_b32 exec_lo, exec_lo, s15
	s_delay_alu instid0(SALU_CYCLE_1)
	s_and_b32 s14, s14, exec_lo
.LBB2_4796:                             ;   in Loop: Header=BB2_4704 Depth=3
	s_or_b32 exec_lo, exec_lo, s75
	s_and_saveexec_b32 s15, s14
	s_cbranch_execz .LBB2_4807
.LBB2_4797:                             ;   in Loop: Header=BB2_4704 Depth=3
	v_ashrrev_i32_e32 v9, 31, v15
	s_mov_b32 s13, exec_lo
	s_delay_alu instid0(VALU_DEP_1) | instskip(NEXT) | instid1(VALU_DEP_1)
	v_lshrrev_b32_e32 v9, 24, v9
	v_add_nc_u32_e32 v9, v15, v9
	s_delay_alu instid0(VALU_DEP_1) | instskip(NEXT) | instid1(VALU_DEP_1)
	v_dual_ashrrev_i32 v43, 8, v9 :: v_dual_ashrrev_i32 v9, 31, v40
	v_dual_sub_nc_u32 v41, v43, v8 :: v_dual_lshrrev_b32 v42, 27, v9
	s_delay_alu instid0(VALU_DEP_1)
	v_cmpx_lt_i32_e32 0, v41
	s_cbranch_execz .LBB2_4801
; %bb.4798:                             ;   in Loop: Header=BB2_4704 Depth=3
	s_delay_alu instid0(VALU_DEP_2) | instskip(SKIP_2) | instid1(VALU_DEP_2)
	v_dual_add_nc_u32 v9, v40, v42 :: v_dual_lshlrev_b32 v8, 8, v8
	v_add_nc_u64_e32 v[44:45], 0xe0, v[114:115]
	s_mov_b32 s14, 0
	v_and_b32_e32 v9, 0xffffffe0, v9
	s_delay_alu instid0(VALU_DEP_1) | instskip(NEXT) | instid1(VALU_DEP_1)
	v_sub_nc_u32_e32 v9, v40, v9
	v_add3_u32 v18, v13, v9, v8
	s_delay_alu instid0(VALU_DEP_1) | instskip(NEXT) | instid1(VALU_DEP_1)
	v_ashrrev_i32_e32 v19, 31, v18
	v_add_nc_u64_e32 v[8:9], v[18:19], v[116:117]
	v_add_nc_u64_e32 v[10:11], v[18:19], v[118:119]
	;; [unrolled: 1-line block ×3, first 2 shown]
.LBB2_4799:                             ;   Parent Loop BB2_47 Depth=1
                                        ;     Parent Loop BB2_4701 Depth=2
                                        ;       Parent Loop BB2_4704 Depth=3
                                        ; =>      This Inner Loop Header: Depth=4
	s_clause 0x7
	flat_load_u8 v18, v[118:119] offset:-224 th:TH_LOAD_NT
	flat_load_u8 v19, v[118:119] offset:-192 th:TH_LOAD_NT
	;; [unrolled: 1-line block ×7, first 2 shown]
	flat_load_u8 v58, v[118:119] th:TH_LOAD_NT
	v_sub_nc_u32_e32 v41, v41, v36
	s_wait_xcnt 0x0
	v_add_nc_u64_e32 v[118:119], v[118:119], v[68:69]
	s_wait_loadcnt_dscnt 0x707
	flat_store_b8 v[8:9], v18 th:TH_STORE_NT
	s_wait_loadcnt_dscnt 0x607
	flat_store_b8 v[8:9], v19 offset:32 th:TH_STORE_NT
	s_wait_loadcnt_dscnt 0x507
	flat_store_b8 v[8:9], v44 offset:64 th:TH_STORE_NT
	s_wait_loadcnt_dscnt 0x407
	flat_store_b8 v[8:9], v45 offset:96 th:TH_STORE_NT
	s_wait_loadcnt_dscnt 0x307
	flat_store_b8 v[8:9], v47 offset:128 th:TH_STORE_NT
	s_wait_loadcnt_dscnt 0x207
	flat_store_b8 v[8:9], v56 offset:160 th:TH_STORE_NT
	s_wait_loadcnt_dscnt 0x107
	flat_store_b8 v[8:9], v57 offset:192 th:TH_STORE_NT
	s_wait_loadcnt_dscnt 0x7
	flat_store_b8 v[8:9], v58 offset:224 th:TH_STORE_NT
	s_clause 0x7
	flat_store_b8 v[10:11], v18 th:TH_STORE_NT
	flat_store_b8 v[10:11], v19 offset:32 th:TH_STORE_NT
	flat_store_b8 v[10:11], v44 offset:64 th:TH_STORE_NT
	;; [unrolled: 1-line block ×7, first 2 shown]
	v_cmp_gt_i32_e32 vcc_lo, 1, v41
	s_wait_xcnt 0x8
	v_add_nc_u64_e32 v[8:9], v[8:9], v[68:69]
	s_wait_xcnt 0x0
	v_add_nc_u64_e32 v[10:11], v[10:11], v[68:69]
	s_or_b32 s14, vcc_lo, s14
	s_delay_alu instid0(SALU_CYCLE_1)
	s_and_not1_b32 exec_lo, exec_lo, s14
	s_cbranch_execnz .LBB2_4799
; %bb.4800:                             ;   in Loop: Header=BB2_4704 Depth=3
	s_or_b32 exec_lo, exec_lo, s14
.LBB2_4801:                             ;   in Loop: Header=BB2_4704 Depth=3
	s_delay_alu instid0(SALU_CYCLE_1) | instskip(SKIP_1) | instid1(VALU_DEP_1)
	s_or_b32 exec_lo, exec_lo, s13
	v_lshlrev_b32_e32 v8, 8, v43
	v_cmp_ne_u32_e32 vcc_lo, v15, v8
	s_and_b32 exec_lo, exec_lo, vcc_lo
	s_cbranch_execz .LBB2_4807
; %bb.4802:                             ;   in Loop: Header=BB2_4704 Depth=3
	v_dual_add_nc_u32 v9, v40, v42 :: v_dual_lshlrev_b32 v10, 5, v41
	s_delay_alu instid0(VALU_DEP_1) | instskip(NEXT) | instid1(VALU_DEP_1)
	v_and_b32_e32 v9, 0xffffffe0, v9
	v_sub_nc_u32_e32 v9, v40, v9
	s_delay_alu instid0(VALU_DEP_1) | instskip(NEXT) | instid1(VALU_DEP_1)
	v_sub_nc_u32_e32 v9, v9, v10
	v_add_nc_u32_e32 v8, v8, v9
	s_delay_alu instid0(VALU_DEP_1) | instskip(NEXT) | instid1(VALU_DEP_1)
	v_sub_nc_u32_e32 v15, v15, v8
	v_cmp_lt_i32_e32 vcc_lo, 0, v15
	s_and_b32 exec_lo, exec_lo, vcc_lo
	s_cbranch_execz .LBB2_4807
; %bb.4803:                             ;   in Loop: Header=BB2_4704 Depth=3
	s_trap 2
	ds_load_b64 v[10:11], v0
	ds_load_b128 v[40:43], v0
	v_add_nc_u32_e32 v18, v8, v13
	s_mov_b32 s75, 0
	s_delay_alu instid0(VALU_DEP_1) | instskip(SKIP_1) | instid1(VALU_DEP_1)
	v_ashrrev_i32_e32 v19, 31, v18
	s_wait_dscnt 0x1
	v_add_nc_u64_e32 v[8:9], v[10:11], v[18:19]
	s_wait_dscnt 0x0
	v_add_nc_u64_e32 v[10:11], v[40:41], v[18:19]
	v_add_nc_u64_e32 v[118:119], v[42:43], v[18:19]
.LBB2_4804:                             ;   Parent Loop BB2_47 Depth=1
                                        ;     Parent Loop BB2_4701 Depth=2
                                        ;       Parent Loop BB2_4704 Depth=3
                                        ; =>      This Loop Header: Depth=4
                                        ;           Child Loop BB2_4805 Depth 5
	flat_load_u8 v13, v[8:9] th:TH_LOAD_NT
	s_mov_b64 s[44:45], 0
	s_mov_b32 s76, -1
.LBB2_4805:                             ;   Parent Loop BB2_47 Depth=1
                                        ;     Parent Loop BB2_4701 Depth=2
                                        ;       Parent Loop BB2_4704 Depth=3
                                        ;         Parent Loop BB2_4804 Depth=4
                                        ; =>        This Inner Loop Header: Depth=5
	s_cmp_eq_u32 s44, 1
	s_cselect_b32 vcc_lo, -1, 0
	s_cmp_eq_u32 s44, 0
	s_wait_xcnt 0x0
	v_dual_cndmask_b32 v19, v11, v119 :: v_dual_cndmask_b32 v18, v10, v118
	s_cselect_b32 s13, -1, 0
	s_and_b32 s14, exec_lo, s76
	s_mov_b64 s[44:45], 1
	s_mov_b32 s76, 0
	v_add_nc_u64_e32 v[40:41], 32, v[18:19]
	s_wait_loadcnt_dscnt 0x0
	flat_store_b8 v[18:19], v13 th:TH_STORE_NT
	v_dual_cndmask_b32 v119, v119, v41 :: v_dual_cndmask_b32 v118, v118, v40
	v_dual_cndmask_b32 v11, v11, v41, s13 :: v_dual_cndmask_b32 v10, v10, v40, s13
	s_mov_b32 vcc_lo, s14
	s_cbranch_vccnz .LBB2_4805
; %bb.4806:                             ;   in Loop: Header=BB2_4804 Depth=4
	v_sub_nc_u32_e32 v15, v15, v38
	s_delay_alu instid0(VALU_DEP_2)
	v_add_nc_u64_e32 v[10:11], v[10:11], v[70:71]
	v_add_nc_u64_e32 v[118:119], v[118:119], v[70:71]
	s_wait_xcnt 0x1
	v_add_nc_u64_e32 v[8:9], v[82:83], v[8:9]
	v_cmp_gt_i32_e32 vcc_lo, 1, v15
	s_or_b32 s75, vcc_lo, s75
	s_wait_xcnt 0x0
	s_and_not1_b32 exec_lo, exec_lo, s75
	s_cbranch_execnz .LBB2_4804
.LBB2_4807:                             ;   in Loop: Header=BB2_4704 Depth=3
	s_or_b32 exec_lo, exec_lo, s15
	s_mov_b32 s13, 0
.LBB2_4808:                             ;   in Loop: Header=BB2_4704 Depth=3
	s_delay_alu instid0(SALU_CYCLE_1)
	s_and_b32 vcc_lo, exec_lo, s13
	s_cbranch_vccz .LBB2_4837
; %bb.4809:                             ;   in Loop: Header=BB2_4704 Depth=3
	s_mov_b32 s13, -1
	s_and_saveexec_b32 s14, s11
	s_cbranch_execz .LBB2_4811
; %bb.4810:                             ;   in Loop: Header=BB2_4704 Depth=3
	ds_load_b32 v8, v0 offset:720
	s_wait_dscnt 0x0
	v_and_b32_e32 v8, 15, v8
	s_delay_alu instid0(VALU_DEP_1)
	v_cmp_eq_u32_e32 vcc_lo, 0, v8
	s_or_not1_b32 s13, vcc_lo, exec_lo
.LBB2_4811:                             ;   in Loop: Header=BB2_4704 Depth=3
	s_or_b32 exec_lo, exec_lo, s14
	s_and_saveexec_b32 s14, s10
	s_cbranch_execz .LBB2_4813
; %bb.4812:                             ;   in Loop: Header=BB2_4704 Depth=3
	ds_load_b32 v8, v0 offset:784
	s_wait_dscnt 0x0
	v_and_b32_e32 v8, 15, v8
	s_delay_alu instid0(VALU_DEP_1) | instskip(SKIP_3) | instid1(SALU_CYCLE_1)
	v_cmp_eq_u32_e32 vcc_lo, 0, v8
	s_and_b32 s15, s13, vcc_lo
	s_and_not1_b32 s13, s13, exec_lo
	s_and_b32 s15, s15, exec_lo
	s_or_b32 s13, s13, s15
.LBB2_4813:                             ;   in Loop: Header=BB2_4704 Depth=3
	s_or_b32 exec_lo, exec_lo, s14
	s_xor_b32 s13, s13, -1
	v_dual_mov_b32 v10, 0 :: v_dual_mov_b32 v11, v2
	v_cndmask_b32_e64 v8, 0, 1, s13
	v_mov_b32_e32 v13, v0
	s_mov_b32 s15, -1
	s_delay_alu instid0(VALU_DEP_2)
	v_cmp_ne_u32_e32 vcc_lo, 0, v8
	v_mov_b32_e32 v8, v79
	s_cbranch_vccz .LBB2_4815
; %bb.4814:                             ;   in Loop: Header=BB2_4704 Depth=3
	s_and_saveexec_b32 s13, s15
	s_cbranch_execnz .LBB2_4828
	s_branch .LBB2_4836
.LBB2_4815:                             ;   in Loop: Header=BB2_4704 Depth=3
	v_ashrrev_i32_e32 v8, 31, v2
	s_mov_b32 s13, exec_lo
	s_delay_alu instid0(VALU_DEP_1) | instskip(NEXT) | instid1(VALU_DEP_1)
	v_lshrrev_b32_e32 v8, 22, v8
	v_add_nc_u32_e32 v8, v2, v8
	s_delay_alu instid0(VALU_DEP_1) | instskip(NEXT) | instid1(VALU_DEP_1)
	v_ashrrev_i32_e32 v10, 10, v8
	v_sub_nc_u32_e32 v118, v10, v79
	s_delay_alu instid0(VALU_DEP_1)
	v_cmpx_lt_i32_e32 0, v118
	s_cbranch_execz .LBB2_4819
; %bb.4816:                             ;   in Loop: Header=BB2_4704 Depth=3
	v_mov_b64_e32 v[8:9], v[86:87]
	s_mov_b32 s14, 0
.LBB2_4817:                             ;   Parent Loop BB2_47 Depth=1
                                        ;     Parent Loop BB2_4701 Depth=2
                                        ;       Parent Loop BB2_4704 Depth=3
                                        ; =>      This Inner Loop Header: Depth=4
	s_delay_alu instid0(VALU_DEP_1)
	v_add_nc_u64_e32 v[18:19], v[114:115], v[8:9]
	v_sub_nc_u32_e32 v118, v118, v36
	s_clause 0x1
	global_load_b128 v[40:43], v[18:19], off th:TH_LOAD_NT
	global_load_b128 v[56:59], v[18:19], off offset:512 th:TH_LOAD_NT
	s_wait_xcnt 0x0
	v_add_nc_u64_e32 v[18:19], v[116:117], v[8:9]
	v_cmp_gt_i32_e32 vcc_lo, 1, v118
	v_add_nc_u64_e32 v[8:9], v[8:9], v[64:65]
	s_wait_loadcnt 0x1
	global_store_b128 v[18:19], v[40:43], off th:TH_STORE_NT
	s_wait_loadcnt 0x0
	global_store_b128 v[18:19], v[56:59], off offset:512 th:TH_STORE_NT
	s_or_b32 s14, vcc_lo, s14
	s_wait_xcnt 0x0
	s_and_not1_b32 exec_lo, exec_lo, s14
	s_cbranch_execnz .LBB2_4817
; %bb.4818:                             ;   in Loop: Header=BB2_4704 Depth=3
	s_or_b32 exec_lo, exec_lo, s14
.LBB2_4819:                             ;   in Loop: Header=BB2_4704 Depth=3
	s_delay_alu instid0(SALU_CYCLE_1) | instskip(SKIP_3) | instid1(VALU_DEP_1)
	s_or_b32 exec_lo, exec_lo, s13
	v_dual_mov_b32 v10, 0 :: v_dual_lshlrev_b32 v15, 10, v10
	s_mov_b32 s15, 0
	s_mov_b32 s14, exec_lo
                                        ; implicit-def: $vgpr11
                                        ; implicit-def: $vgpr13
                                        ; implicit-def: $vgpr8
	v_cmpx_ne_u32_e64 v2, v15
	s_cbranch_execz .LBB2_4827
; %bb.4820:                             ;   in Loop: Header=BB2_4704 Depth=3
	v_dual_lshlrev_b32 v8, 5, v118 :: v_dual_sub_nc_u32 v10, v2, v15
	s_mov_b32 s15, exec_lo
	s_delay_alu instid0(VALU_DEP_1) | instskip(NEXT) | instid1(VALU_DEP_1)
	v_dual_sub_nc_u32 v8, v88, v8 :: v_dual_ashrrev_i32 v11, 31, v10
	v_dual_ashrrev_i32 v9, 31, v8 :: v_dual_lshrrev_b32 v11, 23, v11
	s_delay_alu instid0(VALU_DEP_1) | instskip(NEXT) | instid1(VALU_DEP_1)
	v_lshrrev_b32_e32 v9, 27, v9
	v_add_nc_u32_e32 v9, v8, v9
	s_delay_alu instid0(VALU_DEP_1) | instskip(NEXT) | instid1(VALU_DEP_1)
	v_and_b32_e32 v13, 0xffffffe0, v9
	v_dual_add_nc_u32 v11, v10, v11 :: v_dual_sub_nc_u32 v119, v8, v13
	s_delay_alu instid0(VALU_DEP_1) | instskip(SKIP_1) | instid1(VALU_DEP_2)
	v_and_b32_e32 v118, 0xfffffe00, v11
	v_dual_ashrrev_i32 v9, 5, v9 :: v_dual_ashrrev_i32 v11, 9, v11
	v_dual_lshlrev_b32 v8, 4, v119 :: v_dual_sub_nc_u32 v40, v10, v118
	s_delay_alu instid0(VALU_DEP_1) | instskip(NEXT) | instid1(VALU_DEP_2)
	v_lshl_add_u32 v8, v9, 9, v8
	v_cmp_lt_i32_e32 vcc_lo, 15, v40
	s_delay_alu instid0(VALU_DEP_4) | instskip(NEXT) | instid1(VALU_DEP_1)
	v_add_co_ci_u32_e64 v11, null, 0, v11, vcc_lo
	v_dual_sub_nc_u32 v10, v10, v8 :: v_dual_sub_nc_u32 v41, v11, v9
	s_delay_alu instid0(VALU_DEP_1)
	v_cmpx_lt_i32_e32 15, v10
	s_cbranch_execz .LBB2_4824
; %bb.4821:                             ;   in Loop: Header=BB2_4704 Depth=3
	v_add_nc_u32_e32 v8, v8, v15
	s_mov_b32 s44, 0
	s_delay_alu instid0(VALU_DEP_1)
	v_ashrrev_i32_e32 v9, 31, v8
.LBB2_4822:                             ;   Parent Loop BB2_47 Depth=1
                                        ;     Parent Loop BB2_4701 Depth=2
                                        ;       Parent Loop BB2_4704 Depth=3
                                        ; =>      This Inner Loop Header: Depth=4
	s_delay_alu instid0(VALU_DEP_1) | instskip(SKIP_1) | instid1(VALU_DEP_1)
	v_add_nc_u64_e32 v[18:19], v[114:115], v[8:9]
	v_dual_sub_nc_u32 v10, v10, v66 :: v_dual_sub_nc_u32 v41, v41, v36
	v_cmp_gt_i32_e64 s13, 16, v10
	global_load_b128 v[42:45], v[18:19], off th:TH_LOAD_NT
	s_wait_xcnt 0x0
	v_add_nc_u64_e32 v[18:19], v[116:117], v[8:9]
	v_add_nc_u64_e32 v[8:9], v[8:9], v[66:67]
	s_or_b32 s44, s13, s44
	s_wait_loadcnt 0x0
	global_store_b128 v[18:19], v[42:45], off th:TH_STORE_NT
	s_wait_xcnt 0x0
	s_and_not1_b32 exec_lo, exec_lo, s44
	s_cbranch_execnz .LBB2_4822
; %bb.4823:                             ;   in Loop: Header=BB2_4704 Depth=3
	s_or_b32 exec_lo, exec_lo, s44
.LBB2_4824:                             ;   in Loop: Header=BB2_4704 Depth=3
	s_delay_alu instid0(SALU_CYCLE_1) | instskip(SKIP_3) | instid1(VALU_DEP_1)
	s_or_b32 exec_lo, exec_lo, s15
	v_dual_mov_b32 v10, 0 :: v_dual_bitop2_b32 v9, 15, v2 bitop3:0x40
	s_mov_b32 s15, 0
	s_mov_b32 s44, exec_lo
                                        ; implicit-def: $vgpr13
                                        ; implicit-def: $vgpr8
	v_cndmask_b32_e32 v11, v40, v9, vcc_lo
	s_delay_alu instid0(VALU_DEP_1)
	v_cmpx_ne_u32_e32 0, v11
	s_cbranch_execz .LBB2_4826
; %bb.4825:                             ;   in Loop: Header=BB2_4704 Depth=3
	v_cmp_lt_i32_e64 s13, 0, v41
	s_mov_b32 s15, exec_lo
	v_dual_sub_nc_u32 v9, v40, v9 :: v_dual_cndmask_b32 v8, 0, v36, s13
	s_delay_alu instid0(VALU_DEP_1) | instskip(NEXT) | instid1(VALU_DEP_2)
	v_cndmask_b32_e32 v9, 0, v9, vcc_lo
	v_sub_nc_u32_e32 v8, v8, v41
	s_delay_alu instid0(VALU_DEP_2) | instskip(NEXT) | instid1(VALU_DEP_2)
	v_add3_u32 v10, v118, v15, v9
	v_lshl_add_u32 v13, v8, 5, v119
	s_delay_alu instid0(VALU_DEP_1) | instskip(NEXT) | instid1(VALU_DEP_1)
	v_ashrrev_i32_e32 v8, 31, v13
	v_lshrrev_b32_e32 v8, 27, v8
	s_delay_alu instid0(VALU_DEP_1) | instskip(NEXT) | instid1(VALU_DEP_1)
	v_add_nc_u32_e32 v8, v13, v8
	v_ashrrev_i32_e32 v8, 5, v8
.LBB2_4826:                             ;   in Loop: Header=BB2_4704 Depth=3
	s_or_b32 exec_lo, exec_lo, s44
	s_delay_alu instid0(SALU_CYCLE_1)
	s_and_b32 s15, s15, exec_lo
.LBB2_4827:                             ;   in Loop: Header=BB2_4704 Depth=3
	s_or_b32 exec_lo, exec_lo, s14
	s_and_saveexec_b32 s13, s15
	s_cbranch_execz .LBB2_4836
.LBB2_4828:                             ;   in Loop: Header=BB2_4704 Depth=3
	v_ashrrev_i32_e32 v9, 31, v11
	s_mov_b32 s14, exec_lo
	s_delay_alu instid0(VALU_DEP_1) | instskip(NEXT) | instid1(VALU_DEP_1)
	v_lshrrev_b32_e32 v9, 24, v9
	v_add_nc_u32_e32 v9, v11, v9
	s_delay_alu instid0(VALU_DEP_1) | instskip(SKIP_1) | instid1(VALU_DEP_1)
	v_ashrrev_i32_e32 v119, 8, v9
	v_ashrrev_i32_e32 v9, 31, v13
	v_dual_lshrrev_b32 v118, 27, v9 :: v_dual_sub_nc_u32 v15, v119, v8
	s_delay_alu instid0(VALU_DEP_1)
	v_cmpx_lt_i32_e32 0, v15
	s_cbranch_execz .LBB2_4832
; %bb.4829:                             ;   in Loop: Header=BB2_4704 Depth=3
	s_delay_alu instid0(VALU_DEP_2) | instskip(SKIP_1) | instid1(VALU_DEP_1)
	v_dual_add_nc_u32 v9, v13, v118 :: v_dual_lshlrev_b32 v8, 8, v8
	s_mov_b32 s15, 0
	v_and_b32_e32 v9, 0xffffffe0, v9
	s_delay_alu instid0(VALU_DEP_1) | instskip(NEXT) | instid1(VALU_DEP_1)
	v_sub_nc_u32_e32 v9, v13, v9
	v_add3_u32 v8, v10, v9, v8
	s_delay_alu instid0(VALU_DEP_1)
	v_ashrrev_i32_e32 v9, 31, v8
.LBB2_4830:                             ;   Parent Loop BB2_47 Depth=1
                                        ;     Parent Loop BB2_4701 Depth=2
                                        ;       Parent Loop BB2_4704 Depth=3
                                        ; =>      This Inner Loop Header: Depth=4
	s_delay_alu instid0(VALU_DEP_1)
	v_add_nc_u64_e32 v[18:19], v[8:9], v[114:115]
	v_sub_nc_u32_e32 v15, v15, v36
	v_add_nc_u64_e32 v[114:115], v[114:115], v[68:69]
	s_clause 0x7
	flat_load_u8 v40, v[18:19] th:TH_LOAD_NT
	flat_load_u8 v41, v[18:19] offset:32 th:TH_LOAD_NT
	flat_load_u8 v42, v[18:19] offset:64 th:TH_LOAD_NT
	;; [unrolled: 1-line block ×7, first 2 shown]
	s_wait_xcnt 0x0
	v_add_nc_u64_e32 v[18:19], v[8:9], v[116:117]
	v_add_nc_u64_e32 v[116:117], v[116:117], v[68:69]
	v_cmp_gt_i32_e32 vcc_lo, 1, v15
	s_wait_loadcnt_dscnt 0x707
	flat_store_b8 v[18:19], v40 th:TH_STORE_NT
	s_wait_loadcnt_dscnt 0x607
	flat_store_b8 v[18:19], v41 offset:32 th:TH_STORE_NT
	s_wait_loadcnt_dscnt 0x507
	flat_store_b8 v[18:19], v42 offset:64 th:TH_STORE_NT
	;; [unrolled: 2-line block ×7, first 2 shown]
	s_or_b32 s15, vcc_lo, s15
	s_wait_xcnt 0x0
	s_and_not1_b32 exec_lo, exec_lo, s15
	s_cbranch_execnz .LBB2_4830
; %bb.4831:                             ;   in Loop: Header=BB2_4704 Depth=3
	s_or_b32 exec_lo, exec_lo, s15
.LBB2_4832:                             ;   in Loop: Header=BB2_4704 Depth=3
	s_delay_alu instid0(SALU_CYCLE_1) | instskip(SKIP_1) | instid1(VALU_DEP_1)
	s_or_b32 exec_lo, exec_lo, s14
	v_lshlrev_b32_e32 v8, 8, v119
	v_cmp_ne_u32_e32 vcc_lo, v11, v8
	s_and_b32 exec_lo, exec_lo, vcc_lo
	s_cbranch_execz .LBB2_4836
; %bb.4833:                             ;   in Loop: Header=BB2_4704 Depth=3
	v_add_nc_u32_e32 v9, v13, v118
	s_delay_alu instid0(VALU_DEP_1) | instskip(NEXT) | instid1(VALU_DEP_1)
	v_and_b32_e32 v9, 0xffffffe0, v9
	v_dual_sub_nc_u32 v9, v13, v9 :: v_dual_lshlrev_b32 v13, 5, v15
	s_delay_alu instid0(VALU_DEP_1) | instskip(NEXT) | instid1(VALU_DEP_1)
	v_sub_nc_u32_e32 v9, v9, v13
	v_add_nc_u32_e32 v15, v8, v9
	s_delay_alu instid0(VALU_DEP_1) | instskip(NEXT) | instid1(VALU_DEP_1)
	v_sub_nc_u32_e32 v13, v11, v15
	v_cmp_lt_i32_e32 vcc_lo, 0, v13
	s_and_b32 exec_lo, exec_lo, vcc_lo
	s_cbranch_execz .LBB2_4836
; %bb.4834:                             ;   in Loop: Header=BB2_4704 Depth=3
	s_trap 2
	ds_load_b64 v[8:9], v0
	v_add_nc_u32_e32 v10, v15, v10
	s_mov_b32 s14, 0
	s_delay_alu instid0(VALU_DEP_1)
	v_ashrrev_i32_e32 v11, 31, v10
.LBB2_4835:                             ;   Parent Loop BB2_47 Depth=1
                                        ;     Parent Loop BB2_4701 Depth=2
                                        ;       Parent Loop BB2_4704 Depth=3
                                        ; =>      This Inner Loop Header: Depth=4
	s_wait_dscnt 0x0
	s_delay_alu instid0(VALU_DEP_1) | instskip(SKIP_2) | instid1(VALU_DEP_2)
	v_add_nc_u64_e32 v[18:19], v[8:9], v[10:11]
	v_sub_nc_u32_e32 v13, v13, v38
	v_add_nc_u64_e32 v[10:11], v[10:11], v[38:39]
	v_cmp_gt_i32_e32 vcc_lo, 1, v13
	flat_load_u8 v15, v[18:19] th:TH_LOAD_NT
	s_or_b32 s14, vcc_lo, s14
	s_wait_loadcnt_dscnt 0x0
	flat_store_b8 v[18:19], v15 th:TH_STORE_NT
	s_wait_xcnt 0x0
	s_and_not1_b32 exec_lo, exec_lo, s14
	s_cbranch_execnz .LBB2_4835
.LBB2_4836:                             ;   in Loop: Header=BB2_4704 Depth=3
	s_or_b32 exec_lo, exec_lo, s13
.LBB2_4837:                             ;   in Loop: Header=BB2_4704 Depth=3
	v_cmp_lt_i32_e64 s13, 0, v2
	s_and_saveexec_b32 s14, s2
	s_cbranch_execz .LBB2_4856
.LBB2_4838:                             ;   in Loop: Header=BB2_4704 Depth=3
	s_and_saveexec_b32 s15, s3
	s_delay_alu instid0(SALU_CYCLE_1)
	s_xor_b32 s15, exec_lo, s15
	s_cbranch_execz .LBB2_4853
; %bb.4839:                             ;   in Loop: Header=BB2_4704 Depth=3
	s_and_saveexec_b32 s44, s6
	s_cbranch_execz .LBB2_4852
; %bb.4840:                             ;   in Loop: Header=BB2_4704 Depth=3
	s_mov_b32 s75, exec_lo
	s_mov_b32 s45, exec_lo
	v_mbcnt_lo_u32_b32 v2, s75, 0
	global_wb scope:SCOPE_DEV
	s_wait_storecnt 0x0
	s_wait_loadcnt_dscnt 0x0
	global_inv scope:SCOPE_DEV
	v_cmpx_eq_u32_e32 0, v2
	s_cbranch_execz .LBB2_4842
; %bb.4841:                             ;   in Loop: Header=BB2_4704 Depth=3
	s_bcnt1_i32_b32 s75, s75
	s_delay_alu instid0(SALU_CYCLE_1)
	v_mov_b32_e32 v2, s75
	s_wait_loadcnt 0x0
	ds_add_u64 v0, v[2:3]
	s_trap 2
.LBB2_4842:                             ;   in Loop: Header=BB2_4704 Depth=3
	s_or_b32 exec_lo, exec_lo, s45
	s_trap 2
	ds_load_b64 v[8:9], v0
	s_wait_dscnt 0x0
	v_add_nc_u64_e32 v[32:33], v[32:33], v[36:37]
	s_mov_b32 s45, exec_lo
	s_delay_alu instid0(VALU_DEP_1)
	v_cmpx_lt_u64_e64 v[8:9], v[32:33]
	s_cbranch_execz .LBB2_4851
; %bb.4843:                             ;   in Loop: Header=BB2_4704 Depth=3
	s_mov_b32 s75, 0
	s_mov_b32 s78, 0
                                        ; implicit-def: $sgpr76
                                        ; implicit-def: $sgpr77
	s_branch .LBB2_4845
.LBB2_4844:                             ;   in Loop: Header=BB2_4845 Depth=4
	s_or_b32 exec_lo, exec_lo, s88
	s_delay_alu instid0(SALU_CYCLE_1) | instskip(NEXT) | instid1(SALU_CYCLE_1)
	s_and_b32 s79, exec_lo, s89
	s_or_b32 s75, s79, s75
	s_and_not1_b32 s76, s76, exec_lo
	s_and_b32 s79, s77, exec_lo
	s_delay_alu instid0(SALU_CYCLE_1)
	s_or_b32 s76, s76, s79
	s_and_not1_b32 exec_lo, exec_lo, s75
	s_cbranch_execz .LBB2_4849
.LBB2_4845:                             ;   Parent Loop BB2_47 Depth=1
                                        ;     Parent Loop BB2_4701 Depth=2
                                        ;       Parent Loop BB2_4704 Depth=3
                                        ; =>      This Inner Loop Header: Depth=4
	s_add_co_i32 s78, s78, 1
	s_delay_alu instid0(SALU_CYCLE_1) | instskip(SKIP_1) | instid1(SALU_CYCLE_1)
	s_cmp_lg_u32 s78, 0x2710
	s_cselect_b32 s79, -1, 0
	s_and_b32 vcc_lo, exec_lo, s79
	s_cbranch_vccz .LBB2_4847
; %bb.4846:                             ;   in Loop: Header=BB2_4845 Depth=4
	s_mov_b32 s89, -1
	s_or_b32 s77, s77, exec_lo
	s_and_saveexec_b32 s88, s79
	s_cbranch_execz .LBB2_4844
	s_branch .LBB2_4848
.LBB2_4847:                             ;   in Loop: Header=BB2_4845 Depth=4
	s_trap 2
	ds_load_b64 v[8:9], v0
	s_and_not1_b32 s79, s79, exec_lo
	s_mov_b32 s78, 0
	s_wait_loadcnt_dscnt 0x0
	flat_load_b32 v2, v[8:9] scope:SCOPE_SYS
	s_wait_loadcnt_dscnt 0x0
	global_inv scope:SCOPE_SYS
	v_cmp_eq_u32_e32 vcc_lo, 0, v2
	s_and_b32 s88, vcc_lo, exec_lo
	s_delay_alu instid0(SALU_CYCLE_1)
	s_or_b32 s79, s79, s88
	s_mov_b32 s89, -1
	s_or_b32 s77, s77, exec_lo
	s_and_saveexec_b32 s88, s79
	s_cbranch_execz .LBB2_4844
.LBB2_4848:                             ;   in Loop: Header=BB2_4845 Depth=4
	s_sleep 1
	s_trap 2
	ds_load_b64 v[8:9], v0
	s_wait_dscnt 0x0
	s_and_not1_b32 s77, s77, exec_lo
	v_cmp_ge_u64_e32 vcc_lo, v[8:9], v[32:33]
	s_or_not1_b32 s89, vcc_lo, exec_lo
	s_branch .LBB2_4844
.LBB2_4849:                             ;   in Loop: Header=BB2_4704 Depth=3
	s_or_b32 exec_lo, exec_lo, s75
	s_and_saveexec_b32 s75, s76
	s_delay_alu instid0(SALU_CYCLE_1)
	s_xor_b32 s75, exec_lo, s75
	s_cbranch_execz .LBB2_4851
; %bb.4850:                             ;   in Loop: Header=BB2_4704 Depth=3
	ds_store_b32 v0, v75
	s_trap 2
.LBB2_4851:                             ;   in Loop: Header=BB2_4704 Depth=3
	s_or_b32 exec_lo, exec_lo, s45
	;;#ASMSTART
	s_wakeup
	;;#ASMEND
.LBB2_4852:                             ;   in Loop: Header=BB2_4704 Depth=3
	s_or_b32 exec_lo, exec_lo, s44
.LBB2_4853:                             ;   in Loop: Header=BB2_4704 Depth=3
	s_and_not1_saveexec_b32 s15, s15
	s_cbranch_execz .LBB2_4855
; %bb.4854:                             ;   in Loop: Header=BB2_4704 Depth=3
	global_wb scope:SCOPE_DEV
	s_wait_storecnt 0x0
	s_wait_loadcnt_dscnt 0x0
	global_inv scope:SCOPE_DEV
	s_barrier_signal -1
	s_barrier_wait -1
.LBB2_4855:                             ;   in Loop: Header=BB2_4704 Depth=3
	s_or_b32 exec_lo, exec_lo, s15
.LBB2_4856:                             ;   in Loop: Header=BB2_4704 Depth=3
	s_delay_alu instid0(SALU_CYCLE_1) | instskip(SKIP_2) | instid1(SALU_CYCLE_1)
	s_or_b32 exec_lo, exec_lo, s14
	v_and_b32_e32 v8, 16, v30
	s_and_saveexec_b32 s14, s7
	s_xor_b32 s14, exec_lo, s14
	s_cbranch_execz .LBB2_4860
; %bb.4857:                             ;   in Loop: Header=BB2_4704 Depth=3
	v_and_b32_e32 v2, 16, v30
	v_and_b32_e32 v8, 16, v30
	s_delay_alu instid0(VALU_DEP_2) | instskip(SKIP_1) | instid1(SALU_CYCLE_1)
	v_cmp_ne_u32_e32 vcc_lo, 0, v2
	s_and_b32 s15, vcc_lo, s13
	s_and_saveexec_b32 s13, s15
	s_cbranch_execz .LBB2_4859
; %bb.4858:                             ;   in Loop: Header=BB2_4704 Depth=3
	v_mov_b32_e32 v8, 1
	global_wb scope:SCOPE_SYS
	s_wait_storecnt 0x0
	s_wait_loadcnt_dscnt 0x0
	global_inv scope:SCOPE_SYS
.LBB2_4859:                             ;   in Loop: Header=BB2_4704 Depth=3
	s_or_b32 exec_lo, exec_lo, s13
.LBB2_4860:                             ;   in Loop: Header=BB2_4704 Depth=3
	s_and_not1_saveexec_b32 s13, s14
	s_cbranch_execz .LBB2_4879
; %bb.4861:                             ;   in Loop: Header=BB2_4704 Depth=3
	s_and_saveexec_b32 s14, s3
	s_delay_alu instid0(SALU_CYCLE_1)
	s_xor_b32 s14, exec_lo, s14
	s_cbranch_execz .LBB2_4876
; %bb.4862:                             ;   in Loop: Header=BB2_4704 Depth=3
	s_and_saveexec_b32 s15, s6
	s_cbranch_execz .LBB2_4875
; %bb.4863:                             ;   in Loop: Header=BB2_4704 Depth=3
	s_mov_b32 s45, exec_lo
	s_mov_b32 s44, exec_lo
	v_mbcnt_lo_u32_b32 v2, s45, 0
	;;#ASMSTART
	s_waitcnt lgkmcnt(0) vmcnt(0)
	;;#ASMEND
	s_delay_alu instid0(VALU_DEP_1)
	v_cmpx_eq_u32_e32 0, v2
	s_cbranch_execz .LBB2_4865
; %bb.4864:                             ;   in Loop: Header=BB2_4704 Depth=3
	s_bcnt1_i32_b32 s45, s45
	s_delay_alu instid0(SALU_CYCLE_1)
	v_mov_b32_e32 v2, s45
	s_wait_storecnt 0x0
	s_wait_loadcnt_dscnt 0x0
	ds_add_u64 v0, v[2:3]
	s_trap 2
.LBB2_4865:                             ;   in Loop: Header=BB2_4704 Depth=3
	s_or_b32 exec_lo, exec_lo, s44
	s_trap 2
	ds_load_b64 v[10:11], v0
	s_wait_dscnt 0x0
	v_add_nc_u64_e32 v[32:33], v[32:33], v[36:37]
	s_mov_b32 s44, exec_lo
	s_delay_alu instid0(VALU_DEP_1)
	v_cmpx_lt_u64_e64 v[10:11], v[32:33]
	s_cbranch_execz .LBB2_4874
; %bb.4866:                             ;   in Loop: Header=BB2_4704 Depth=3
	s_mov_b32 s45, 0
	s_mov_b32 s77, 0
                                        ; implicit-def: $sgpr75
                                        ; implicit-def: $sgpr76
	s_branch .LBB2_4868
.LBB2_4867:                             ;   in Loop: Header=BB2_4868 Depth=4
	s_or_b32 exec_lo, exec_lo, s79
	s_delay_alu instid0(SALU_CYCLE_1) | instskip(NEXT) | instid1(SALU_CYCLE_1)
	s_and_b32 s78, exec_lo, s88
	s_or_b32 s45, s78, s45
	s_and_not1_b32 s75, s75, exec_lo
	s_and_b32 s78, s76, exec_lo
	s_delay_alu instid0(SALU_CYCLE_1)
	s_or_b32 s75, s75, s78
	s_and_not1_b32 exec_lo, exec_lo, s45
	s_cbranch_execz .LBB2_4872
.LBB2_4868:                             ;   Parent Loop BB2_47 Depth=1
                                        ;     Parent Loop BB2_4701 Depth=2
                                        ;       Parent Loop BB2_4704 Depth=3
                                        ; =>      This Inner Loop Header: Depth=4
	s_add_co_i32 s77, s77, 1
	s_delay_alu instid0(SALU_CYCLE_1) | instskip(SKIP_1) | instid1(SALU_CYCLE_1)
	s_cmp_lg_u32 s77, 0x2710
	s_cselect_b32 s78, -1, 0
	s_and_b32 vcc_lo, exec_lo, s78
	s_cbranch_vccz .LBB2_4870
; %bb.4869:                             ;   in Loop: Header=BB2_4868 Depth=4
	s_mov_b32 s88, -1
	s_or_b32 s76, s76, exec_lo
	s_and_saveexec_b32 s79, s78
	s_cbranch_execz .LBB2_4867
	s_branch .LBB2_4871
.LBB2_4870:                             ;   in Loop: Header=BB2_4868 Depth=4
	s_trap 2
	ds_load_b64 v[10:11], v0
	s_and_not1_b32 s78, s78, exec_lo
	s_mov_b32 s77, 0
	s_wait_storecnt 0x0
	s_wait_loadcnt_dscnt 0x0
	flat_load_b32 v2, v[10:11] scope:SCOPE_SYS
	s_wait_loadcnt_dscnt 0x0
	global_inv scope:SCOPE_SYS
	v_cmp_eq_u32_e32 vcc_lo, 0, v2
	s_and_b32 s79, vcc_lo, exec_lo
	s_delay_alu instid0(SALU_CYCLE_1)
	s_or_b32 s78, s78, s79
	s_mov_b32 s88, -1
	s_or_b32 s76, s76, exec_lo
	s_and_saveexec_b32 s79, s78
	s_cbranch_execz .LBB2_4867
.LBB2_4871:                             ;   in Loop: Header=BB2_4868 Depth=4
	s_sleep 1
	s_trap 2
	ds_load_b64 v[10:11], v0
	s_wait_dscnt 0x0
	s_and_not1_b32 s76, s76, exec_lo
	v_cmp_ge_u64_e32 vcc_lo, v[10:11], v[32:33]
	s_or_not1_b32 s88, vcc_lo, exec_lo
	s_branch .LBB2_4867
.LBB2_4872:                             ;   in Loop: Header=BB2_4704 Depth=3
	s_or_b32 exec_lo, exec_lo, s45
	s_and_saveexec_b32 s45, s75
	s_delay_alu instid0(SALU_CYCLE_1)
	s_xor_b32 s45, exec_lo, s45
	s_cbranch_execz .LBB2_4874
; %bb.4873:                             ;   in Loop: Header=BB2_4704 Depth=3
	ds_store_b32 v0, v75
	s_trap 2
.LBB2_4874:                             ;   in Loop: Header=BB2_4704 Depth=3
	s_or_b32 exec_lo, exec_lo, s44
	;;#ASMSTART
	s_wakeup
	;;#ASMEND
.LBB2_4875:                             ;   in Loop: Header=BB2_4704 Depth=3
	s_or_b32 exec_lo, exec_lo, s15
.LBB2_4876:                             ;   in Loop: Header=BB2_4704 Depth=3
	s_and_not1_saveexec_b32 s14, s14
	s_cbranch_execz .LBB2_4878
; %bb.4877:                             ;   in Loop: Header=BB2_4704 Depth=3
	;;#ASMSTART
	s_waitcnt lgkmcnt(0) vmcnt(0)
	;;#ASMEND
	s_barrier_signal -1
	s_barrier_wait -1
.LBB2_4878:                             ;   in Loop: Header=BB2_4704 Depth=3
	s_or_b32 exec_lo, exec_lo, s14
.LBB2_4879:                             ;   in Loop: Header=BB2_4704 Depth=3
	s_delay_alu instid0(SALU_CYCLE_1) | instskip(SKIP_2) | instid1(SALU_CYCLE_1)
	s_or_b32 exec_lo, exec_lo, s13
	v_cmp_ne_u32_e32 vcc_lo, 0, v8
	s_xor_b32 s13, s4, -1
	s_and_b32 s14, vcc_lo, s13
	s_delay_alu instid0(SALU_CYCLE_1)
	s_and_saveexec_b32 s13, s14
	s_cbranch_execz .LBB2_4881
; %bb.4880:                             ;   in Loop: Header=BB2_4704 Depth=3
	global_wb scope:SCOPE_SYS
	s_wait_storecnt 0x0
	s_wait_loadcnt_dscnt 0x0
	flat_store_b32 v[28:29], v75 scope:SCOPE_SYS
.LBB2_4881:                             ;   in Loop: Header=BB2_4704 Depth=3
	s_wait_xcnt 0x0
	s_or_b32 exec_lo, exec_lo, s13
	v_and_b32_e32 v2, 48, v30
	s_mov_b32 s13, exec_lo
	s_delay_alu instid0(VALU_DEP_1)
	v_cmpx_ne_u32_e32 0, v2
	s_cbranch_execz .LBB2_4703
; %bb.4882:                             ;   in Loop: Header=BB2_4704 Depth=3
	v_add_nc_u64_e32 v[98:99], 2, v[98:99]
	global_wb scope:SCOPE_SYS
	s_wait_storecnt 0x0
	s_wait_loadcnt_dscnt 0x0
	flat_store_b64 v[22:23], v[98:99] scope:SCOPE_SYS
	s_branch .LBB2_4703
.LBB2_4883:                             ;   in Loop: Header=BB2_4701 Depth=2
	s_or_b32 exec_lo, exec_lo, s72
.LBB2_4884:                             ;   in Loop: Header=BB2_4701 Depth=2
	s_delay_alu instid0(SALU_CYCLE_1) | instskip(NEXT) | instid1(SALU_CYCLE_1)
	s_or_b32 exec_lo, exec_lo, s41
	s_mov_b32 s14, exec_lo
	v_cmpx_gt_i32_e32 2, v2
	s_cbranch_execz .LBB2_4960
; %bb.4885:                             ;   in Loop: Header=BB2_4701 Depth=2
	v_cmp_eq_u32_e64 s41, 0, v2
	s_mov_b32 s15, 0
	s_branch .LBB2_4887
.LBB2_4886:                             ;   in Loop: Header=BB2_4887 Depth=3
	s_wait_xcnt 0x0
	s_or_b32 exec_lo, exec_lo, s13
	v_add_nc_u32_e32 v14, v12, v14
	s_mov_b32 s41, 0
	s_and_not1_b32 exec_lo, exec_lo, s15
	s_cbranch_execz .LBB2_4959
.LBB2_4887:                             ;   Parent Loop BB2_47 Depth=1
                                        ;     Parent Loop BB2_4701 Depth=2
                                        ; =>    This Loop Header: Depth=3
                                        ;         Child Loop BB2_4893 Depth 4
                                        ;         Child Loop BB2_4921 Depth 4
                                        ;         Child Loop BB2_4944 Depth 4
	s_delay_alu instid0(VALU_DEP_1) | instskip(SKIP_2) | instid1(VALU_DEP_2)
	v_sub_nc_u32_e32 v2, v46, v14
	v_and_b32_e32 v8, 12, v30
	s_mov_b32 s44, exec_lo
	v_min_i32_e32 v12, v12, v2
	s_delay_alu instid0(VALU_DEP_2)
	v_cmpx_ne_u32_e32 0, v8
	s_cbranch_execz .LBB2_4913
; %bb.4888:                             ;   in Loop: Header=BB2_4887 Depth=3
	v_and_b32_e32 v2, 8, v30
	v_add_nc_u64_e32 v[8:9], 2, v[98:99]
	s_mov_b32 s45, exec_lo
	s_wait_loadcnt_dscnt 0x1
	s_delay_alu instid0(VALU_DEP_2) | instskip(NEXT) | instid1(VALU_DEP_1)
	v_add_nc_u64_e32 v[10:11], v[34:35], v[2:3]
	v_cmpx_lt_u64_e64 v[10:11], v[8:9]
	s_cbranch_execz .LBB2_4900
; %bb.4889:                             ;   in Loop: Header=BB2_4887 Depth=3
	v_and_b32_e32 v10, 64, v30
	s_mov_b32 s72, 0
	s_mov_b32 s76, 0
                                        ; implicit-def: $sgpr73
                                        ; implicit-def: $sgpr74
                                        ; implicit-def: $sgpr75
	s_delay_alu instid0(VALU_DEP_1)
	v_cmp_eq_u32_e32 vcc_lo, 0, v10
	s_branch .LBB2_4893
.LBB2_4890:                             ;   in Loop: Header=BB2_4893 Depth=4
	s_wait_loadcnt_dscnt 0x0
	v_add_nc_u64_e32 v[18:19], v[34:35], v[2:3]
	s_or_b32 s79, s79, exec_lo
	s_delay_alu instid0(VALU_DEP_1)
	v_cmp_ge_u64_e64 s13, v[18:19], v[8:9]
	s_or_not1_b32 s78, s13, exec_lo
.LBB2_4891:                             ;   in Loop: Header=BB2_4893 Depth=4
	s_or_b32 exec_lo, exec_lo, s89
	s_delay_alu instid0(SALU_CYCLE_1)
	s_and_not1_b32 s13, s75, exec_lo
	s_and_b32 s75, s79, exec_lo
	s_and_not1_b32 s74, s74, exec_lo
	s_and_b32 s78, s78, exec_lo
	s_or_b32 s75, s13, s75
	s_or_b32 s74, s74, s78
.LBB2_4892:                             ;   in Loop: Header=BB2_4893 Depth=4
	s_or_b32 exec_lo, exec_lo, s77
	s_delay_alu instid0(SALU_CYCLE_1) | instskip(NEXT) | instid1(SALU_CYCLE_1)
	s_and_b32 s13, exec_lo, s74
	s_or_b32 s72, s13, s72
	s_and_not1_b32 s13, s73, exec_lo
	s_and_b32 s73, s75, exec_lo
	s_delay_alu instid0(SALU_CYCLE_1)
	s_or_b32 s73, s13, s73
	s_and_not1_b32 exec_lo, exec_lo, s72
	s_cbranch_execz .LBB2_4897
.LBB2_4893:                             ;   Parent Loop BB2_47 Depth=1
                                        ;     Parent Loop BB2_4701 Depth=2
                                        ;       Parent Loop BB2_4887 Depth=3
                                        ; =>      This Inner Loop Header: Depth=4
	s_sleep 1
	s_wait_loadcnt_dscnt 0x0
	flat_load_b64 v[34:35], v[22:23] scope:SCOPE_SYS
	s_or_b32 s75, s75, exec_lo
	s_or_b32 s74, s74, exec_lo
                                        ; implicit-def: $vgpr10
	s_wait_xcnt 0x0
	s_and_saveexec_b32 s77, vcc_lo
	s_cbranch_execz .LBB2_4892
; %bb.4894:                             ;   in Loop: Header=BB2_4893 Depth=4
	s_cmp_lt_i32 s76, 0x270f
	s_mov_b32 s78, -1
	s_cselect_b32 s88, -1, 0
	s_cmp_gt_i32 s76, 0x270e
	s_cbranch_scc0 .LBB2_4896
; %bb.4895:                             ;   in Loop: Header=BB2_4893 Depth=4
	s_trap 2
	ds_load_b64 v[10:11], v0
	s_and_not1_b32 s76, s88, exec_lo
	s_mov_b32 s79, 0
	s_wait_storecnt 0x0
	s_wait_loadcnt_dscnt 0x0
	flat_load_b32 v10, v[10:11] scope:SCOPE_SYS
	s_wait_loadcnt_dscnt 0x0
	global_inv scope:SCOPE_SYS
	v_cmp_eq_u32_e64 s13, 0, v10
	s_and_b32 s13, s13, exec_lo
	s_delay_alu instid0(SALU_CYCLE_1)
	s_or_b32 s88, s76, s13
	s_mov_b32 s76, 0
	s_and_saveexec_b32 s89, s88
	s_cbranch_execz .LBB2_4891
	s_branch .LBB2_4890
.LBB2_4896:                             ;   in Loop: Header=BB2_4893 Depth=4
	s_add_co_i32 s76, s76, 1
	s_mov_b32 s79, -1
                                        ; implicit-def: $vgpr10
	s_and_saveexec_b32 s89, s88
	s_cbranch_execz .LBB2_4891
	s_branch .LBB2_4890
.LBB2_4897:                             ;   in Loop: Header=BB2_4887 Depth=3
	s_or_b32 exec_lo, exec_lo, s72
	s_xor_b32 s13, s73, -1
	s_delay_alu instid0(SALU_CYCLE_1) | instskip(NEXT) | instid1(SALU_CYCLE_1)
	s_and_saveexec_b32 s72, s13
	s_xor_b32 s13, exec_lo, s72
	s_cbranch_execz .LBB2_4899
; %bb.4898:                             ;   in Loop: Header=BB2_4887 Depth=3
	v_or_b32_e32 v30, 64, v30
	s_wait_storecnt 0x0
	s_wait_loadcnt_dscnt 0x0
	ds_store_b32 v0, v10
	s_trap 2
.LBB2_4899:                             ;   in Loop: Header=BB2_4887 Depth=3
	s_or_b32 exec_lo, exec_lo, s13
.LBB2_4900:                             ;   in Loop: Header=BB2_4887 Depth=3
	s_delay_alu instid0(SALU_CYCLE_1) | instskip(SKIP_2) | instid1(VALU_DEP_1)
	s_or_b32 exec_lo, exec_lo, s45
	v_and_b32_e32 v10, 0x108, v30
	;;#ASMSTART
	s_wakeup
	;;#ASMEND
	v_cmp_ne_u32_e32 vcc_lo, 0x108, v10
                                        ; implicit-def: $vgpr10_vgpr11
	s_and_saveexec_b32 s13, vcc_lo
	s_delay_alu instid0(SALU_CYCLE_1)
	s_xor_b32 s13, exec_lo, s13
; %bb.4901:                             ;   in Loop: Header=BB2_4887 Depth=3
	v_dual_mov_b32 v11, v3 :: v_dual_bitop2_b32 v10, 7, v98 bitop3:0x40
                                        ; implicit-def: $vgpr98_vgpr99
; %bb.4902:                             ;   in Loop: Header=BB2_4887 Depth=3
	s_and_not1_saveexec_b32 s13, s13
	s_cbranch_execz .LBB2_4904
; %bb.4903:                             ;   in Loop: Header=BB2_4887 Depth=3
	v_dual_ashrrev_i32 v13, 31, v12 :: v_dual_bitop2_b32 v10, 7, v98 bitop3:0x40
	v_mov_b32_e32 v11, v3
	s_delay_alu instid0(VALU_DEP_2)
	v_mad_nc_u64_u32 v[18:19], v10, 24, v[6:7]
	flat_store_b64 v[18:19], v[12:13] offset:8
.LBB2_4904:                             ;   in Loop: Header=BB2_4887 Depth=3
	s_wait_xcnt 0x0
	s_or_b32 exec_lo, exec_lo, s13
	v_and_b32_e32 v13, 0x100, v30
	s_mov_b32 s13, -1
	s_mov_b32 s45, exec_lo
                                        ; implicit-def: $vgpr98_vgpr99
	s_delay_alu instid0(VALU_DEP_1)
	v_cmpx_ne_u32_e32 0, v13
	s_cbranch_execz .LBB2_4908
; %bb.4905:                             ;   in Loop: Header=BB2_4887 Depth=3
	v_mad_nc_u64_u32 v[112:113], v10, 24, v[6:7]
	s_mov_b32 s72, exec_lo
                                        ; implicit-def: $vgpr98_vgpr99
	s_delay_alu instid0(VALU_DEP_1)
	v_mad_u32 v113, v11, 24, v113
	flat_load_b32 v13, v[112:113]
	s_wait_loadcnt_dscnt 0x0
	v_cmp_ne_u32_e32 vcc_lo, 1, v13
	s_wait_xcnt 0x0
	v_cmpx_eq_u32_e32 1, v13
	s_cbranch_execz .LBB2_4907
; %bb.4906:                             ;   in Loop: Header=BB2_4887 Depth=3
	flat_load_b32 v98, v[112:113] offset:4 scope:SCOPE_SYS
	s_wait_loadcnt_dscnt 0x0
	v_ashrrev_i32_e32 v99, 31, v98
.LBB2_4907:                             ;   in Loop: Header=BB2_4887 Depth=3
	s_wait_xcnt 0x0
	s_or_b32 exec_lo, exec_lo, s72
	s_delay_alu instid0(SALU_CYCLE_1)
	s_or_not1_b32 s13, vcc_lo, exec_lo
.LBB2_4908:                             ;   in Loop: Header=BB2_4887 Depth=3
	s_or_b32 exec_lo, exec_lo, s45
	s_and_saveexec_b32 s45, s13
; %bb.4909:                             ;   in Loop: Header=BB2_4887 Depth=3
	v_mul_u64_e32 v[98:99], v[10:11], v[24:25]
; %bb.4910:                             ;   in Loop: Header=BB2_4887 Depth=3
	s_or_b32 exec_lo, exec_lo, s45
	v_cmp_eq_u32_e32 vcc_lo, 0, v2
	s_delay_alu instid0(VALU_DEP_2) | instskip(SKIP_3) | instid1(VALU_DEP_1)
	v_add_nc_u64_e32 v[10:11], v[26:27], v[98:99]
	v_and_b32_e32 v13, 0x2000, v30
	s_mov_b32 s13, exec_lo
	v_cndmask_b32_e32 v2, 0xd0, v78, vcc_lo
	v_add_nc_u32_e32 v2, v0, v2
	ds_store_b64 v2, v[10:11] offset:584
	v_cmpx_ne_u32_e32 0, v13
	s_cbranch_execz .LBB2_4912
; %bb.4911:                             ;   in Loop: Header=BB2_4887 Depth=3
	ds_load_b64 v[10:11], v0 offset:872
	s_wait_dscnt 0x0
	v_add_nc_u64_e32 v[10:11], 1, v[10:11]
	ds_store_b64 v0, v[10:11] offset:872
.LBB2_4912:                             ;   in Loop: Header=BB2_4887 Depth=3
	s_or_b32 exec_lo, exec_lo, s13
	v_mov_b64_e32 v[98:99], v[8:9]
.LBB2_4913:                             ;   in Loop: Header=BB2_4887 Depth=3
	s_or_b32 exec_lo, exec_lo, s44
	s_xor_b32 s13, s41, -1
	s_delay_alu instid0(SALU_CYCLE_1) | instskip(NEXT) | instid1(SALU_CYCLE_1)
	s_and_b32 s13, exec_lo, s13
	s_or_b32 s15, s13, s15
	s_and_saveexec_b32 s13, s2
	s_cbranch_execz .LBB2_4932
; %bb.4914:                             ;   in Loop: Header=BB2_4887 Depth=3
	s_and_saveexec_b32 s41, s3
	s_delay_alu instid0(SALU_CYCLE_1)
	s_xor_b32 s41, exec_lo, s41
	s_cbranch_execz .LBB2_4929
; %bb.4915:                             ;   in Loop: Header=BB2_4887 Depth=3
	s_and_saveexec_b32 s44, s6
	s_cbranch_execz .LBB2_4928
; %bb.4916:                             ;   in Loop: Header=BB2_4887 Depth=3
	s_mov_b32 s72, exec_lo
	s_mov_b32 s45, exec_lo
	v_mbcnt_lo_u32_b32 v2, s72, 0
	global_wb scope:SCOPE_DEV
	s_wait_storecnt 0x0
	s_wait_loadcnt_dscnt 0x0
	global_inv scope:SCOPE_DEV
	v_cmpx_eq_u32_e32 0, v2
	s_cbranch_execz .LBB2_4918
; %bb.4917:                             ;   in Loop: Header=BB2_4887 Depth=3
	s_bcnt1_i32_b32 s72, s72
	s_delay_alu instid0(SALU_CYCLE_1)
	v_mov_b32_e32 v2, s72
	s_wait_loadcnt 0x0
	ds_add_u64 v0, v[2:3]
	s_trap 2
.LBB2_4918:                             ;   in Loop: Header=BB2_4887 Depth=3
	s_or_b32 exec_lo, exec_lo, s45
	s_trap 2
	ds_load_b64 v[8:9], v0
	s_wait_dscnt 0x0
	v_add_nc_u64_e32 v[32:33], v[32:33], v[36:37]
	s_mov_b32 s45, exec_lo
	s_delay_alu instid0(VALU_DEP_1)
	v_cmpx_lt_u64_e64 v[8:9], v[32:33]
	s_cbranch_execz .LBB2_4927
; %bb.4919:                             ;   in Loop: Header=BB2_4887 Depth=3
	s_mov_b32 s72, 0
	s_mov_b32 s75, 0
                                        ; implicit-def: $sgpr73
                                        ; implicit-def: $sgpr74
	s_branch .LBB2_4921
.LBB2_4920:                             ;   in Loop: Header=BB2_4921 Depth=4
	s_or_b32 exec_lo, exec_lo, s77
	s_delay_alu instid0(SALU_CYCLE_1) | instskip(NEXT) | instid1(SALU_CYCLE_1)
	s_and_b32 s76, exec_lo, s78
	s_or_b32 s72, s76, s72
	s_and_not1_b32 s73, s73, exec_lo
	s_and_b32 s76, s74, exec_lo
	s_delay_alu instid0(SALU_CYCLE_1)
	s_or_b32 s73, s73, s76
	s_and_not1_b32 exec_lo, exec_lo, s72
	s_cbranch_execz .LBB2_4925
.LBB2_4921:                             ;   Parent Loop BB2_47 Depth=1
                                        ;     Parent Loop BB2_4701 Depth=2
                                        ;       Parent Loop BB2_4887 Depth=3
                                        ; =>      This Inner Loop Header: Depth=4
	s_add_co_i32 s75, s75, 1
	s_delay_alu instid0(SALU_CYCLE_1) | instskip(SKIP_1) | instid1(SALU_CYCLE_1)
	s_cmp_lg_u32 s75, 0x2710
	s_cselect_b32 s76, -1, 0
	s_and_b32 vcc_lo, exec_lo, s76
	s_cbranch_vccz .LBB2_4923
; %bb.4922:                             ;   in Loop: Header=BB2_4921 Depth=4
	s_mov_b32 s78, -1
	s_or_b32 s74, s74, exec_lo
	s_and_saveexec_b32 s77, s76
	s_cbranch_execz .LBB2_4920
	s_branch .LBB2_4924
.LBB2_4923:                             ;   in Loop: Header=BB2_4921 Depth=4
	s_trap 2
	ds_load_b64 v[8:9], v0
	s_and_not1_b32 s76, s76, exec_lo
	s_mov_b32 s75, 0
	s_wait_loadcnt_dscnt 0x0
	flat_load_b32 v2, v[8:9] scope:SCOPE_SYS
	s_wait_loadcnt_dscnt 0x0
	global_inv scope:SCOPE_SYS
	v_cmp_eq_u32_e32 vcc_lo, 0, v2
	s_and_b32 s77, vcc_lo, exec_lo
	s_delay_alu instid0(SALU_CYCLE_1)
	s_or_b32 s76, s76, s77
	s_mov_b32 s78, -1
	s_or_b32 s74, s74, exec_lo
	s_and_saveexec_b32 s77, s76
	s_cbranch_execz .LBB2_4920
.LBB2_4924:                             ;   in Loop: Header=BB2_4921 Depth=4
	s_sleep 1
	s_trap 2
	ds_load_b64 v[8:9], v0
	s_wait_dscnt 0x0
	s_and_not1_b32 s74, s74, exec_lo
	v_cmp_ge_u64_e32 vcc_lo, v[8:9], v[32:33]
	s_or_not1_b32 s78, vcc_lo, exec_lo
	s_branch .LBB2_4920
.LBB2_4925:                             ;   in Loop: Header=BB2_4887 Depth=3
	s_or_b32 exec_lo, exec_lo, s72
	s_and_saveexec_b32 s72, s73
	s_delay_alu instid0(SALU_CYCLE_1)
	s_xor_b32 s72, exec_lo, s72
	s_cbranch_execz .LBB2_4927
; %bb.4926:                             ;   in Loop: Header=BB2_4887 Depth=3
	ds_store_b32 v0, v75
	s_trap 2
.LBB2_4927:                             ;   in Loop: Header=BB2_4887 Depth=3
	s_or_b32 exec_lo, exec_lo, s45
	;;#ASMSTART
	s_wakeup
	;;#ASMEND
.LBB2_4928:                             ;   in Loop: Header=BB2_4887 Depth=3
	s_or_b32 exec_lo, exec_lo, s44
.LBB2_4929:                             ;   in Loop: Header=BB2_4887 Depth=3
	s_and_not1_saveexec_b32 s41, s41
	s_cbranch_execz .LBB2_4931
; %bb.4930:                             ;   in Loop: Header=BB2_4887 Depth=3
	global_wb scope:SCOPE_DEV
	s_wait_storecnt 0x0
	s_wait_loadcnt_dscnt 0x0
	global_inv scope:SCOPE_DEV
	s_barrier_signal -1
	s_barrier_wait -1
.LBB2_4931:                             ;   in Loop: Header=BB2_4887 Depth=3
	s_or_b32 exec_lo, exec_lo, s41
.LBB2_4932:                             ;   in Loop: Header=BB2_4887 Depth=3
	s_delay_alu instid0(SALU_CYCLE_1) | instskip(SKIP_2) | instid1(SALU_CYCLE_1)
	s_or_b32 exec_lo, exec_lo, s13
	v_and_b32_e32 v8, 16, v30
	s_and_saveexec_b32 s13, s7
	s_xor_b32 s41, exec_lo, s13
	s_cbranch_execz .LBB2_4936
; %bb.4933:                             ;   in Loop: Header=BB2_4887 Depth=3
	s_trap 2
	ds_load_b32 v2, v0
	v_cmp_lt_i32_e32 vcc_lo, 0, v12
	v_and_b32_e32 v8, 16, v30
	s_wait_dscnt 0x0
	v_readfirstlane_b32 s13, v2
	v_and_b32_e32 v2, 16, v30
	s_cmp_eq_u32 s13, 0
	s_delay_alu instid0(VALU_DEP_1) | instskip(SKIP_1) | instid1(SALU_CYCLE_1)
	v_cmp_ne_u32_e64 s13, 0, v2
	s_cselect_b32 s44, -1, 0
	s_and_b32 s44, vcc_lo, s44
	s_delay_alu instid0(SALU_CYCLE_1) | instskip(NEXT) | instid1(SALU_CYCLE_1)
	s_and_b32 s44, s13, s44
	s_and_saveexec_b32 s13, s44
	s_cbranch_execz .LBB2_4935
; %bb.4934:                             ;   in Loop: Header=BB2_4887 Depth=3
	v_mov_b32_e32 v8, 1
	global_wb scope:SCOPE_SYS
	s_wait_loadcnt 0x0
	s_wait_storecnt 0x0
	global_inv scope:SCOPE_SYS
.LBB2_4935:                             ;   in Loop: Header=BB2_4887 Depth=3
	s_or_b32 exec_lo, exec_lo, s13
.LBB2_4936:                             ;   in Loop: Header=BB2_4887 Depth=3
	s_and_not1_saveexec_b32 s13, s41
	s_cbranch_execz .LBB2_4955
; %bb.4937:                             ;   in Loop: Header=BB2_4887 Depth=3
	s_and_saveexec_b32 s41, s3
	s_delay_alu instid0(SALU_CYCLE_1)
	s_xor_b32 s41, exec_lo, s41
	s_cbranch_execz .LBB2_4952
; %bb.4938:                             ;   in Loop: Header=BB2_4887 Depth=3
	s_and_saveexec_b32 s44, s6
	s_cbranch_execz .LBB2_4951
; %bb.4939:                             ;   in Loop: Header=BB2_4887 Depth=3
	s_mov_b32 s72, exec_lo
	s_mov_b32 s45, exec_lo
	v_mbcnt_lo_u32_b32 v2, s72, 0
	;;#ASMSTART
	s_waitcnt lgkmcnt(0) vmcnt(0)
	;;#ASMEND
	s_delay_alu instid0(VALU_DEP_1)
	v_cmpx_eq_u32_e32 0, v2
	s_cbranch_execz .LBB2_4941
; %bb.4940:                             ;   in Loop: Header=BB2_4887 Depth=3
	s_bcnt1_i32_b32 s72, s72
	s_delay_alu instid0(SALU_CYCLE_1)
	v_mov_b32_e32 v2, s72
	s_wait_storecnt 0x0
	s_wait_loadcnt_dscnt 0x0
	ds_add_u64 v0, v[2:3]
	s_trap 2
.LBB2_4941:                             ;   in Loop: Header=BB2_4887 Depth=3
	s_or_b32 exec_lo, exec_lo, s45
	s_trap 2
	ds_load_b64 v[10:11], v0
	s_wait_dscnt 0x0
	v_add_nc_u64_e32 v[32:33], v[32:33], v[36:37]
	s_mov_b32 s45, exec_lo
	s_delay_alu instid0(VALU_DEP_1)
	v_cmpx_lt_u64_e64 v[10:11], v[32:33]
	s_cbranch_execz .LBB2_4950
; %bb.4942:                             ;   in Loop: Header=BB2_4887 Depth=3
	s_mov_b32 s72, 0
	s_mov_b32 s75, 0
                                        ; implicit-def: $sgpr73
                                        ; implicit-def: $sgpr74
	s_branch .LBB2_4944
.LBB2_4943:                             ;   in Loop: Header=BB2_4944 Depth=4
	s_or_b32 exec_lo, exec_lo, s77
	s_delay_alu instid0(SALU_CYCLE_1) | instskip(NEXT) | instid1(SALU_CYCLE_1)
	s_and_b32 s76, exec_lo, s78
	s_or_b32 s72, s76, s72
	s_and_not1_b32 s73, s73, exec_lo
	s_and_b32 s76, s74, exec_lo
	s_delay_alu instid0(SALU_CYCLE_1)
	s_or_b32 s73, s73, s76
	s_and_not1_b32 exec_lo, exec_lo, s72
	s_cbranch_execz .LBB2_4948
.LBB2_4944:                             ;   Parent Loop BB2_47 Depth=1
                                        ;     Parent Loop BB2_4701 Depth=2
                                        ;       Parent Loop BB2_4887 Depth=3
                                        ; =>      This Inner Loop Header: Depth=4
	s_add_co_i32 s75, s75, 1
	s_delay_alu instid0(SALU_CYCLE_1) | instskip(SKIP_1) | instid1(SALU_CYCLE_1)
	s_cmp_lg_u32 s75, 0x2710
	s_cselect_b32 s76, -1, 0
	s_and_b32 vcc_lo, exec_lo, s76
	s_cbranch_vccz .LBB2_4946
; %bb.4945:                             ;   in Loop: Header=BB2_4944 Depth=4
	s_mov_b32 s78, -1
	s_or_b32 s74, s74, exec_lo
	s_and_saveexec_b32 s77, s76
	s_cbranch_execz .LBB2_4943
	s_branch .LBB2_4947
.LBB2_4946:                             ;   in Loop: Header=BB2_4944 Depth=4
	s_trap 2
	ds_load_b64 v[10:11], v0
	s_and_not1_b32 s76, s76, exec_lo
	s_mov_b32 s75, 0
	s_wait_storecnt 0x0
	s_wait_loadcnt_dscnt 0x0
	flat_load_b32 v2, v[10:11] scope:SCOPE_SYS
	s_wait_loadcnt_dscnt 0x0
	global_inv scope:SCOPE_SYS
	v_cmp_eq_u32_e32 vcc_lo, 0, v2
	s_and_b32 s77, vcc_lo, exec_lo
	s_delay_alu instid0(SALU_CYCLE_1)
	s_or_b32 s76, s76, s77
	s_mov_b32 s78, -1
	s_or_b32 s74, s74, exec_lo
	s_and_saveexec_b32 s77, s76
	s_cbranch_execz .LBB2_4943
.LBB2_4947:                             ;   in Loop: Header=BB2_4944 Depth=4
	s_sleep 1
	s_trap 2
	ds_load_b64 v[10:11], v0
	s_wait_dscnt 0x0
	s_and_not1_b32 s74, s74, exec_lo
	v_cmp_ge_u64_e32 vcc_lo, v[10:11], v[32:33]
	s_or_not1_b32 s78, vcc_lo, exec_lo
	s_branch .LBB2_4943
.LBB2_4948:                             ;   in Loop: Header=BB2_4887 Depth=3
	s_or_b32 exec_lo, exec_lo, s72
	s_and_saveexec_b32 s72, s73
	s_delay_alu instid0(SALU_CYCLE_1)
	s_xor_b32 s72, exec_lo, s72
	s_cbranch_execz .LBB2_4950
; %bb.4949:                             ;   in Loop: Header=BB2_4887 Depth=3
	ds_store_b32 v0, v75
	s_trap 2
.LBB2_4950:                             ;   in Loop: Header=BB2_4887 Depth=3
	s_or_b32 exec_lo, exec_lo, s45
	;;#ASMSTART
	s_wakeup
	;;#ASMEND
.LBB2_4951:                             ;   in Loop: Header=BB2_4887 Depth=3
	s_or_b32 exec_lo, exec_lo, s44
.LBB2_4952:                             ;   in Loop: Header=BB2_4887 Depth=3
	s_and_not1_saveexec_b32 s41, s41
	s_cbranch_execz .LBB2_4954
; %bb.4953:                             ;   in Loop: Header=BB2_4887 Depth=3
	;;#ASMSTART
	s_waitcnt lgkmcnt(0) vmcnt(0)
	;;#ASMEND
	s_barrier_signal -1
	s_barrier_wait -1
.LBB2_4954:                             ;   in Loop: Header=BB2_4887 Depth=3
	s_or_b32 exec_lo, exec_lo, s41
.LBB2_4955:                             ;   in Loop: Header=BB2_4887 Depth=3
	s_delay_alu instid0(SALU_CYCLE_1) | instskip(SKIP_2) | instid1(SALU_CYCLE_1)
	s_or_b32 exec_lo, exec_lo, s13
	v_cmp_ne_u32_e32 vcc_lo, 0, v8
	s_xor_b32 s13, s4, -1
	s_and_b32 s41, vcc_lo, s13
	s_delay_alu instid0(SALU_CYCLE_1)
	s_and_saveexec_b32 s13, s41
	s_cbranch_execz .LBB2_4957
; %bb.4956:                             ;   in Loop: Header=BB2_4887 Depth=3
	global_wb scope:SCOPE_SYS
	s_wait_storecnt 0x0
	s_wait_loadcnt_dscnt 0x0
	flat_store_b32 v[28:29], v75 scope:SCOPE_SYS
.LBB2_4957:                             ;   in Loop: Header=BB2_4887 Depth=3
	s_wait_xcnt 0x0
	s_or_b32 exec_lo, exec_lo, s13
	v_and_b32_e32 v2, 48, v30
	s_mov_b32 s13, exec_lo
	s_delay_alu instid0(VALU_DEP_1)
	v_cmpx_ne_u32_e32 0, v2
	s_cbranch_execz .LBB2_4886
; %bb.4958:                             ;   in Loop: Header=BB2_4887 Depth=3
	v_add_nc_u64_e32 v[98:99], 2, v[98:99]
	global_wb scope:SCOPE_SYS
	s_wait_storecnt 0x0
	s_wait_loadcnt_dscnt 0x0
	flat_store_b64 v[22:23], v[98:99] scope:SCOPE_SYS
	s_branch .LBB2_4886
.LBB2_4959:                             ;   in Loop: Header=BB2_4701 Depth=2
	s_or_b32 exec_lo, exec_lo, s15
.LBB2_4960:                             ;   in Loop: Header=BB2_4701 Depth=2
	s_delay_alu instid0(SALU_CYCLE_1)
	s_or_b32 exec_lo, exec_lo, s14
	s_add_co_i32 s13, s18, 1
	s_cmp_eq_u32 s18, s60
	s_cbranch_scc1 .LBB2_4962
; %bb.4961:                             ;   in Loop: Header=BB2_4701 Depth=2
	s_mov_b32 s18, s13
	s_branch .LBB2_4701
.LBB2_4962:                             ;   in Loop: Header=BB2_47 Depth=1
	v_mul_u64_e32 v[10:11], s[42:43], v[96:97]
	s_delay_alu instid0(VALU_DEP_1) | instskip(NEXT) | instid1(VALU_DEP_1)
	v_sub_nc_u64_e32 v[8:9], v[100:101], v[10:11]
	v_min_i64 v[8:9], v[96:97], v[8:9]
	s_delay_alu instid0(VALU_DEP_1) | instskip(SKIP_1) | instid1(VALU_DEP_2)
	v_max_i32_e32 v112, 0, v8
	v_cmp_lt_i32_e32 vcc_lo, 0, v8
	v_dual_mov_b32 v8, 0 :: v_dual_add_nc_u32 v2, 31, v112
	s_and_b32 s13, s61, vcc_lo
	s_delay_alu instid0(VALU_DEP_1) | instskip(NEXT) | instid1(VALU_DEP_1)
	v_lshrrev_b32_e32 v2, 1, v2
	v_and_b32_e32 v9, 0x3ffffff0, v2
	s_delay_alu instid0(VALU_DEP_1)
	v_dual_mov_b32 v2, 0 :: v_dual_max_i32 v113, s57, v9
	s_and_saveexec_b32 s14, s13
	s_cbranch_execz .LBB2_5102
; %bb.4963:                             ;   in Loop: Header=BB2_47 Depth=1
	v_add_nc_u64_e32 v[10:11], v[10:11], v[102:103]
	v_mov_b32_e32 v8, 0
	s_mov_b32 s41, 1
	s_mov_b32 s18, -1
	s_mov_b32 s15, 0
	s_branch .LBB2_4965
.LBB2_4964:                             ;   in Loop: Header=BB2_4965 Depth=2
	s_wait_xcnt 0x0
	s_or_b32 exec_lo, exec_lo, s13
	v_dual_add_nc_u32 v8, v113, v8 :: v_dual_mov_b32 v2, s41
	s_xor_b32 s13, s18, -1
	s_mov_b32 s18, 0
	s_mov_b32 s41, 2
	s_delay_alu instid0(VALU_DEP_1) | instskip(SKIP_1) | instid1(SALU_CYCLE_1)
	v_cmp_ge_i32_e32 vcc_lo, v8, v112
	s_or_b32 s13, s13, vcc_lo
	s_and_b32 s13, exec_lo, s13
	s_delay_alu instid0(SALU_CYCLE_1) | instskip(NEXT) | instid1(SALU_CYCLE_1)
	s_or_b32 s15, s13, s15
	s_and_not1_b32 exec_lo, exec_lo, s15
	s_cbranch_execz .LBB2_5101
.LBB2_4965:                             ;   Parent Loop BB2_47 Depth=1
                                        ; =>  This Loop Header: Depth=2
                                        ;       Child Loop BB2_4973 Depth 3
                                        ;       Child Loop BB2_4997 Depth 3
	;; [unrolled: 1-line block ×9, first 2 shown]
	s_and_saveexec_b32 s13, s0
	s_cbranch_execz .LBB2_4967
; %bb.4966:                             ;   in Loop: Header=BB2_4965 Depth=2
	s_trap 2
	ds_load_b128 v[12:15], v0
	s_wait_dscnt 0x0
	v_add_nc_u64_e32 v[18:19], v[14:15], v[10:11]
	v_cmp_ne_u64_e32 vcc_lo, 0, v[14:15]
	v_ashrrev_i32_e32 v9, 31, v8
	v_add_nc_u64_e32 v[12:13], v[12:13], v[10:11]
	s_delay_alu instid0(VALU_DEP_2) | instskip(NEXT) | instid1(VALU_DEP_1)
	v_add_nc_u64_e32 v[18:19], v[18:19], v[8:9]
	v_cndmask_b32_e32 v15, 0, v19, vcc_lo
	s_delay_alu instid0(VALU_DEP_3) | instskip(NEXT) | instid1(VALU_DEP_3)
	v_add_nc_u64_e32 v[12:13], v[12:13], v[8:9]
	v_cndmask_b32_e32 v14, 0, v18, vcc_lo
	ds_store_b64 v0, v[12:13]
	ds_store_b64 v0, v[14:15]
.LBB2_4967:                             ;   in Loop: Header=BB2_4965 Depth=2
	s_or_b32 exec_lo, exec_lo, s13
	v_and_b32_e32 v2, 4, v30
	s_mov_b32 s44, exec_lo
	s_delay_alu instid0(VALU_DEP_1)
	v_cmpx_ne_u32_e32 0, v2
	s_cbranch_execz .LBB2_4989
; %bb.4968:                             ;   in Loop: Header=BB2_4965 Depth=2
	v_add_nc_u64_e32 v[12:13], 2, v[98:99]
	s_mov_b32 s45, exec_lo
	s_wait_loadcnt_dscnt 0x1
	s_delay_alu instid0(VALU_DEP_1)
	v_cmpx_lt_u64_e64 v[34:35], v[12:13]
	s_cbranch_execz .LBB2_4980
; %bb.4969:                             ;   in Loop: Header=BB2_4965 Depth=2
	v_and_b32_e32 v2, 64, v30
	s_mov_b32 s72, 0
	s_mov_b32 s76, 0
                                        ; implicit-def: $sgpr73
                                        ; implicit-def: $sgpr74
                                        ; implicit-def: $sgpr75
	s_delay_alu instid0(VALU_DEP_1)
	v_cmp_eq_u32_e32 vcc_lo, 0, v2
	s_branch .LBB2_4973
.LBB2_4970:                             ;   in Loop: Header=BB2_4973 Depth=3
	s_wait_loadcnt_dscnt 0x0
	v_cmp_ge_u64_e64 s13, v[34:35], v[12:13]
	s_or_b32 s79, s79, exec_lo
	s_or_not1_b32 s78, s13, exec_lo
.LBB2_4971:                             ;   in Loop: Header=BB2_4973 Depth=3
	s_or_b32 exec_lo, exec_lo, s89
	s_delay_alu instid0(SALU_CYCLE_1)
	s_and_not1_b32 s13, s75, exec_lo
	s_and_b32 s75, s79, exec_lo
	s_and_not1_b32 s74, s74, exec_lo
	s_and_b32 s78, s78, exec_lo
	s_or_b32 s75, s13, s75
	s_or_b32 s74, s74, s78
.LBB2_4972:                             ;   in Loop: Header=BB2_4973 Depth=3
	s_or_b32 exec_lo, exec_lo, s77
	s_delay_alu instid0(SALU_CYCLE_1) | instskip(NEXT) | instid1(SALU_CYCLE_1)
	s_and_b32 s13, exec_lo, s74
	s_or_b32 s72, s13, s72
	s_and_not1_b32 s13, s73, exec_lo
	s_and_b32 s73, s75, exec_lo
	s_delay_alu instid0(SALU_CYCLE_1)
	s_or_b32 s73, s13, s73
	s_and_not1_b32 exec_lo, exec_lo, s72
	s_cbranch_execz .LBB2_4977
.LBB2_4973:                             ;   Parent Loop BB2_47 Depth=1
                                        ;     Parent Loop BB2_4965 Depth=2
                                        ; =>    This Inner Loop Header: Depth=3
	s_sleep 1
	s_wait_loadcnt_dscnt 0x0
	flat_load_b64 v[34:35], v[22:23] scope:SCOPE_SYS
	s_or_b32 s75, s75, exec_lo
	s_or_b32 s74, s74, exec_lo
                                        ; implicit-def: $vgpr2
	s_wait_xcnt 0x0
	s_and_saveexec_b32 s77, vcc_lo
	s_cbranch_execz .LBB2_4972
; %bb.4974:                             ;   in Loop: Header=BB2_4973 Depth=3
	s_cmp_lt_i32 s76, 0x270f
	s_mov_b32 s78, -1
	s_cselect_b32 s88, -1, 0
	s_cmp_gt_i32 s76, 0x270e
	s_cbranch_scc0 .LBB2_4976
; %bb.4975:                             ;   in Loop: Header=BB2_4973 Depth=3
	s_trap 2
	ds_load_b64 v[14:15], v0
	s_and_not1_b32 s76, s88, exec_lo
	s_mov_b32 s79, 0
	s_wait_storecnt 0x0
	s_wait_loadcnt_dscnt 0x0
	flat_load_b32 v2, v[14:15] scope:SCOPE_SYS
	s_wait_loadcnt_dscnt 0x0
	global_inv scope:SCOPE_SYS
	v_cmp_eq_u32_e64 s13, 0, v2
	s_and_b32 s13, s13, exec_lo
	s_delay_alu instid0(SALU_CYCLE_1)
	s_or_b32 s88, s76, s13
	s_mov_b32 s76, 0
	s_and_saveexec_b32 s89, s88
	s_cbranch_execz .LBB2_4971
	s_branch .LBB2_4970
.LBB2_4976:                             ;   in Loop: Header=BB2_4973 Depth=3
	s_add_co_i32 s76, s76, 1
	s_mov_b32 s79, -1
                                        ; implicit-def: $vgpr2
	s_and_saveexec_b32 s89, s88
	s_cbranch_execz .LBB2_4971
	s_branch .LBB2_4970
.LBB2_4977:                             ;   in Loop: Header=BB2_4965 Depth=2
	s_or_b32 exec_lo, exec_lo, s72
	s_xor_b32 s13, s73, -1
	s_delay_alu instid0(SALU_CYCLE_1) | instskip(NEXT) | instid1(SALU_CYCLE_1)
	s_and_saveexec_b32 s72, s13
	s_xor_b32 s13, exec_lo, s72
	s_cbranch_execz .LBB2_4979
; %bb.4978:                             ;   in Loop: Header=BB2_4965 Depth=2
	v_or_b32_e32 v30, 64, v30
	s_wait_storecnt 0x0
	s_wait_loadcnt_dscnt 0x0
	ds_store_b32 v0, v2
	s_trap 2
.LBB2_4979:                             ;   in Loop: Header=BB2_4965 Depth=2
	s_or_b32 exec_lo, exec_lo, s13
.LBB2_4980:                             ;   in Loop: Header=BB2_4965 Depth=2
	s_delay_alu instid0(SALU_CYCLE_1) | instskip(SKIP_3) | instid1(VALU_DEP_1)
	s_or_b32 exec_lo, exec_lo, s45
	v_and_b32_e32 v2, 0x100, v30
	s_mov_b32 s13, -1
	;;#ASMSTART
	s_wakeup
	;;#ASMEND
                                        ; implicit-def: $vgpr14_vgpr15
	v_cmp_ne_u32_e32 vcc_lo, 0, v2
	v_and_b32_e32 v2, 7, v98
	s_and_saveexec_b32 s45, vcc_lo
	s_cbranch_execz .LBB2_4984
; %bb.4981:                             ;   in Loop: Header=BB2_4965 Depth=2
	s_delay_alu instid0(VALU_DEP_1)
	v_mad_nc_u64_u32 v[98:99], v2, 24, v[6:7]
	s_mov_b32 s72, exec_lo
                                        ; implicit-def: $vgpr14_vgpr15
	flat_load_b32 v9, v[98:99]
	s_wait_loadcnt_dscnt 0x0
	v_cmp_ne_u32_e32 vcc_lo, 1, v9
	s_wait_xcnt 0x0
	v_cmpx_eq_u32_e32 1, v9
	s_cbranch_execz .LBB2_4983
; %bb.4982:                             ;   in Loop: Header=BB2_4965 Depth=2
	flat_load_b32 v14, v[98:99] offset:4 scope:SCOPE_SYS
	s_wait_loadcnt_dscnt 0x0
	v_ashrrev_i32_e32 v15, 31, v14
.LBB2_4983:                             ;   in Loop: Header=BB2_4965 Depth=2
	s_wait_xcnt 0x0
	s_or_b32 exec_lo, exec_lo, s72
	s_delay_alu instid0(SALU_CYCLE_1)
	s_or_not1_b32 s13, vcc_lo, exec_lo
.LBB2_4984:                             ;   in Loop: Header=BB2_4965 Depth=2
	s_or_b32 exec_lo, exec_lo, s45
	s_and_saveexec_b32 s45, s13
; %bb.4985:                             ;   in Loop: Header=BB2_4965 Depth=2
	v_mul_u64_e32 v[14:15], v[2:3], v[24:25]
; %bb.4986:                             ;   in Loop: Header=BB2_4965 Depth=2
	s_or_b32 exec_lo, exec_lo, s45
	s_delay_alu instid0(VALU_DEP_1)
	v_add_nc_u64_e32 v[14:15], v[26:27], v[14:15]
	v_and_b32_e32 v2, 0x2000, v30
	s_mov_b32 s13, exec_lo
	ds_store_b64 v0, v[14:15] offset:720
	v_cmpx_ne_u32_e32 0, v2
	s_cbranch_execz .LBB2_4988
; %bb.4987:                             ;   in Loop: Header=BB2_4965 Depth=2
	ds_load_b64 v[14:15], v0 offset:872
	s_wait_dscnt 0x0
	v_add_nc_u64_e32 v[14:15], 1, v[14:15]
	ds_store_b64 v0, v[14:15] offset:872
.LBB2_4988:                             ;   in Loop: Header=BB2_4965 Depth=2
	s_or_b32 exec_lo, exec_lo, s13
	v_mov_b64_e32 v[98:99], v[12:13]
.LBB2_4989:                             ;   in Loop: Header=BB2_4965 Depth=2
	s_or_b32 exec_lo, exec_lo, s44
	s_and_saveexec_b32 s13, s2
	s_cbranch_execz .LBB2_5008
; %bb.4990:                             ;   in Loop: Header=BB2_4965 Depth=2
	s_and_saveexec_b32 s44, s3
	s_delay_alu instid0(SALU_CYCLE_1)
	s_xor_b32 s44, exec_lo, s44
	s_cbranch_execz .LBB2_5005
; %bb.4991:                             ;   in Loop: Header=BB2_4965 Depth=2
	s_and_saveexec_b32 s45, s6
	s_cbranch_execz .LBB2_5004
; %bb.4992:                             ;   in Loop: Header=BB2_4965 Depth=2
	s_mov_b32 s73, exec_lo
	s_mov_b32 s72, exec_lo
	v_mbcnt_lo_u32_b32 v2, s73, 0
	global_wb scope:SCOPE_DEV
	s_wait_storecnt 0x0
	s_wait_loadcnt_dscnt 0x0
	global_inv scope:SCOPE_DEV
	v_cmpx_eq_u32_e32 0, v2
	s_cbranch_execz .LBB2_4994
; %bb.4993:                             ;   in Loop: Header=BB2_4965 Depth=2
	s_bcnt1_i32_b32 s73, s73
	s_delay_alu instid0(SALU_CYCLE_1)
	v_mov_b32_e32 v2, s73
	s_wait_loadcnt 0x0
	ds_add_u64 v0, v[2:3]
	s_trap 2
.LBB2_4994:                             ;   in Loop: Header=BB2_4965 Depth=2
	s_or_b32 exec_lo, exec_lo, s72
	s_trap 2
	ds_load_b64 v[12:13], v0
	s_wait_dscnt 0x0
	v_add_nc_u64_e32 v[32:33], v[32:33], v[36:37]
	s_mov_b32 s72, exec_lo
	s_delay_alu instid0(VALU_DEP_1)
	v_cmpx_lt_u64_e64 v[12:13], v[32:33]
	s_cbranch_execz .LBB2_5003
; %bb.4995:                             ;   in Loop: Header=BB2_4965 Depth=2
	s_mov_b32 s73, 0
	s_mov_b32 s76, 0
                                        ; implicit-def: $sgpr74
                                        ; implicit-def: $sgpr75
	s_branch .LBB2_4997
.LBB2_4996:                             ;   in Loop: Header=BB2_4997 Depth=3
	s_or_b32 exec_lo, exec_lo, s78
	s_delay_alu instid0(SALU_CYCLE_1) | instskip(NEXT) | instid1(SALU_CYCLE_1)
	s_and_b32 s77, exec_lo, s79
	s_or_b32 s73, s77, s73
	s_and_not1_b32 s74, s74, exec_lo
	s_and_b32 s77, s75, exec_lo
	s_delay_alu instid0(SALU_CYCLE_1)
	s_or_b32 s74, s74, s77
	s_and_not1_b32 exec_lo, exec_lo, s73
	s_cbranch_execz .LBB2_5001
.LBB2_4997:                             ;   Parent Loop BB2_47 Depth=1
                                        ;     Parent Loop BB2_4965 Depth=2
                                        ; =>    This Inner Loop Header: Depth=3
	s_add_co_i32 s76, s76, 1
	s_delay_alu instid0(SALU_CYCLE_1) | instskip(SKIP_1) | instid1(SALU_CYCLE_1)
	s_cmp_lg_u32 s76, 0x2710
	s_cselect_b32 s77, -1, 0
	s_and_b32 vcc_lo, exec_lo, s77
	s_cbranch_vccz .LBB2_4999
; %bb.4998:                             ;   in Loop: Header=BB2_4997 Depth=3
	s_mov_b32 s79, -1
	s_or_b32 s75, s75, exec_lo
	s_and_saveexec_b32 s78, s77
	s_cbranch_execz .LBB2_4996
	s_branch .LBB2_5000
.LBB2_4999:                             ;   in Loop: Header=BB2_4997 Depth=3
	s_trap 2
	ds_load_b64 v[12:13], v0
	s_and_not1_b32 s77, s77, exec_lo
	s_mov_b32 s76, 0
	s_wait_loadcnt_dscnt 0x0
	flat_load_b32 v2, v[12:13] scope:SCOPE_SYS
	s_wait_loadcnt_dscnt 0x0
	global_inv scope:SCOPE_SYS
	v_cmp_eq_u32_e32 vcc_lo, 0, v2
	s_and_b32 s78, vcc_lo, exec_lo
	s_delay_alu instid0(SALU_CYCLE_1)
	s_or_b32 s77, s77, s78
	s_mov_b32 s79, -1
	s_or_b32 s75, s75, exec_lo
	s_and_saveexec_b32 s78, s77
	s_cbranch_execz .LBB2_4996
.LBB2_5000:                             ;   in Loop: Header=BB2_4997 Depth=3
	s_sleep 1
	s_trap 2
	ds_load_b64 v[12:13], v0
	s_wait_dscnt 0x0
	s_and_not1_b32 s75, s75, exec_lo
	v_cmp_ge_u64_e32 vcc_lo, v[12:13], v[32:33]
	s_or_not1_b32 s79, vcc_lo, exec_lo
	s_branch .LBB2_4996
.LBB2_5001:                             ;   in Loop: Header=BB2_4965 Depth=2
	s_or_b32 exec_lo, exec_lo, s73
	s_and_saveexec_b32 s73, s74
	s_delay_alu instid0(SALU_CYCLE_1)
	s_xor_b32 s73, exec_lo, s73
	s_cbranch_execz .LBB2_5003
; %bb.5002:                             ;   in Loop: Header=BB2_4965 Depth=2
	ds_store_b32 v0, v75
	s_trap 2
.LBB2_5003:                             ;   in Loop: Header=BB2_4965 Depth=2
	s_or_b32 exec_lo, exec_lo, s72
	;;#ASMSTART
	s_wakeup
	;;#ASMEND
.LBB2_5004:                             ;   in Loop: Header=BB2_4965 Depth=2
	s_or_b32 exec_lo, exec_lo, s45
.LBB2_5005:                             ;   in Loop: Header=BB2_4965 Depth=2
	s_and_not1_saveexec_b32 s44, s44
	s_cbranch_execz .LBB2_5007
; %bb.5006:                             ;   in Loop: Header=BB2_4965 Depth=2
	global_wb scope:SCOPE_DEV
	s_wait_storecnt 0x0
	s_wait_loadcnt_dscnt 0x0
	global_inv scope:SCOPE_DEV
	s_barrier_signal -1
	s_barrier_wait -1
.LBB2_5007:                             ;   in Loop: Header=BB2_4965 Depth=2
	s_or_b32 exec_lo, exec_lo, s44
.LBB2_5008:                             ;   in Loop: Header=BB2_4965 Depth=2
	s_delay_alu instid0(SALU_CYCLE_1) | instskip(SKIP_4) | instid1(VALU_DEP_1)
	s_or_b32 exec_lo, exec_lo, s13
	s_trap 2
	ds_load_b32 v9, v0
	v_and_b32_e32 v2, 0x4000, v30
	s_xor_b32 s13, s1, -1
	v_cmp_ne_u32_e32 vcc_lo, 0, v2
	s_and_b32 s44, s13, vcc_lo
	s_delay_alu instid0(SALU_CYCLE_1)
	s_and_saveexec_b32 s13, s44
	s_cbranch_execz .LBB2_5027
; %bb.5009:                             ;   in Loop: Header=BB2_4965 Depth=2
	s_and_saveexec_b32 s44, s3
	s_delay_alu instid0(SALU_CYCLE_1)
	s_xor_b32 s44, exec_lo, s44
	s_cbranch_execz .LBB2_5024
; %bb.5010:                             ;   in Loop: Header=BB2_4965 Depth=2
	s_and_saveexec_b32 s45, s6
	s_cbranch_execz .LBB2_5023
; %bb.5011:                             ;   in Loop: Header=BB2_4965 Depth=2
	s_mov_b32 s73, exec_lo
	s_mov_b32 s72, exec_lo
	v_mbcnt_lo_u32_b32 v2, s73, 0
	global_wb scope:SCOPE_DEV
	s_wait_storecnt 0x0
	s_wait_loadcnt_dscnt 0x0
	global_inv scope:SCOPE_DEV
	v_cmpx_eq_u32_e32 0, v2
	s_cbranch_execz .LBB2_5013
; %bb.5012:                             ;   in Loop: Header=BB2_4965 Depth=2
	s_bcnt1_i32_b32 s73, s73
	s_delay_alu instid0(SALU_CYCLE_1)
	v_mov_b32_e32 v2, s73
	s_wait_loadcnt 0x0
	ds_add_u64 v0, v[2:3]
	s_trap 2
.LBB2_5013:                             ;   in Loop: Header=BB2_4965 Depth=2
	s_or_b32 exec_lo, exec_lo, s72
	s_trap 2
	ds_load_b64 v[12:13], v0
	s_wait_dscnt 0x0
	v_add_nc_u64_e32 v[32:33], v[32:33], v[36:37]
	s_mov_b32 s72, exec_lo
	s_delay_alu instid0(VALU_DEP_1)
	v_cmpx_lt_u64_e64 v[12:13], v[32:33]
	s_cbranch_execz .LBB2_5022
; %bb.5014:                             ;   in Loop: Header=BB2_4965 Depth=2
	s_mov_b32 s73, 0
	s_mov_b32 s76, 0
                                        ; implicit-def: $sgpr74
                                        ; implicit-def: $sgpr75
	s_branch .LBB2_5016
.LBB2_5015:                             ;   in Loop: Header=BB2_5016 Depth=3
	s_or_b32 exec_lo, exec_lo, s78
	s_delay_alu instid0(SALU_CYCLE_1) | instskip(NEXT) | instid1(SALU_CYCLE_1)
	s_and_b32 s77, exec_lo, s79
	s_or_b32 s73, s77, s73
	s_and_not1_b32 s74, s74, exec_lo
	s_and_b32 s77, s75, exec_lo
	s_delay_alu instid0(SALU_CYCLE_1)
	s_or_b32 s74, s74, s77
	s_and_not1_b32 exec_lo, exec_lo, s73
	s_cbranch_execz .LBB2_5020
.LBB2_5016:                             ;   Parent Loop BB2_47 Depth=1
                                        ;     Parent Loop BB2_4965 Depth=2
                                        ; =>    This Inner Loop Header: Depth=3
	s_add_co_i32 s76, s76, 1
	s_delay_alu instid0(SALU_CYCLE_1) | instskip(SKIP_1) | instid1(SALU_CYCLE_1)
	s_cmp_lg_u32 s76, 0x2710
	s_cselect_b32 s77, -1, 0
	s_and_b32 vcc_lo, exec_lo, s77
	s_cbranch_vccz .LBB2_5018
; %bb.5017:                             ;   in Loop: Header=BB2_5016 Depth=3
	s_mov_b32 s79, -1
	s_or_b32 s75, s75, exec_lo
	s_and_saveexec_b32 s78, s77
	s_cbranch_execz .LBB2_5015
	s_branch .LBB2_5019
.LBB2_5018:                             ;   in Loop: Header=BB2_5016 Depth=3
	s_trap 2
	ds_load_b64 v[12:13], v0
	s_and_not1_b32 s77, s77, exec_lo
	s_mov_b32 s76, 0
	s_wait_loadcnt_dscnt 0x0
	flat_load_b32 v2, v[12:13] scope:SCOPE_SYS
	s_wait_loadcnt_dscnt 0x0
	global_inv scope:SCOPE_SYS
	v_cmp_eq_u32_e32 vcc_lo, 0, v2
	s_and_b32 s78, vcc_lo, exec_lo
	s_delay_alu instid0(SALU_CYCLE_1)
	s_or_b32 s77, s77, s78
	s_mov_b32 s79, -1
	s_or_b32 s75, s75, exec_lo
	s_and_saveexec_b32 s78, s77
	s_cbranch_execz .LBB2_5015
.LBB2_5019:                             ;   in Loop: Header=BB2_5016 Depth=3
	s_sleep 1
	s_trap 2
	ds_load_b64 v[12:13], v0
	s_wait_dscnt 0x0
	s_and_not1_b32 s75, s75, exec_lo
	v_cmp_ge_u64_e32 vcc_lo, v[12:13], v[32:33]
	s_or_not1_b32 s79, vcc_lo, exec_lo
	s_branch .LBB2_5015
.LBB2_5020:                             ;   in Loop: Header=BB2_4965 Depth=2
	s_or_b32 exec_lo, exec_lo, s73
	s_and_saveexec_b32 s73, s74
	s_delay_alu instid0(SALU_CYCLE_1)
	s_xor_b32 s73, exec_lo, s73
	s_cbranch_execz .LBB2_5022
; %bb.5021:                             ;   in Loop: Header=BB2_4965 Depth=2
	ds_store_b32 v0, v75
	s_trap 2
.LBB2_5022:                             ;   in Loop: Header=BB2_4965 Depth=2
	s_or_b32 exec_lo, exec_lo, s72
	;;#ASMSTART
	s_wakeup
	;;#ASMEND
.LBB2_5023:                             ;   in Loop: Header=BB2_4965 Depth=2
	s_or_b32 exec_lo, exec_lo, s45
.LBB2_5024:                             ;   in Loop: Header=BB2_4965 Depth=2
	s_and_not1_saveexec_b32 s44, s44
	s_cbranch_execz .LBB2_5026
; %bb.5025:                             ;   in Loop: Header=BB2_4965 Depth=2
	global_wb scope:SCOPE_DEV
	s_wait_storecnt 0x0
	s_wait_loadcnt_dscnt 0x0
	global_inv scope:SCOPE_DEV
	s_barrier_signal -1
	s_barrier_wait -1
.LBB2_5026:                             ;   in Loop: Header=BB2_4965 Depth=2
	s_or_b32 exec_lo, exec_lo, s44
.LBB2_5027:                             ;   in Loop: Header=BB2_4965 Depth=2
	s_delay_alu instid0(SALU_CYCLE_1) | instskip(SKIP_3) | instid1(VALU_DEP_1)
	s_or_b32 exec_lo, exec_lo, s13
	s_trap 2
	ds_load_b64 v[12:13], v0
	v_sub_nc_u32_e32 v2, v112, v8
	v_min_i32_e32 v113, v113, v2
	s_wait_dscnt 0x0
	v_cmp_eq_u64_e32 vcc_lo, 0, v[12:13]
	s_cbranch_vccnz .LBB2_5035
; %bb.5028:                             ;   in Loop: Header=BB2_4965 Depth=2
	s_trap 2
	ds_load_b64 v[14:15], v0
	s_wait_dscnt 0x0
	v_cmp_eq_u64_e32 vcc_lo, 0, v[14:15]
	s_cbranch_vccnz .LBB2_5035
; %bb.5029:                             ;   in Loop: Header=BB2_4965 Depth=2
	s_mov_b32 s13, -1
	s_and_saveexec_b32 s44, s11
	s_cbranch_execz .LBB2_5031
; %bb.5030:                             ;   in Loop: Header=BB2_4965 Depth=2
	ds_load_b32 v2, v0 offset:720
	s_wait_dscnt 0x0
	v_and_b32_e32 v2, 15, v2
	s_delay_alu instid0(VALU_DEP_1)
	v_cmp_eq_u32_e32 vcc_lo, 0, v2
	s_or_not1_b32 s13, vcc_lo, exec_lo
.LBB2_5031:                             ;   in Loop: Header=BB2_4965 Depth=2
	s_or_b32 exec_lo, exec_lo, s44
	s_and_saveexec_b32 s44, s10
	s_cbranch_execz .LBB2_5033
; %bb.5032:                             ;   in Loop: Header=BB2_4965 Depth=2
	ds_load_b32 v2, v0 offset:784
	s_wait_dscnt 0x0
	v_and_b32_e32 v2, 15, v2
	s_delay_alu instid0(VALU_DEP_1) | instskip(SKIP_3) | instid1(SALU_CYCLE_1)
	v_cmp_eq_u32_e32 vcc_lo, 0, v2
	s_and_b32 s45, s13, vcc_lo
	s_and_not1_b32 s13, s13, exec_lo
	s_and_b32 s45, s45, exec_lo
	s_or_b32 s13, s13, s45
.LBB2_5033:                             ;   in Loop: Header=BB2_4965 Depth=2
	s_or_b32 exec_lo, exec_lo, s44
	v_cmp_eq_u32_e32 vcc_lo, 0, v9
	s_xor_b32 s13, s13, -1
	v_mov_b32_e32 v100, v79
	v_cndmask_b32_e64 v18, 0, 1, s13
	s_mov_b32 s45, -1
	v_dual_cndmask_b32 v2, 0, v113 :: v_dual_mov_b32 v9, 0
	v_mov_b32_e32 v103, v0
	s_delay_alu instid0(VALU_DEP_3) | instskip(NEXT) | instid1(VALU_DEP_3)
	v_cmp_ne_u32_e32 vcc_lo, 0, v18
	v_mov_b32_e32 v102, v2
	s_cbranch_vccz .LBB2_5040
; %bb.5034:                             ;   in Loop: Header=BB2_4965 Depth=2
	s_and_saveexec_b32 s13, s45
	s_cbranch_execnz .LBB2_5053
	s_branch .LBB2_5061
.LBB2_5035:                             ;   in Loop: Header=BB2_4965 Depth=2
	s_mov_b32 s13, 0
	s_and_saveexec_b32 s44, s2
	s_cbranch_execnz .LBB2_5062
.LBB2_5036:                             ;   in Loop: Header=BB2_4965 Depth=2
	s_or_b32 exec_lo, exec_lo, s44
	s_and_saveexec_b32 s44, s7
	s_delay_alu instid0(SALU_CYCLE_1)
	s_xor_b32 s44, exec_lo, s44
	s_cbranch_execz .LBB2_5080
.LBB2_5037:                             ;   in Loop: Header=BB2_4965 Depth=2
	v_and_b32_e32 v2, 16, v30
	s_delay_alu instid0(VALU_DEP_1) | instskip(SKIP_1) | instid1(SALU_CYCLE_1)
	v_cmp_ne_u32_e32 vcc_lo, 0, v2
	s_and_b32 s45, vcc_lo, s13
	s_and_saveexec_b32 s13, s45
	s_cbranch_execz .LBB2_5039
; %bb.5038:                             ;   in Loop: Header=BB2_4965 Depth=2
	global_wb scope:SCOPE_SYS
	s_wait_storecnt 0x0
	s_wait_loadcnt_dscnt 0x0
	global_inv scope:SCOPE_SYS
.LBB2_5039:                             ;   in Loop: Header=BB2_4965 Depth=2
	s_or_b32 exec_lo, exec_lo, s13
	s_and_not1_saveexec_b32 s13, s44
	s_cbranch_execz .LBB2_5099
	s_branch .LBB2_5081
.LBB2_5040:                             ;   in Loop: Header=BB2_4965 Depth=2
	v_ashrrev_i32_e32 v9, 31, v2
	s_mov_b32 s13, exec_lo
	s_delay_alu instid0(VALU_DEP_1) | instskip(NEXT) | instid1(VALU_DEP_1)
	v_lshrrev_b32_e32 v9, 22, v9
	v_add_nc_u32_e32 v9, v2, v9
	s_delay_alu instid0(VALU_DEP_1) | instskip(NEXT) | instid1(VALU_DEP_1)
	v_ashrrev_i32_e32 v9, 10, v9
	v_sub_nc_u32_e32 v115, v9, v79
	s_delay_alu instid0(VALU_DEP_1)
	v_cmpx_lt_i32_e32 0, v115
	s_cbranch_execz .LBB2_5044
; %bb.5041:                             ;   in Loop: Header=BB2_4965 Depth=2
	v_mov_b64_e32 v[100:101], v[86:87]
	s_mov_b32 s44, 0
.LBB2_5042:                             ;   Parent Loop BB2_47 Depth=1
                                        ;     Parent Loop BB2_4965 Depth=2
                                        ; =>    This Inner Loop Header: Depth=3
	s_delay_alu instid0(VALU_DEP_1)
	v_add_nc_u64_e32 v[18:19], v[12:13], v[100:101]
	v_sub_nc_u32_e32 v115, v115, v36
	s_clause 0x1
	global_load_b128 v[116:119], v[18:19], off th:TH_LOAD_NT
	global_load_b128 v[40:43], v[18:19], off offset:512 th:TH_LOAD_NT
	s_wait_xcnt 0x0
	v_add_nc_u64_e32 v[18:19], v[14:15], v[100:101]
	v_cmp_gt_i32_e32 vcc_lo, 1, v115
	v_add_nc_u64_e32 v[100:101], v[100:101], v[64:65]
	s_wait_loadcnt 0x1
	global_store_b128 v[18:19], v[116:119], off th:TH_STORE_NT
	s_wait_loadcnt 0x0
	global_store_b128 v[18:19], v[40:43], off offset:512 th:TH_STORE_NT
	s_or_b32 s44, vcc_lo, s44
	s_wait_xcnt 0x0
	s_and_not1_b32 exec_lo, exec_lo, s44
	s_cbranch_execnz .LBB2_5042
; %bb.5043:                             ;   in Loop: Header=BB2_4965 Depth=2
	s_or_b32 exec_lo, exec_lo, s44
.LBB2_5044:                             ;   in Loop: Header=BB2_4965 Depth=2
	s_delay_alu instid0(SALU_CYCLE_1) | instskip(SKIP_3) | instid1(VALU_DEP_1)
	s_or_b32 exec_lo, exec_lo, s13
	v_dual_mov_b32 v9, 0 :: v_dual_lshlrev_b32 v114, 10, v9
	s_mov_b32 s45, 0
	s_mov_b32 s44, exec_lo
                                        ; implicit-def: $vgpr102
                                        ; implicit-def: $vgpr103
                                        ; implicit-def: $vgpr100
	v_cmpx_ne_u32_e64 v2, v114
	s_cbranch_execz .LBB2_5052
; %bb.5045:                             ;   in Loop: Header=BB2_4965 Depth=2
	v_dual_lshlrev_b32 v9, 5, v115 :: v_dual_sub_nc_u32 v19, v2, v114
	s_mov_b32 s45, exec_lo
	s_delay_alu instid0(VALU_DEP_1) | instskip(NEXT) | instid1(VALU_DEP_1)
	v_dual_sub_nc_u32 v9, v88, v9 :: v_dual_ashrrev_i32 v100, 31, v19
	v_dual_ashrrev_i32 v18, 31, v9 :: v_dual_lshrrev_b32 v100, 23, v100
	s_delay_alu instid0(VALU_DEP_1) | instskip(NEXT) | instid1(VALU_DEP_1)
	v_lshrrev_b32_e32 v18, 27, v18
	v_add_nc_u32_e32 v18, v9, v18
	s_delay_alu instid0(VALU_DEP_1) | instskip(NEXT) | instid1(VALU_DEP_1)
	v_and_b32_e32 v101, 0xffffffe0, v18
	v_dual_add_nc_u32 v100, v19, v100 :: v_dual_sub_nc_u32 v116, v9, v101
	s_delay_alu instid0(VALU_DEP_1) | instskip(SKIP_1) | instid1(VALU_DEP_2)
	v_and_b32_e32 v115, 0xfffffe00, v100
	v_dual_ashrrev_i32 v18, 5, v18 :: v_dual_ashrrev_i32 v101, 9, v100
	v_dual_lshlrev_b32 v9, 4, v116 :: v_dual_sub_nc_u32 v117, v19, v115
	s_delay_alu instid0(VALU_DEP_1) | instskip(NEXT) | instid1(VALU_DEP_2)
	v_lshl_add_u32 v100, v18, 9, v9
	v_cmp_lt_i32_e32 vcc_lo, 15, v117
	s_delay_alu instid0(VALU_DEP_4) | instskip(NEXT) | instid1(VALU_DEP_1)
	v_add_co_ci_u32_e64 v101, null, 0, v101, vcc_lo
	v_dual_sub_nc_u32 v9, v19, v100 :: v_dual_sub_nc_u32 v118, v101, v18
	s_delay_alu instid0(VALU_DEP_1)
	v_cmpx_lt_i32_e32 15, v9
	s_cbranch_execz .LBB2_5049
; %bb.5046:                             ;   in Loop: Header=BB2_4965 Depth=2
	v_add_nc_u32_e32 v100, v100, v114
	s_mov_b32 s72, 0
	s_delay_alu instid0(VALU_DEP_1)
	v_ashrrev_i32_e32 v101, 31, v100
.LBB2_5047:                             ;   Parent Loop BB2_47 Depth=1
                                        ;     Parent Loop BB2_4965 Depth=2
                                        ; =>    This Inner Loop Header: Depth=3
	s_delay_alu instid0(VALU_DEP_1) | instskip(SKIP_1) | instid1(VALU_DEP_1)
	v_add_nc_u64_e32 v[18:19], v[12:13], v[100:101]
	v_dual_sub_nc_u32 v9, v9, v66 :: v_dual_sub_nc_u32 v118, v118, v36
	v_cmp_gt_i32_e64 s13, 16, v9
	global_load_b128 v[40:43], v[18:19], off th:TH_LOAD_NT
	s_wait_xcnt 0x0
	v_add_nc_u64_e32 v[18:19], v[14:15], v[100:101]
	v_add_nc_u64_e32 v[100:101], v[100:101], v[66:67]
	s_or_b32 s72, s13, s72
	s_wait_loadcnt 0x0
	global_store_b128 v[18:19], v[40:43], off th:TH_STORE_NT
	s_wait_xcnt 0x0
	s_and_not1_b32 exec_lo, exec_lo, s72
	s_cbranch_execnz .LBB2_5047
; %bb.5048:                             ;   in Loop: Header=BB2_4965 Depth=2
	s_or_b32 exec_lo, exec_lo, s72
.LBB2_5049:                             ;   in Loop: Header=BB2_4965 Depth=2
	s_delay_alu instid0(SALU_CYCLE_1) | instskip(SKIP_3) | instid1(VALU_DEP_1)
	s_or_b32 exec_lo, exec_lo, s45
	v_dual_mov_b32 v9, 0 :: v_dual_bitop2_b32 v101, 15, v2 bitop3:0x40
	s_mov_b32 s45, 0
	s_mov_b32 s72, exec_lo
                                        ; implicit-def: $vgpr103
                                        ; implicit-def: $vgpr100
	v_cndmask_b32_e32 v102, v117, v101, vcc_lo
	s_delay_alu instid0(VALU_DEP_1)
	v_cmpx_ne_u32_e32 0, v102
	s_cbranch_execz .LBB2_5051
; %bb.5050:                             ;   in Loop: Header=BB2_4965 Depth=2
	v_cmp_lt_i32_e64 s13, 0, v118
	s_mov_b32 s45, exec_lo
	v_dual_sub_nc_u32 v18, v117, v101 :: v_dual_cndmask_b32 v9, 0, v36, s13
	s_delay_alu instid0(VALU_DEP_1) | instskip(NEXT) | instid1(VALU_DEP_2)
	v_cndmask_b32_e32 v18, 0, v18, vcc_lo
	v_sub_nc_u32_e32 v9, v9, v118
	s_delay_alu instid0(VALU_DEP_1) | instskip(NEXT) | instid1(VALU_DEP_1)
	v_lshl_add_u32 v103, v9, 5, v116
	v_ashrrev_i32_e32 v9, 31, v103
	s_delay_alu instid0(VALU_DEP_1) | instskip(NEXT) | instid1(VALU_DEP_1)
	v_lshrrev_b32_e32 v9, 27, v9
	v_add_nc_u32_e32 v19, v103, v9
	v_add3_u32 v9, v115, v114, v18
	s_delay_alu instid0(VALU_DEP_2)
	v_ashrrev_i32_e32 v100, 5, v19
.LBB2_5051:                             ;   in Loop: Header=BB2_4965 Depth=2
	s_or_b32 exec_lo, exec_lo, s72
	s_delay_alu instid0(SALU_CYCLE_1)
	s_and_b32 s45, s45, exec_lo
.LBB2_5052:                             ;   in Loop: Header=BB2_4965 Depth=2
	s_or_b32 exec_lo, exec_lo, s44
	s_and_saveexec_b32 s13, s45
	s_cbranch_execz .LBB2_5061
.LBB2_5053:                             ;   in Loop: Header=BB2_4965 Depth=2
	v_ashrrev_i32_e32 v18, 31, v102
	s_mov_b32 s44, exec_lo
	s_delay_alu instid0(VALU_DEP_1) | instskip(NEXT) | instid1(VALU_DEP_1)
	v_lshrrev_b32_e32 v18, 24, v18
	v_add_nc_u32_e32 v18, v102, v18
	s_delay_alu instid0(VALU_DEP_1) | instskip(NEXT) | instid1(VALU_DEP_1)
	v_dual_ashrrev_i32 v116, 8, v18 :: v_dual_ashrrev_i32 v18, 31, v103
	v_dual_sub_nc_u32 v114, v116, v100 :: v_dual_lshrrev_b32 v115, 27, v18
	s_delay_alu instid0(VALU_DEP_1)
	v_cmpx_lt_i32_e32 0, v114
	s_cbranch_execz .LBB2_5057
; %bb.5054:                             ;   in Loop: Header=BB2_4965 Depth=2
	s_delay_alu instid0(VALU_DEP_2) | instskip(SKIP_1) | instid1(VALU_DEP_1)
	v_dual_add_nc_u32 v18, v103, v115 :: v_dual_lshlrev_b32 v19, 8, v100
	s_mov_b32 s45, 0
	v_and_b32_e32 v18, 0xffffffe0, v18
	s_delay_alu instid0(VALU_DEP_1) | instskip(NEXT) | instid1(VALU_DEP_1)
	v_sub_nc_u32_e32 v18, v103, v18
	v_add3_u32 v100, v9, v18, v19
	s_delay_alu instid0(VALU_DEP_1)
	v_ashrrev_i32_e32 v101, 31, v100
.LBB2_5055:                             ;   Parent Loop BB2_47 Depth=1
                                        ;     Parent Loop BB2_4965 Depth=2
                                        ; =>    This Inner Loop Header: Depth=3
	s_delay_alu instid0(VALU_DEP_1)
	v_add_nc_u64_e32 v[18:19], v[100:101], v[12:13]
	v_sub_nc_u32_e32 v114, v114, v36
	v_add_nc_u64_e32 v[12:13], v[12:13], v[68:69]
	s_clause 0x7
	flat_load_u8 v117, v[18:19] th:TH_LOAD_NT
	flat_load_u8 v118, v[18:19] offset:32 th:TH_LOAD_NT
	flat_load_u8 v119, v[18:19] offset:64 th:TH_LOAD_NT
	;; [unrolled: 1-line block ×7, first 2 shown]
	s_wait_xcnt 0x0
	v_add_nc_u64_e32 v[18:19], v[100:101], v[14:15]
	v_add_nc_u64_e32 v[14:15], v[14:15], v[68:69]
	v_cmp_gt_i32_e32 vcc_lo, 1, v114
	s_wait_loadcnt_dscnt 0x707
	flat_store_b8 v[18:19], v117 th:TH_STORE_NT
	s_wait_loadcnt_dscnt 0x607
	flat_store_b8 v[18:19], v118 offset:32 th:TH_STORE_NT
	s_wait_loadcnt_dscnt 0x507
	flat_store_b8 v[18:19], v119 offset:64 th:TH_STORE_NT
	;; [unrolled: 2-line block ×7, first 2 shown]
	s_or_b32 s45, vcc_lo, s45
	s_wait_xcnt 0x0
	s_and_not1_b32 exec_lo, exec_lo, s45
	s_cbranch_execnz .LBB2_5055
; %bb.5056:                             ;   in Loop: Header=BB2_4965 Depth=2
	s_or_b32 exec_lo, exec_lo, s45
.LBB2_5057:                             ;   in Loop: Header=BB2_4965 Depth=2
	s_delay_alu instid0(SALU_CYCLE_1) | instskip(SKIP_1) | instid1(VALU_DEP_1)
	s_or_b32 exec_lo, exec_lo, s44
	v_lshlrev_b32_e32 v12, 8, v116
	v_cmp_ne_u32_e32 vcc_lo, v102, v12
	s_and_b32 exec_lo, exec_lo, vcc_lo
	s_cbranch_execz .LBB2_5061
; %bb.5058:                             ;   in Loop: Header=BB2_4965 Depth=2
	v_dual_add_nc_u32 v13, v103, v115 :: v_dual_lshlrev_b32 v14, 5, v114
	s_delay_alu instid0(VALU_DEP_1) | instskip(NEXT) | instid1(VALU_DEP_1)
	v_and_b32_e32 v13, 0xffffffe0, v13
	v_sub_nc_u32_e32 v13, v103, v13
	s_delay_alu instid0(VALU_DEP_1) | instskip(NEXT) | instid1(VALU_DEP_1)
	v_sub_nc_u32_e32 v13, v13, v14
	v_add_nc_u32_e32 v14, v12, v13
	s_delay_alu instid0(VALU_DEP_1) | instskip(NEXT) | instid1(VALU_DEP_1)
	v_sub_nc_u32_e32 v100, v102, v14
	v_cmp_lt_i32_e32 vcc_lo, 0, v100
	s_and_b32 exec_lo, exec_lo, vcc_lo
	s_cbranch_execz .LBB2_5061
; %bb.5059:                             ;   in Loop: Header=BB2_4965 Depth=2
	s_trap 2
	ds_load_b64 v[12:13], v0
	v_add_nc_u32_e32 v14, v14, v9
	s_mov_b32 s44, 0
	s_delay_alu instid0(VALU_DEP_1)
	v_ashrrev_i32_e32 v15, 31, v14
.LBB2_5060:                             ;   Parent Loop BB2_47 Depth=1
                                        ;     Parent Loop BB2_4965 Depth=2
                                        ; =>    This Inner Loop Header: Depth=3
	s_wait_dscnt 0x0
	s_delay_alu instid0(VALU_DEP_1) | instskip(SKIP_2) | instid1(VALU_DEP_2)
	v_add_nc_u64_e32 v[18:19], v[12:13], v[14:15]
	v_sub_nc_u32_e32 v100, v100, v38
	v_add_nc_u64_e32 v[14:15], v[14:15], v[38:39]
	v_cmp_gt_i32_e32 vcc_lo, 1, v100
	flat_load_u8 v9, v[18:19] th:TH_LOAD_NT
	s_or_b32 s44, vcc_lo, s44
	s_wait_loadcnt_dscnt 0x0
	flat_store_b8 v[18:19], v9 th:TH_STORE_NT
	s_wait_xcnt 0x0
	s_and_not1_b32 exec_lo, exec_lo, s44
	s_cbranch_execnz .LBB2_5060
.LBB2_5061:                             ;   in Loop: Header=BB2_4965 Depth=2
	s_or_b32 exec_lo, exec_lo, s13
	v_cmp_lt_i32_e64 s13, 0, v2
	s_and_saveexec_b32 s44, s2
	s_cbranch_execz .LBB2_5036
.LBB2_5062:                             ;   in Loop: Header=BB2_4965 Depth=2
	s_and_saveexec_b32 s45, s3
	s_delay_alu instid0(SALU_CYCLE_1)
	s_xor_b32 s45, exec_lo, s45
	s_cbranch_execz .LBB2_5077
; %bb.5063:                             ;   in Loop: Header=BB2_4965 Depth=2
	s_and_saveexec_b32 s72, s6
	s_cbranch_execz .LBB2_5076
; %bb.5064:                             ;   in Loop: Header=BB2_4965 Depth=2
	s_mov_b32 s74, exec_lo
	s_mov_b32 s73, exec_lo
	v_mbcnt_lo_u32_b32 v2, s74, 0
	global_wb scope:SCOPE_DEV
	s_wait_storecnt 0x0
	s_wait_loadcnt_dscnt 0x0
	global_inv scope:SCOPE_DEV
	v_cmpx_eq_u32_e32 0, v2
	s_cbranch_execz .LBB2_5066
; %bb.5065:                             ;   in Loop: Header=BB2_4965 Depth=2
	s_bcnt1_i32_b32 s74, s74
	s_delay_alu instid0(SALU_CYCLE_1)
	v_mov_b32_e32 v2, s74
	s_wait_loadcnt 0x0
	ds_add_u64 v0, v[2:3]
	s_trap 2
.LBB2_5066:                             ;   in Loop: Header=BB2_4965 Depth=2
	s_or_b32 exec_lo, exec_lo, s73
	s_trap 2
	ds_load_b64 v[12:13], v0
	s_wait_dscnt 0x0
	v_add_nc_u64_e32 v[32:33], v[32:33], v[36:37]
	s_mov_b32 s73, exec_lo
	s_delay_alu instid0(VALU_DEP_1)
	v_cmpx_lt_u64_e64 v[12:13], v[32:33]
	s_cbranch_execz .LBB2_5075
; %bb.5067:                             ;   in Loop: Header=BB2_4965 Depth=2
	s_mov_b32 s74, 0
	s_mov_b32 s77, 0
                                        ; implicit-def: $sgpr75
                                        ; implicit-def: $sgpr76
	s_branch .LBB2_5069
.LBB2_5068:                             ;   in Loop: Header=BB2_5069 Depth=3
	s_or_b32 exec_lo, exec_lo, s79
	s_delay_alu instid0(SALU_CYCLE_1) | instskip(NEXT) | instid1(SALU_CYCLE_1)
	s_and_b32 s78, exec_lo, s88
	s_or_b32 s74, s78, s74
	s_and_not1_b32 s75, s75, exec_lo
	s_and_b32 s78, s76, exec_lo
	s_delay_alu instid0(SALU_CYCLE_1)
	s_or_b32 s75, s75, s78
	s_and_not1_b32 exec_lo, exec_lo, s74
	s_cbranch_execz .LBB2_5073
.LBB2_5069:                             ;   Parent Loop BB2_47 Depth=1
                                        ;     Parent Loop BB2_4965 Depth=2
                                        ; =>    This Inner Loop Header: Depth=3
	s_add_co_i32 s77, s77, 1
	s_delay_alu instid0(SALU_CYCLE_1) | instskip(SKIP_1) | instid1(SALU_CYCLE_1)
	s_cmp_lg_u32 s77, 0x2710
	s_cselect_b32 s78, -1, 0
	s_and_b32 vcc_lo, exec_lo, s78
	s_cbranch_vccz .LBB2_5071
; %bb.5070:                             ;   in Loop: Header=BB2_5069 Depth=3
	s_mov_b32 s88, -1
	s_or_b32 s76, s76, exec_lo
	s_and_saveexec_b32 s79, s78
	s_cbranch_execz .LBB2_5068
	s_branch .LBB2_5072
.LBB2_5071:                             ;   in Loop: Header=BB2_5069 Depth=3
	s_trap 2
	ds_load_b64 v[12:13], v0
	s_and_not1_b32 s78, s78, exec_lo
	s_mov_b32 s77, 0
	s_wait_loadcnt_dscnt 0x0
	flat_load_b32 v2, v[12:13] scope:SCOPE_SYS
	s_wait_loadcnt_dscnt 0x0
	global_inv scope:SCOPE_SYS
	v_cmp_eq_u32_e32 vcc_lo, 0, v2
	s_and_b32 s79, vcc_lo, exec_lo
	s_delay_alu instid0(SALU_CYCLE_1)
	s_or_b32 s78, s78, s79
	s_mov_b32 s88, -1
	s_or_b32 s76, s76, exec_lo
	s_and_saveexec_b32 s79, s78
	s_cbranch_execz .LBB2_5068
.LBB2_5072:                             ;   in Loop: Header=BB2_5069 Depth=3
	s_sleep 1
	s_trap 2
	ds_load_b64 v[12:13], v0
	s_wait_dscnt 0x0
	s_and_not1_b32 s76, s76, exec_lo
	v_cmp_ge_u64_e32 vcc_lo, v[12:13], v[32:33]
	s_or_not1_b32 s88, vcc_lo, exec_lo
	s_branch .LBB2_5068
.LBB2_5073:                             ;   in Loop: Header=BB2_4965 Depth=2
	s_or_b32 exec_lo, exec_lo, s74
	s_and_saveexec_b32 s74, s75
	s_delay_alu instid0(SALU_CYCLE_1)
	s_xor_b32 s74, exec_lo, s74
	s_cbranch_execz .LBB2_5075
; %bb.5074:                             ;   in Loop: Header=BB2_4965 Depth=2
	ds_store_b32 v0, v75
	s_trap 2
.LBB2_5075:                             ;   in Loop: Header=BB2_4965 Depth=2
	s_or_b32 exec_lo, exec_lo, s73
	;;#ASMSTART
	s_wakeup
	;;#ASMEND
.LBB2_5076:                             ;   in Loop: Header=BB2_4965 Depth=2
	s_or_b32 exec_lo, exec_lo, s72
.LBB2_5077:                             ;   in Loop: Header=BB2_4965 Depth=2
	s_and_not1_saveexec_b32 s45, s45
	s_cbranch_execz .LBB2_5079
; %bb.5078:                             ;   in Loop: Header=BB2_4965 Depth=2
	global_wb scope:SCOPE_DEV
	s_wait_storecnt 0x0
	s_wait_loadcnt_dscnt 0x0
	global_inv scope:SCOPE_DEV
	s_barrier_signal -1
	s_barrier_wait -1
.LBB2_5079:                             ;   in Loop: Header=BB2_4965 Depth=2
	s_or_b32 exec_lo, exec_lo, s45
	s_delay_alu instid0(SALU_CYCLE_1) | instskip(SKIP_1) | instid1(SALU_CYCLE_1)
	s_or_b32 exec_lo, exec_lo, s44
	s_and_saveexec_b32 s44, s7
	s_xor_b32 s44, exec_lo, s44
	s_cbranch_execnz .LBB2_5037
.LBB2_5080:                             ;   in Loop: Header=BB2_4965 Depth=2
	s_and_not1_saveexec_b32 s13, s44
	s_cbranch_execz .LBB2_5099
.LBB2_5081:                             ;   in Loop: Header=BB2_4965 Depth=2
	s_and_saveexec_b32 s44, s3
	s_delay_alu instid0(SALU_CYCLE_1)
	s_xor_b32 s44, exec_lo, s44
	s_cbranch_execz .LBB2_5096
; %bb.5082:                             ;   in Loop: Header=BB2_4965 Depth=2
	s_and_saveexec_b32 s45, s6
	s_cbranch_execz .LBB2_5095
; %bb.5083:                             ;   in Loop: Header=BB2_4965 Depth=2
	s_mov_b32 s73, exec_lo
	s_mov_b32 s72, exec_lo
	v_mbcnt_lo_u32_b32 v2, s73, 0
	;;#ASMSTART
	s_waitcnt lgkmcnt(0) vmcnt(0)
	;;#ASMEND
	s_delay_alu instid0(VALU_DEP_1)
	v_cmpx_eq_u32_e32 0, v2
	s_cbranch_execz .LBB2_5085
; %bb.5084:                             ;   in Loop: Header=BB2_4965 Depth=2
	s_bcnt1_i32_b32 s73, s73
	s_delay_alu instid0(SALU_CYCLE_1)
	v_mov_b32_e32 v2, s73
	s_wait_storecnt 0x0
	s_wait_loadcnt_dscnt 0x0
	ds_add_u64 v0, v[2:3]
	s_trap 2
.LBB2_5085:                             ;   in Loop: Header=BB2_4965 Depth=2
	s_or_b32 exec_lo, exec_lo, s72
	s_trap 2
	ds_load_b64 v[12:13], v0
	s_wait_dscnt 0x0
	v_add_nc_u64_e32 v[32:33], v[32:33], v[36:37]
	s_mov_b32 s72, exec_lo
	s_delay_alu instid0(VALU_DEP_1)
	v_cmpx_lt_u64_e64 v[12:13], v[32:33]
	s_cbranch_execz .LBB2_5094
; %bb.5086:                             ;   in Loop: Header=BB2_4965 Depth=2
	s_mov_b32 s73, 0
	s_mov_b32 s76, 0
                                        ; implicit-def: $sgpr74
                                        ; implicit-def: $sgpr75
	s_branch .LBB2_5088
.LBB2_5087:                             ;   in Loop: Header=BB2_5088 Depth=3
	s_or_b32 exec_lo, exec_lo, s78
	s_delay_alu instid0(SALU_CYCLE_1) | instskip(NEXT) | instid1(SALU_CYCLE_1)
	s_and_b32 s77, exec_lo, s79
	s_or_b32 s73, s77, s73
	s_and_not1_b32 s74, s74, exec_lo
	s_and_b32 s77, s75, exec_lo
	s_delay_alu instid0(SALU_CYCLE_1)
	s_or_b32 s74, s74, s77
	s_and_not1_b32 exec_lo, exec_lo, s73
	s_cbranch_execz .LBB2_5092
.LBB2_5088:                             ;   Parent Loop BB2_47 Depth=1
                                        ;     Parent Loop BB2_4965 Depth=2
                                        ; =>    This Inner Loop Header: Depth=3
	s_add_co_i32 s76, s76, 1
	s_delay_alu instid0(SALU_CYCLE_1) | instskip(SKIP_1) | instid1(SALU_CYCLE_1)
	s_cmp_lg_u32 s76, 0x2710
	s_cselect_b32 s77, -1, 0
	s_and_b32 vcc_lo, exec_lo, s77
	s_cbranch_vccz .LBB2_5090
; %bb.5089:                             ;   in Loop: Header=BB2_5088 Depth=3
	s_mov_b32 s79, -1
	s_or_b32 s75, s75, exec_lo
	s_and_saveexec_b32 s78, s77
	s_cbranch_execz .LBB2_5087
	s_branch .LBB2_5091
.LBB2_5090:                             ;   in Loop: Header=BB2_5088 Depth=3
	s_trap 2
	ds_load_b64 v[12:13], v0
	s_and_not1_b32 s77, s77, exec_lo
	s_mov_b32 s76, 0
	s_wait_storecnt 0x0
	s_wait_loadcnt_dscnt 0x0
	flat_load_b32 v2, v[12:13] scope:SCOPE_SYS
	s_wait_loadcnt_dscnt 0x0
	global_inv scope:SCOPE_SYS
	v_cmp_eq_u32_e32 vcc_lo, 0, v2
	s_and_b32 s78, vcc_lo, exec_lo
	s_delay_alu instid0(SALU_CYCLE_1)
	s_or_b32 s77, s77, s78
	s_mov_b32 s79, -1
	s_or_b32 s75, s75, exec_lo
	s_and_saveexec_b32 s78, s77
	s_cbranch_execz .LBB2_5087
.LBB2_5091:                             ;   in Loop: Header=BB2_5088 Depth=3
	s_sleep 1
	s_trap 2
	ds_load_b64 v[12:13], v0
	s_wait_dscnt 0x0
	s_and_not1_b32 s75, s75, exec_lo
	v_cmp_ge_u64_e32 vcc_lo, v[12:13], v[32:33]
	s_or_not1_b32 s79, vcc_lo, exec_lo
	s_branch .LBB2_5087
.LBB2_5092:                             ;   in Loop: Header=BB2_4965 Depth=2
	s_or_b32 exec_lo, exec_lo, s73
	s_and_saveexec_b32 s73, s74
	s_delay_alu instid0(SALU_CYCLE_1)
	s_xor_b32 s73, exec_lo, s73
	s_cbranch_execz .LBB2_5094
; %bb.5093:                             ;   in Loop: Header=BB2_4965 Depth=2
	ds_store_b32 v0, v75
	s_trap 2
.LBB2_5094:                             ;   in Loop: Header=BB2_4965 Depth=2
	s_or_b32 exec_lo, exec_lo, s72
	;;#ASMSTART
	s_wakeup
	;;#ASMEND
.LBB2_5095:                             ;   in Loop: Header=BB2_4965 Depth=2
	s_or_b32 exec_lo, exec_lo, s45
.LBB2_5096:                             ;   in Loop: Header=BB2_4965 Depth=2
	s_and_not1_saveexec_b32 s44, s44
	s_cbranch_execz .LBB2_5098
; %bb.5097:                             ;   in Loop: Header=BB2_4965 Depth=2
	;;#ASMSTART
	s_waitcnt lgkmcnt(0) vmcnt(0)
	;;#ASMEND
	s_barrier_signal -1
	s_barrier_wait -1
.LBB2_5098:                             ;   in Loop: Header=BB2_4965 Depth=2
	s_or_b32 exec_lo, exec_lo, s44
.LBB2_5099:                             ;   in Loop: Header=BB2_4965 Depth=2
	s_delay_alu instid0(SALU_CYCLE_1) | instskip(SKIP_2) | instid1(VALU_DEP_1)
	s_or_b32 exec_lo, exec_lo, s13
	v_and_b32_e32 v2, 32, v30
	s_mov_b32 s13, exec_lo
	v_cmpx_ne_u32_e32 0, v2
	s_cbranch_execz .LBB2_4964
; %bb.5100:                             ;   in Loop: Header=BB2_4965 Depth=2
	v_add_nc_u64_e32 v[98:99], 2, v[98:99]
	global_wb scope:SCOPE_SYS
	s_wait_storecnt 0x0
	s_wait_loadcnt_dscnt 0x0
	flat_store_b64 v[22:23], v[98:99] scope:SCOPE_SYS
	s_branch .LBB2_4964
.LBB2_5101:                             ;   in Loop: Header=BB2_47 Depth=1
	s_or_b32 exec_lo, exec_lo, s15
.LBB2_5102:                             ;   in Loop: Header=BB2_47 Depth=1
	s_delay_alu instid0(SALU_CYCLE_1) | instskip(NEXT) | instid1(SALU_CYCLE_1)
	s_or_b32 exec_lo, exec_lo, s14
	s_mov_b32 s14, exec_lo
	v_cmpx_gt_i32_e32 2, v2
	s_cbranch_execnz .LBB2_5103
; %bb.5215:                             ;   in Loop: Header=BB2_47 Depth=1
	s_add_pc_i64 .LBB2_46-.Lpost_addpc3
.Lpost_addpc3:
.LBB2_5103:                             ;   in Loop: Header=BB2_47 Depth=1
	v_cmp_eq_u32_e64 s18, 0, v2
	s_mov_b32 s15, 0
	s_branch .LBB2_5105
.LBB2_5104:                             ;   in Loop: Header=BB2_5105 Depth=2
	s_wait_xcnt 0x0
	s_or_b32 exec_lo, exec_lo, s13
	v_add_nc_u32_e32 v8, v113, v8
	s_mov_b32 s18, 0
	s_and_not1_b32 exec_lo, exec_lo, s15
	s_cbranch_execnz .LBB2_5105
; %bb.5217:                             ;   in Loop: Header=BB2_47 Depth=1
	s_add_pc_i64 .LBB2_45-.Lpost_addpc4
.Lpost_addpc4:
.LBB2_5105:                             ;   Parent Loop BB2_47 Depth=1
                                        ; =>  This Loop Header: Depth=2
                                        ;       Child Loop BB2_5111 Depth 3
                                        ;       Child Loop BB2_5135 Depth 3
	;; [unrolled: 1-line block ×3, first 2 shown]
	v_and_b32_e32 v2, 4, v30
	s_mov_b32 s41, exec_lo
	s_delay_alu instid0(VALU_DEP_1)
	v_cmpx_ne_u32_e32 0, v2
	s_cbranch_execz .LBB2_5127
; %bb.5106:                             ;   in Loop: Header=BB2_5105 Depth=2
	v_add_nc_u64_e32 v[10:11], 2, v[98:99]
	s_mov_b32 s44, exec_lo
	s_wait_loadcnt_dscnt 0x1
	s_delay_alu instid0(VALU_DEP_1)
	v_cmpx_lt_u64_e64 v[34:35], v[10:11]
	s_cbranch_execz .LBB2_5118
; %bb.5107:                             ;   in Loop: Header=BB2_5105 Depth=2
	v_and_b32_e32 v2, 64, v30
	s_mov_b32 s45, 0
	s_mov_b32 s75, 0
                                        ; implicit-def: $sgpr72
                                        ; implicit-def: $sgpr73
                                        ; implicit-def: $sgpr74
	s_delay_alu instid0(VALU_DEP_1)
	v_cmp_eq_u32_e32 vcc_lo, 0, v2
	s_branch .LBB2_5111
.LBB2_5108:                             ;   in Loop: Header=BB2_5111 Depth=3
	s_wait_loadcnt_dscnt 0x0
	v_cmp_ge_u64_e64 s13, v[34:35], v[10:11]
	s_or_b32 s78, s78, exec_lo
	s_or_not1_b32 s77, s13, exec_lo
.LBB2_5109:                             ;   in Loop: Header=BB2_5111 Depth=3
	s_or_b32 exec_lo, exec_lo, s88
	s_delay_alu instid0(SALU_CYCLE_1)
	s_and_not1_b32 s13, s74, exec_lo
	s_and_b32 s74, s78, exec_lo
	s_and_not1_b32 s73, s73, exec_lo
	s_and_b32 s77, s77, exec_lo
	s_or_b32 s74, s13, s74
	s_or_b32 s73, s73, s77
.LBB2_5110:                             ;   in Loop: Header=BB2_5111 Depth=3
	s_or_b32 exec_lo, exec_lo, s76
	s_delay_alu instid0(SALU_CYCLE_1) | instskip(NEXT) | instid1(SALU_CYCLE_1)
	s_and_b32 s13, exec_lo, s73
	s_or_b32 s45, s13, s45
	s_and_not1_b32 s13, s72, exec_lo
	s_and_b32 s72, s74, exec_lo
	s_delay_alu instid0(SALU_CYCLE_1)
	s_or_b32 s72, s13, s72
	s_and_not1_b32 exec_lo, exec_lo, s45
	s_cbranch_execz .LBB2_5115
.LBB2_5111:                             ;   Parent Loop BB2_47 Depth=1
                                        ;     Parent Loop BB2_5105 Depth=2
                                        ; =>    This Inner Loop Header: Depth=3
	s_sleep 1
	s_wait_loadcnt_dscnt 0x0
	flat_load_b64 v[34:35], v[22:23] scope:SCOPE_SYS
	s_or_b32 s74, s74, exec_lo
	s_or_b32 s73, s73, exec_lo
                                        ; implicit-def: $vgpr2
	s_wait_xcnt 0x0
	s_and_saveexec_b32 s76, vcc_lo
	s_cbranch_execz .LBB2_5110
; %bb.5112:                             ;   in Loop: Header=BB2_5111 Depth=3
	s_cmp_lt_i32 s75, 0x270f
	s_mov_b32 s77, -1
	s_cselect_b32 s79, -1, 0
	s_cmp_gt_i32 s75, 0x270e
	s_cbranch_scc0 .LBB2_5114
; %bb.5113:                             ;   in Loop: Header=BB2_5111 Depth=3
	s_trap 2
	ds_load_b64 v[12:13], v0
	s_and_not1_b32 s75, s79, exec_lo
	s_mov_b32 s78, 0
	s_wait_storecnt 0x0
	s_wait_loadcnt_dscnt 0x0
	flat_load_b32 v2, v[12:13] scope:SCOPE_SYS
	s_wait_loadcnt_dscnt 0x0
	global_inv scope:SCOPE_SYS
	v_cmp_eq_u32_e64 s13, 0, v2
	s_and_b32 s13, s13, exec_lo
	s_delay_alu instid0(SALU_CYCLE_1)
	s_or_b32 s79, s75, s13
	s_mov_b32 s75, 0
	s_and_saveexec_b32 s88, s79
	s_cbranch_execz .LBB2_5109
	s_branch .LBB2_5108
.LBB2_5114:                             ;   in Loop: Header=BB2_5111 Depth=3
	s_add_co_i32 s75, s75, 1
	s_mov_b32 s78, -1
                                        ; implicit-def: $vgpr2
	s_and_saveexec_b32 s88, s79
	s_cbranch_execz .LBB2_5109
	s_branch .LBB2_5108
.LBB2_5115:                             ;   in Loop: Header=BB2_5105 Depth=2
	s_or_b32 exec_lo, exec_lo, s45
	s_xor_b32 s13, s72, -1
	s_delay_alu instid0(SALU_CYCLE_1) | instskip(NEXT) | instid1(SALU_CYCLE_1)
	s_and_saveexec_b32 s45, s13
	s_xor_b32 s13, exec_lo, s45
	s_cbranch_execz .LBB2_5117
; %bb.5116:                             ;   in Loop: Header=BB2_5105 Depth=2
	v_or_b32_e32 v30, 64, v30
	s_wait_storecnt 0x0
	s_wait_loadcnt_dscnt 0x0
	ds_store_b32 v0, v2
	s_trap 2
.LBB2_5117:                             ;   in Loop: Header=BB2_5105 Depth=2
	s_or_b32 exec_lo, exec_lo, s13
.LBB2_5118:                             ;   in Loop: Header=BB2_5105 Depth=2
	s_delay_alu instid0(SALU_CYCLE_1) | instskip(SKIP_3) | instid1(VALU_DEP_1)
	s_or_b32 exec_lo, exec_lo, s44
	v_and_b32_e32 v2, 0x100, v30
	s_mov_b32 s13, -1
	;;#ASMSTART
	s_wakeup
	;;#ASMEND
                                        ; implicit-def: $vgpr12_vgpr13
	v_cmp_ne_u32_e32 vcc_lo, 0, v2
	v_and_b32_e32 v2, 7, v98
	s_and_saveexec_b32 s44, vcc_lo
	s_cbranch_execz .LBB2_5122
; %bb.5119:                             ;   in Loop: Header=BB2_5105 Depth=2
	s_delay_alu instid0(VALU_DEP_1)
	v_mad_nc_u64_u32 v[14:15], v2, 24, v[6:7]
	s_mov_b32 s45, exec_lo
                                        ; implicit-def: $vgpr12_vgpr13
	flat_load_b32 v9, v[14:15]
	s_wait_loadcnt_dscnt 0x0
	v_cmp_ne_u32_e32 vcc_lo, 1, v9
	s_wait_xcnt 0x0
	v_cmpx_eq_u32_e32 1, v9
	s_cbranch_execz .LBB2_5121
; %bb.5120:                             ;   in Loop: Header=BB2_5105 Depth=2
	flat_load_b32 v12, v[14:15] offset:4 scope:SCOPE_SYS
	s_wait_loadcnt_dscnt 0x0
	v_ashrrev_i32_e32 v13, 31, v12
.LBB2_5121:                             ;   in Loop: Header=BB2_5105 Depth=2
	s_wait_xcnt 0x0
	s_or_b32 exec_lo, exec_lo, s45
	s_delay_alu instid0(SALU_CYCLE_1)
	s_or_not1_b32 s13, vcc_lo, exec_lo
.LBB2_5122:                             ;   in Loop: Header=BB2_5105 Depth=2
	s_or_b32 exec_lo, exec_lo, s44
	s_and_saveexec_b32 s44, s13
; %bb.5123:                             ;   in Loop: Header=BB2_5105 Depth=2
	v_mul_u64_e32 v[12:13], v[2:3], v[24:25]
; %bb.5124:                             ;   in Loop: Header=BB2_5105 Depth=2
	s_or_b32 exec_lo, exec_lo, s44
	s_delay_alu instid0(VALU_DEP_1)
	v_add_nc_u64_e32 v[12:13], v[26:27], v[12:13]
	v_and_b32_e32 v2, 0x2000, v30
	s_mov_b32 s13, exec_lo
	ds_store_b64 v0, v[12:13] offset:720
	v_cmpx_ne_u32_e32 0, v2
	s_cbranch_execz .LBB2_5126
; %bb.5125:                             ;   in Loop: Header=BB2_5105 Depth=2
	ds_load_b64 v[12:13], v0 offset:872
	s_wait_dscnt 0x0
	v_add_nc_u64_e32 v[12:13], 1, v[12:13]
	ds_store_b64 v0, v[12:13] offset:872
.LBB2_5126:                             ;   in Loop: Header=BB2_5105 Depth=2
	s_or_b32 exec_lo, exec_lo, s13
	v_mov_b64_e32 v[98:99], v[10:11]
.LBB2_5127:                             ;   in Loop: Header=BB2_5105 Depth=2
	s_or_b32 exec_lo, exec_lo, s41
	s_xor_b32 s13, s18, -1
	s_delay_alu instid0(SALU_CYCLE_1) | instskip(NEXT) | instid1(SALU_CYCLE_1)
	s_and_b32 s13, exec_lo, s13
	s_or_b32 s15, s13, s15
	s_and_saveexec_b32 s13, s2
	s_cbranch_execz .LBB2_5146
; %bb.5128:                             ;   in Loop: Header=BB2_5105 Depth=2
	s_and_saveexec_b32 s18, s3
	s_delay_alu instid0(SALU_CYCLE_1)
	s_xor_b32 s18, exec_lo, s18
	s_cbranch_execz .LBB2_5143
; %bb.5129:                             ;   in Loop: Header=BB2_5105 Depth=2
	s_and_saveexec_b32 s41, s6
	s_cbranch_execz .LBB2_5142
; %bb.5130:                             ;   in Loop: Header=BB2_5105 Depth=2
	s_mov_b32 s45, exec_lo
	s_mov_b32 s44, exec_lo
	v_mbcnt_lo_u32_b32 v2, s45, 0
	global_wb scope:SCOPE_DEV
	s_wait_storecnt 0x0
	s_wait_loadcnt_dscnt 0x0
	global_inv scope:SCOPE_DEV
	v_cmpx_eq_u32_e32 0, v2
	s_cbranch_execz .LBB2_5132
; %bb.5131:                             ;   in Loop: Header=BB2_5105 Depth=2
	s_bcnt1_i32_b32 s45, s45
	s_delay_alu instid0(SALU_CYCLE_1)
	v_mov_b32_e32 v2, s45
	s_wait_loadcnt 0x0
	ds_add_u64 v0, v[2:3]
	s_trap 2
.LBB2_5132:                             ;   in Loop: Header=BB2_5105 Depth=2
	s_or_b32 exec_lo, exec_lo, s44
	s_trap 2
	ds_load_b64 v[10:11], v0
	s_wait_dscnt 0x0
	v_add_nc_u64_e32 v[32:33], v[32:33], v[36:37]
	s_mov_b32 s44, exec_lo
	s_delay_alu instid0(VALU_DEP_1)
	v_cmpx_lt_u64_e64 v[10:11], v[32:33]
	s_cbranch_execz .LBB2_5141
; %bb.5133:                             ;   in Loop: Header=BB2_5105 Depth=2
	s_mov_b32 s45, 0
	s_mov_b32 s74, 0
                                        ; implicit-def: $sgpr72
                                        ; implicit-def: $sgpr73
	s_branch .LBB2_5135
.LBB2_5134:                             ;   in Loop: Header=BB2_5135 Depth=3
	s_or_b32 exec_lo, exec_lo, s76
	s_delay_alu instid0(SALU_CYCLE_1) | instskip(NEXT) | instid1(SALU_CYCLE_1)
	s_and_b32 s75, exec_lo, s77
	s_or_b32 s45, s75, s45
	s_and_not1_b32 s72, s72, exec_lo
	s_and_b32 s75, s73, exec_lo
	s_delay_alu instid0(SALU_CYCLE_1)
	s_or_b32 s72, s72, s75
	s_and_not1_b32 exec_lo, exec_lo, s45
	s_cbranch_execz .LBB2_5139
.LBB2_5135:                             ;   Parent Loop BB2_47 Depth=1
                                        ;     Parent Loop BB2_5105 Depth=2
                                        ; =>    This Inner Loop Header: Depth=3
	s_add_co_i32 s74, s74, 1
	s_delay_alu instid0(SALU_CYCLE_1) | instskip(SKIP_1) | instid1(SALU_CYCLE_1)
	s_cmp_lg_u32 s74, 0x2710
	s_cselect_b32 s75, -1, 0
	s_and_b32 vcc_lo, exec_lo, s75
	s_cbranch_vccz .LBB2_5137
; %bb.5136:                             ;   in Loop: Header=BB2_5135 Depth=3
	s_mov_b32 s77, -1
	s_or_b32 s73, s73, exec_lo
	s_and_saveexec_b32 s76, s75
	s_cbranch_execz .LBB2_5134
	s_branch .LBB2_5138
.LBB2_5137:                             ;   in Loop: Header=BB2_5135 Depth=3
	s_trap 2
	ds_load_b64 v[10:11], v0
	s_and_not1_b32 s75, s75, exec_lo
	s_mov_b32 s74, 0
	s_wait_loadcnt_dscnt 0x0
	flat_load_b32 v2, v[10:11] scope:SCOPE_SYS
	s_wait_loadcnt_dscnt 0x0
	global_inv scope:SCOPE_SYS
	v_cmp_eq_u32_e32 vcc_lo, 0, v2
	s_and_b32 s76, vcc_lo, exec_lo
	s_delay_alu instid0(SALU_CYCLE_1)
	s_or_b32 s75, s75, s76
	s_mov_b32 s77, -1
	s_or_b32 s73, s73, exec_lo
	s_and_saveexec_b32 s76, s75
	s_cbranch_execz .LBB2_5134
.LBB2_5138:                             ;   in Loop: Header=BB2_5135 Depth=3
	s_sleep 1
	s_trap 2
	ds_load_b64 v[10:11], v0
	s_wait_dscnt 0x0
	s_and_not1_b32 s73, s73, exec_lo
	v_cmp_ge_u64_e32 vcc_lo, v[10:11], v[32:33]
	s_or_not1_b32 s77, vcc_lo, exec_lo
	s_branch .LBB2_5134
.LBB2_5139:                             ;   in Loop: Header=BB2_5105 Depth=2
	s_or_b32 exec_lo, exec_lo, s45
	s_and_saveexec_b32 s45, s72
	s_delay_alu instid0(SALU_CYCLE_1)
	s_xor_b32 s45, exec_lo, s45
	s_cbranch_execz .LBB2_5141
; %bb.5140:                             ;   in Loop: Header=BB2_5105 Depth=2
	ds_store_b32 v0, v75
	s_trap 2
.LBB2_5141:                             ;   in Loop: Header=BB2_5105 Depth=2
	s_or_b32 exec_lo, exec_lo, s44
	;;#ASMSTART
	s_wakeup
	;;#ASMEND
.LBB2_5142:                             ;   in Loop: Header=BB2_5105 Depth=2
	s_or_b32 exec_lo, exec_lo, s41
.LBB2_5143:                             ;   in Loop: Header=BB2_5105 Depth=2
	s_and_not1_saveexec_b32 s18, s18
	s_cbranch_execz .LBB2_5145
; %bb.5144:                             ;   in Loop: Header=BB2_5105 Depth=2
	global_wb scope:SCOPE_DEV
	s_wait_storecnt 0x0
	s_wait_loadcnt_dscnt 0x0
	global_inv scope:SCOPE_DEV
	s_barrier_signal -1
	s_barrier_wait -1
.LBB2_5145:                             ;   in Loop: Header=BB2_5105 Depth=2
	s_or_b32 exec_lo, exec_lo, s18
.LBB2_5146:                             ;   in Loop: Header=BB2_5105 Depth=2
	s_delay_alu instid0(SALU_CYCLE_1) | instskip(SKIP_1) | instid1(VALU_DEP_1)
	s_or_b32 exec_lo, exec_lo, s13
	v_sub_nc_u32_e32 v2, v112, v8
	v_min_i32_e32 v113, v113, v2
	s_and_saveexec_b32 s13, s7
	s_delay_alu instid0(SALU_CYCLE_1)
	s_xor_b32 s18, exec_lo, s13
	s_cbranch_execz .LBB2_5150
; %bb.5147:                             ;   in Loop: Header=BB2_5105 Depth=2
	s_trap 2
	ds_load_b32 v2, v0
	v_cmp_lt_i32_e32 vcc_lo, 0, v113
	s_wait_dscnt 0x0
	v_readfirstlane_b32 s13, v2
	v_and_b32_e32 v2, 16, v30
	s_cmp_eq_u32 s13, 0
	s_delay_alu instid0(VALU_DEP_1) | instskip(SKIP_1) | instid1(SALU_CYCLE_1)
	v_cmp_ne_u32_e64 s13, 0, v2
	s_cselect_b32 s41, -1, 0
	s_and_b32 s41, vcc_lo, s41
	s_delay_alu instid0(SALU_CYCLE_1) | instskip(NEXT) | instid1(SALU_CYCLE_1)
	s_and_b32 s41, s13, s41
	s_and_saveexec_b32 s13, s41
	s_cbranch_execz .LBB2_5149
; %bb.5148:                             ;   in Loop: Header=BB2_5105 Depth=2
	global_wb scope:SCOPE_SYS
	s_wait_loadcnt 0x0
	s_wait_storecnt 0x0
	global_inv scope:SCOPE_SYS
.LBB2_5149:                             ;   in Loop: Header=BB2_5105 Depth=2
	s_or_b32 exec_lo, exec_lo, s13
.LBB2_5150:                             ;   in Loop: Header=BB2_5105 Depth=2
	s_and_not1_saveexec_b32 s13, s18
	s_cbranch_execz .LBB2_5169
; %bb.5151:                             ;   in Loop: Header=BB2_5105 Depth=2
	s_and_saveexec_b32 s18, s3
	s_delay_alu instid0(SALU_CYCLE_1)
	s_xor_b32 s18, exec_lo, s18
	s_cbranch_execz .LBB2_5166
; %bb.5152:                             ;   in Loop: Header=BB2_5105 Depth=2
	s_and_saveexec_b32 s41, s6
	s_cbranch_execz .LBB2_5165
; %bb.5153:                             ;   in Loop: Header=BB2_5105 Depth=2
	s_mov_b32 s45, exec_lo
	s_mov_b32 s44, exec_lo
	v_mbcnt_lo_u32_b32 v2, s45, 0
	;;#ASMSTART
	s_waitcnt lgkmcnt(0) vmcnt(0)
	;;#ASMEND
	s_delay_alu instid0(VALU_DEP_1)
	v_cmpx_eq_u32_e32 0, v2
	s_cbranch_execz .LBB2_5155
; %bb.5154:                             ;   in Loop: Header=BB2_5105 Depth=2
	s_bcnt1_i32_b32 s45, s45
	s_delay_alu instid0(SALU_CYCLE_1)
	v_mov_b32_e32 v2, s45
	s_wait_storecnt 0x0
	s_wait_loadcnt_dscnt 0x0
	ds_add_u64 v0, v[2:3]
	s_trap 2
.LBB2_5155:                             ;   in Loop: Header=BB2_5105 Depth=2
	s_or_b32 exec_lo, exec_lo, s44
	s_trap 2
	ds_load_b64 v[10:11], v0
	s_wait_dscnt 0x0
	v_add_nc_u64_e32 v[32:33], v[32:33], v[36:37]
	s_mov_b32 s44, exec_lo
	s_delay_alu instid0(VALU_DEP_1)
	v_cmpx_lt_u64_e64 v[10:11], v[32:33]
	s_cbranch_execz .LBB2_5164
; %bb.5156:                             ;   in Loop: Header=BB2_5105 Depth=2
	s_mov_b32 s45, 0
	s_mov_b32 s74, 0
                                        ; implicit-def: $sgpr72
                                        ; implicit-def: $sgpr73
	s_branch .LBB2_5158
.LBB2_5157:                             ;   in Loop: Header=BB2_5158 Depth=3
	s_or_b32 exec_lo, exec_lo, s76
	s_delay_alu instid0(SALU_CYCLE_1) | instskip(NEXT) | instid1(SALU_CYCLE_1)
	s_and_b32 s75, exec_lo, s77
	s_or_b32 s45, s75, s45
	s_and_not1_b32 s72, s72, exec_lo
	s_and_b32 s75, s73, exec_lo
	s_delay_alu instid0(SALU_CYCLE_1)
	s_or_b32 s72, s72, s75
	s_and_not1_b32 exec_lo, exec_lo, s45
	s_cbranch_execz .LBB2_5162
.LBB2_5158:                             ;   Parent Loop BB2_47 Depth=1
                                        ;     Parent Loop BB2_5105 Depth=2
                                        ; =>    This Inner Loop Header: Depth=3
	s_add_co_i32 s74, s74, 1
	s_delay_alu instid0(SALU_CYCLE_1) | instskip(SKIP_1) | instid1(SALU_CYCLE_1)
	s_cmp_lg_u32 s74, 0x2710
	s_cselect_b32 s75, -1, 0
	s_and_b32 vcc_lo, exec_lo, s75
	s_cbranch_vccz .LBB2_5160
; %bb.5159:                             ;   in Loop: Header=BB2_5158 Depth=3
	s_mov_b32 s77, -1
	s_or_b32 s73, s73, exec_lo
	s_and_saveexec_b32 s76, s75
	s_cbranch_execz .LBB2_5157
	s_branch .LBB2_5161
.LBB2_5160:                             ;   in Loop: Header=BB2_5158 Depth=3
	s_trap 2
	ds_load_b64 v[10:11], v0
	s_and_not1_b32 s75, s75, exec_lo
	s_mov_b32 s74, 0
	s_wait_storecnt 0x0
	s_wait_loadcnt_dscnt 0x0
	flat_load_b32 v2, v[10:11] scope:SCOPE_SYS
	s_wait_loadcnt_dscnt 0x0
	global_inv scope:SCOPE_SYS
	v_cmp_eq_u32_e32 vcc_lo, 0, v2
	s_and_b32 s76, vcc_lo, exec_lo
	s_delay_alu instid0(SALU_CYCLE_1)
	s_or_b32 s75, s75, s76
	s_mov_b32 s77, -1
	s_or_b32 s73, s73, exec_lo
	s_and_saveexec_b32 s76, s75
	s_cbranch_execz .LBB2_5157
.LBB2_5161:                             ;   in Loop: Header=BB2_5158 Depth=3
	s_sleep 1
	s_trap 2
	ds_load_b64 v[10:11], v0
	s_wait_dscnt 0x0
	s_and_not1_b32 s73, s73, exec_lo
	v_cmp_ge_u64_e32 vcc_lo, v[10:11], v[32:33]
	s_or_not1_b32 s77, vcc_lo, exec_lo
	s_branch .LBB2_5157
.LBB2_5162:                             ;   in Loop: Header=BB2_5105 Depth=2
	s_or_b32 exec_lo, exec_lo, s45
	s_and_saveexec_b32 s45, s72
	s_delay_alu instid0(SALU_CYCLE_1)
	s_xor_b32 s45, exec_lo, s45
	s_cbranch_execz .LBB2_5164
; %bb.5163:                             ;   in Loop: Header=BB2_5105 Depth=2
	ds_store_b32 v0, v75
	s_trap 2
.LBB2_5164:                             ;   in Loop: Header=BB2_5105 Depth=2
	s_or_b32 exec_lo, exec_lo, s44
	;;#ASMSTART
	s_wakeup
	;;#ASMEND
.LBB2_5165:                             ;   in Loop: Header=BB2_5105 Depth=2
	s_or_b32 exec_lo, exec_lo, s41
.LBB2_5166:                             ;   in Loop: Header=BB2_5105 Depth=2
	s_and_not1_saveexec_b32 s18, s18
	s_cbranch_execz .LBB2_5168
; %bb.5167:                             ;   in Loop: Header=BB2_5105 Depth=2
	;;#ASMSTART
	s_waitcnt lgkmcnt(0) vmcnt(0)
	;;#ASMEND
	s_barrier_signal -1
	s_barrier_wait -1
.LBB2_5168:                             ;   in Loop: Header=BB2_5105 Depth=2
	s_or_b32 exec_lo, exec_lo, s18
.LBB2_5169:                             ;   in Loop: Header=BB2_5105 Depth=2
	s_delay_alu instid0(SALU_CYCLE_1) | instskip(SKIP_2) | instid1(VALU_DEP_1)
	s_or_b32 exec_lo, exec_lo, s13
	v_and_b32_e32 v2, 32, v30
	s_mov_b32 s13, exec_lo
	v_cmpx_ne_u32_e32 0, v2
	s_cbranch_execz .LBB2_5104
; %bb.5170:                             ;   in Loop: Header=BB2_5105 Depth=2
	v_add_nc_u64_e32 v[98:99], 2, v[98:99]
	global_wb scope:SCOPE_SYS
	s_wait_storecnt 0x0
	s_wait_loadcnt_dscnt 0x0
	flat_store_b64 v[22:23], v[98:99] scope:SCOPE_SYS
	s_branch .LBB2_5104
.LBB2_5171:
	s_or_b32 exec_lo, exec_lo, s63
.LBB2_5172:
	s_delay_alu instid0(SALU_CYCLE_1) | instskip(SKIP_2) | instid1(VALU_DEP_1)
	s_or_b32 exec_lo, exec_lo, s47
	v_and_b32_e32 v0, 0x800, v30
	s_mov_b32 s1, exec_lo
	v_cmpx_eq_u32_e32 0, v0
	s_cbranch_execz .LBB2_5205
; %bb.5173:
	v_and_b32_e32 v0, 48, v30
	s_mov_b32 s0, exec_lo
	s_delay_alu instid0(VALU_DEP_1)
	v_cmpx_ne_u32_e32 0, v0
	s_cbranch_execz .LBB2_5175
; %bb.5174:
	flat_store_b64 v[20:21], v[98:99] offset:104
.LBB2_5175:
	s_wait_xcnt 0x0
	s_or_b32 exec_lo, exec_lo, s0
	v_and_b32_e32 v0, 0x88, v30
	s_mov_b32 s2, exec_lo
	s_delay_alu instid0(VALU_DEP_1)
	v_cmpx_eq_u32_e32 0x88, v0
	s_cbranch_execz .LBB2_5185
; %bb.5176:
	v_add_nc_u32_e32 v0, 6, v98
	s_mov_b32 s3, 0
	s_delay_alu instid0(VALU_DEP_1) | instskip(NEXT) | instid1(VALU_DEP_1)
	v_and_b32_e32 v0, 7, v0
	v_mad_nc_u64_u32 v[2:3], v0, 24, v[6:7]
	v_and_b32_e32 v0, 64, v30
	s_delay_alu instid0(VALU_DEP_1)
	v_cmp_eq_u32_e64 s0, 0, v0
	flat_load_b64 v[4:5], v[2:3] offset:8 scope:SCOPE_SYS
	s_wait_loadcnt_dscnt 0x0
	v_cmp_ne_u64_e32 vcc_lo, -1, v[4:5]
	s_and_b32 s0, vcc_lo, s0
	s_wait_xcnt 0x0
	s_and_b32 exec_lo, exec_lo, s0
	s_cbranch_execz .LBB2_5185
; %bb.5177:
	s_mov_b32 s5, 0
                                        ; implicit-def: $sgpr0
                                        ; implicit-def: $sgpr4
	s_branch .LBB2_5180
.LBB2_5178:                             ;   in Loop: Header=BB2_5180 Depth=1
	flat_load_b64 v[4:5], v[2:3] offset:8 scope:SCOPE_SYS
	s_wait_loadcnt 0x0
	s_and_not1_b32 s4, s4, exec_lo
	s_wait_dscnt 0x0
	v_cmp_eq_u64_e32 vcc_lo, -1, v[4:5]
	s_or_not1_b32 s7, vcc_lo, exec_lo
.LBB2_5179:                             ;   in Loop: Header=BB2_5180 Depth=1
	s_wait_xcnt 0x0
	s_or_b32 exec_lo, exec_lo, s10
	s_delay_alu instid0(SALU_CYCLE_1) | instskip(NEXT) | instid1(SALU_CYCLE_1)
	s_and_b32 s6, exec_lo, s7
	s_or_b32 s3, s6, s3
	s_and_not1_b32 s0, s0, exec_lo
	s_and_b32 s6, s4, exec_lo
	s_delay_alu instid0(SALU_CYCLE_1)
	s_or_b32 s0, s0, s6
	s_and_not1_b32 exec_lo, exec_lo, s3
	s_cbranch_execz .LBB2_5183
.LBB2_5180:                             ; =>This Inner Loop Header: Depth=1
	s_cmp_lt_i32 s5, 0x270f
	s_cselect_b32 s6, -1, 0
	s_delay_alu instid0(SALU_CYCLE_1)
	s_and_b32 vcc_lo, exec_lo, s6
	s_cbranch_vccnz .LBB2_5182
; %bb.5181:                             ;   in Loop: Header=BB2_5180 Depth=1
	s_trap 2
	ds_load_b64 v[4:5], v0
	s_and_not1_b32 s6, s6, exec_lo
	s_mov_b32 s5, 0
	s_wait_storecnt_dscnt 0x0
	flat_load_b32 v0, v[4:5] scope:SCOPE_SYS
	s_wait_loadcnt_dscnt 0x0
	global_inv scope:SCOPE_SYS
	v_cmp_eq_u32_e32 vcc_lo, 0, v0
	s_and_b32 s7, vcc_lo, exec_lo
	s_delay_alu instid0(SALU_CYCLE_1)
	s_or_b32 s6, s6, s7
	s_mov_b32 s7, -1
	s_or_b32 s4, s4, exec_lo
	s_wait_xcnt 0x0
	s_and_saveexec_b32 s10, s6
	s_cbranch_execz .LBB2_5179
	s_branch .LBB2_5178
.LBB2_5182:                             ;   in Loop: Header=BB2_5180 Depth=1
	s_add_co_i32 s5, s5, 1
                                        ; implicit-def: $vgpr0
	s_mov_b32 s7, -1
	s_or_b32 s4, s4, exec_lo
	s_and_saveexec_b32 s10, s6
	s_cbranch_execz .LBB2_5179
	s_branch .LBB2_5178
.LBB2_5183:
	s_or_b32 exec_lo, exec_lo, s3
	s_and_saveexec_b32 s3, s0
	s_delay_alu instid0(SALU_CYCLE_1)
	s_xor_b32 s3, exec_lo, s3
	s_cbranch_execz .LBB2_5185
; %bb.5184:
	s_wait_loadcnt 0x0
	s_wait_storecnt 0x0
	ds_store_b32 v0, v0
	s_trap 2
.LBB2_5185:
	s_or_b32 exec_lo, exec_lo, s2
	v_and_b32_e32 v0, 0x2000, v30
	s_mov_b32 s0, exec_lo
	s_delay_alu instid0(VALU_DEP_1)
	v_cmpx_ne_u32_e32 0, v0
	s_cbranch_execz .LBB2_5187
; %bb.5186:
	s_trap 2
	scratch_load_b64 v[4:5], off, s33 offset:184 th:TH_LOAD_LU ; 8-byte Folded Reload
	ds_load_b64 v[2:3], v0
	s_wait_loadcnt_dscnt 0x0
	flat_store_b64 v[4:5], v[2:3] offset:16
.LBB2_5187:
	s_wait_xcnt 0x0
	s_or_b32 exec_lo, exec_lo, s0
	v_cmp_ne_u32_e32 vcc_lo, 32, v1
	s_and_b32 exec_lo, exec_lo, vcc_lo
	s_cbranch_execz .LBB2_5205
; %bb.5188:
	s_mov_b32 s0, exec_lo
	v_cmpx_ne_u32_e64 v1, v74
	s_xor_b32 s0, exec_lo, s0
	s_cbranch_execz .LBB2_5203
; %bb.5189:
	v_and_b32_e32 v0, 31, v31
	s_mov_b32 s2, exec_lo
	s_delay_alu instid0(VALU_DEP_1)
	v_cmpx_eq_u32_e32 0, v0
	s_cbranch_execz .LBB2_5202
; %bb.5190:
	s_mov_b32 s4, exec_lo
	s_mov_b32 s3, exec_lo
	v_mbcnt_lo_u32_b32 v0, s4, 0
	global_wb scope:SCOPE_DEV
	s_wait_storecnt 0x0
	s_wait_loadcnt_dscnt 0x0
	global_inv scope:SCOPE_DEV
	v_cmpx_eq_u32_e32 0, v0
	s_cbranch_execz .LBB2_5192
; %bb.5191:
	s_bcnt1_i32_b32 s4, s4
	s_delay_alu instid0(SALU_CYCLE_1)
	v_dual_mov_b32 v3, 0 :: v_dual_mov_b32 v2, s4
	s_wait_loadcnt 0x0
	ds_add_u64 v0, v[2:3]
	s_trap 2
.LBB2_5192:
	s_or_b32 exec_lo, exec_lo, s3
	s_trap 2
	ds_load_b64 v[2:3], v0
	s_wait_dscnt 0x0
	v_dual_mov_b32 v1, 0 :: v_dual_lshrrev_b32 v0, 5, v1
	s_mov_b32 s3, exec_lo
	s_delay_alu instid0(VALU_DEP_1) | instskip(NEXT) | instid1(VALU_DEP_1)
	v_add_nc_u64_e32 v[0:1], v[32:33], v[0:1]
	v_cmpx_lt_u64_e64 v[2:3], v[0:1]
	s_cbranch_execz .LBB2_5201
; %bb.5193:
	s_mov_b32 s4, 0
	s_mov_b32 s7, 0
                                        ; implicit-def: $sgpr5
                                        ; implicit-def: $sgpr6
	s_branch .LBB2_5195
.LBB2_5194:                             ;   in Loop: Header=BB2_5195 Depth=1
	s_or_b32 exec_lo, exec_lo, s11
	s_delay_alu instid0(SALU_CYCLE_1) | instskip(NEXT) | instid1(SALU_CYCLE_1)
	s_and_b32 s10, exec_lo, s12
	s_or_b32 s4, s10, s4
	s_and_not1_b32 s5, s5, exec_lo
	s_and_b32 s10, s6, exec_lo
	s_delay_alu instid0(SALU_CYCLE_1)
	s_or_b32 s5, s5, s10
	s_and_not1_b32 exec_lo, exec_lo, s4
	s_cbranch_execz .LBB2_5199
.LBB2_5195:                             ; =>This Inner Loop Header: Depth=1
	s_add_co_i32 s7, s7, 1
	s_delay_alu instid0(SALU_CYCLE_1) | instskip(SKIP_1) | instid1(SALU_CYCLE_1)
	s_cmp_lg_u32 s7, 0x2710
	s_cselect_b32 s10, -1, 0
	s_and_b32 vcc_lo, exec_lo, s10
	s_cbranch_vccz .LBB2_5197
; %bb.5196:                             ;   in Loop: Header=BB2_5195 Depth=1
	s_mov_b32 s12, -1
	s_or_b32 s6, s6, exec_lo
	s_and_saveexec_b32 s11, s10
	s_cbranch_execz .LBB2_5194
	s_branch .LBB2_5198
.LBB2_5197:                             ;   in Loop: Header=BB2_5195 Depth=1
	s_trap 2
	ds_load_b64 v[2:3], v0
	s_and_not1_b32 s10, s10, exec_lo
	s_mov_b32 s7, 0
	s_wait_loadcnt_dscnt 0x0
	flat_load_b32 v2, v[2:3] scope:SCOPE_SYS
	s_wait_loadcnt_dscnt 0x0
	global_inv scope:SCOPE_SYS
	v_cmp_eq_u32_e32 vcc_lo, 0, v2
	s_and_b32 s11, vcc_lo, exec_lo
	s_delay_alu instid0(SALU_CYCLE_1)
	s_or_b32 s10, s10, s11
	s_mov_b32 s12, -1
	s_or_b32 s6, s6, exec_lo
	s_and_saveexec_b32 s11, s10
	s_cbranch_execz .LBB2_5194
.LBB2_5198:                             ;   in Loop: Header=BB2_5195 Depth=1
	s_sleep 1
	s_trap 2
	ds_load_b64 v[2:3], v0
	s_wait_dscnt 0x0
	s_and_not1_b32 s6, s6, exec_lo
	v_cmp_ge_u64_e32 vcc_lo, v[2:3], v[0:1]
	s_or_not1_b32 s12, vcc_lo, exec_lo
	s_branch .LBB2_5194
.LBB2_5199:
	s_or_b32 exec_lo, exec_lo, s4
	s_and_saveexec_b32 s4, s5
	s_delay_alu instid0(SALU_CYCLE_1)
	s_xor_b32 s4, exec_lo, s4
	s_cbranch_execz .LBB2_5201
; %bb.5200:
	v_mov_b32_e32 v0, 1
	ds_store_b32 v0, v0
	s_trap 2
.LBB2_5201:
	s_or_b32 exec_lo, exec_lo, s3
	;;#ASMSTART
	s_wakeup
	;;#ASMEND
.LBB2_5202:
	s_or_b32 exec_lo, exec_lo, s2
.LBB2_5203:
	s_and_not1_saveexec_b32 s0, s0
	s_cbranch_execz .LBB2_5205
; %bb.5204:
	global_wb scope:SCOPE_DEV
	s_wait_storecnt 0x0
	s_wait_loadcnt_dscnt 0x0
	global_inv scope:SCOPE_DEV
	s_barrier_signal -1
	s_barrier_wait -1
.LBB2_5205:
	s_or_b32 exec_lo, exec_lo, s1
.LBB2_5206:
	s_and_not1_saveexec_b32 s21, s46
	s_cbranch_execz .LBB2_5208
; %bb.5207:
	s_get_pc_i64 s[0:1]
	s_add_nc_u64 s[0:1], s[0:1], __PRETTY_FUNCTION__._ZN10PrimitivesI14__hip_fp8_e4m37FuncSumIS0_E12FanSymmetricILi1EELi0E11ProtoSimpleILi2ELi2ELi0ELi1ELi0ELi0EELi0ELb0ELi0ELi0ELi0EEC2EiiPKiS9_PKvPvmhhhP15ncclDevWorkCollP14ncclDevWorkP2pii@rel64+4
	s_get_pc_i64 s[2:3]
	s_add_nc_u64 s[2:3], s[2:3], __assert_fail@rel64+4
	v_dual_mov_b32 v0, s0 :: v_dual_mov_b32 v1, s1
	s_swap_pc_i64 s[30:31], s[2:3]
	; divergent unreachable
.LBB2_5208:
	s_or_b32 exec_lo, exec_lo, s21
	s_clause 0x2d
	scratch_load_b32 v125, off, s33
	scratch_load_b32 v124, off, s33 offset:4
	scratch_load_b32 v123, off, s33 offset:8
	;; [unrolled: 1-line block ×45, first 2 shown]
	v_readlane_b32 s30, v126, 0
	v_readlane_b32 s31, v126, 1
	s_mov_b32 s32, s33
	s_wait_xcnt 0x0
	s_or_saveexec_b32 s0, -1
	scratch_load_b32 v126, off, s33 offset:192 ; 4-byte Folded Reload
	s_wait_xcnt 0x0
	s_mov_b32 exec_lo, s0
	s_mov_b32 s33, s91
	s_wait_loadcnt_dscnt 0x0
	s_set_pc_i64 s[30:31]
.Lfunc_end2:
	.size	_ZN12_GLOBAL__N_17runRingI14__hip_fp8_e4m37FuncSumIS1_E11ProtoSimpleILi2ELi2ELi0ELi1ELi0ELi0EELi0ELi0ELi1ELi0EEEviiP15ncclDevWorkColl, .Lfunc_end2-_ZN12_GLOBAL__N_17runRingI14__hip_fp8_e4m37FuncSumIS1_E11ProtoSimpleILi2ELi2ELi0ELi1ELi0ELi0EELi0ELi0ELi1ELi0EEEviiP15ncclDevWorkColl
                                        ; -- End function
	.set .L_ZN12_GLOBAL__N_17runRingI14__hip_fp8_e4m37FuncSumIS1_E11ProtoSimpleILi2ELi2ELi0ELi1ELi0ELi0EELi0ELi0ELi1ELi0EEEviiP15ncclDevWorkColl.num_vgpr, max(127, .L__assert_fail.num_vgpr)
	.set .L_ZN12_GLOBAL__N_17runRingI14__hip_fp8_e4m37FuncSumIS1_E11ProtoSimpleILi2ELi2ELi0ELi1ELi0ELi0EELi0ELi0ELi1ELi0EEEviiP15ncclDevWorkColl.num_agpr, max(0, .L__assert_fail.num_agpr)
	.set .L_ZN12_GLOBAL__N_17runRingI14__hip_fp8_e4m37FuncSumIS1_E11ProtoSimpleILi2ELi2ELi0ELi1ELi0ELi0EELi0ELi0ELi1ELi0EEEviiP15ncclDevWorkColl.numbered_sgpr, max(92, .L__assert_fail.numbered_sgpr)
	.set .L_ZN12_GLOBAL__N_17runRingI14__hip_fp8_e4m37FuncSumIS1_E11ProtoSimpleILi2ELi2ELi0ELi1ELi0ELi0EELi0ELi0ELi1ELi0EEEviiP15ncclDevWorkColl.num_named_barrier, max(0, .L__assert_fail.num_named_barrier)
	.set .L_ZN12_GLOBAL__N_17runRingI14__hip_fp8_e4m37FuncSumIS1_E11ProtoSimpleILi2ELi2ELi0ELi1ELi0ELi0EELi0ELi0ELi1ELi0EEEviiP15ncclDevWorkColl.private_seg_size, 208+max(.L__assert_fail.private_seg_size)
	.set .L_ZN12_GLOBAL__N_17runRingI14__hip_fp8_e4m37FuncSumIS1_E11ProtoSimpleILi2ELi2ELi0ELi1ELi0ELi0EELi0ELi0ELi1ELi0EEEviiP15ncclDevWorkColl.uses_vcc, or(1, .L__assert_fail.uses_vcc)
	.set .L_ZN12_GLOBAL__N_17runRingI14__hip_fp8_e4m37FuncSumIS1_E11ProtoSimpleILi2ELi2ELi0ELi1ELi0ELi0EELi0ELi0ELi1ELi0EEEviiP15ncclDevWorkColl.uses_flat_scratch, or(1, .L__assert_fail.uses_flat_scratch)
	.set .L_ZN12_GLOBAL__N_17runRingI14__hip_fp8_e4m37FuncSumIS1_E11ProtoSimpleILi2ELi2ELi0ELi1ELi0ELi0EELi0ELi0ELi1ELi0EEEviiP15ncclDevWorkColl.has_dyn_sized_stack, or(0, .L__assert_fail.has_dyn_sized_stack)
	.set .L_ZN12_GLOBAL__N_17runRingI14__hip_fp8_e4m37FuncSumIS1_E11ProtoSimpleILi2ELi2ELi0ELi1ELi0ELi0EELi0ELi0ELi1ELi0EEEviiP15ncclDevWorkColl.has_recursion, or(1, .L__assert_fail.has_recursion)
	.set .L_ZN12_GLOBAL__N_17runRingI14__hip_fp8_e4m37FuncSumIS1_E11ProtoSimpleILi2ELi2ELi0ELi1ELi0ELi0EELi0ELi0ELi1ELi0EEEviiP15ncclDevWorkColl.has_indirect_call, or(0, .L__assert_fail.has_indirect_call)
	.section	.AMDGPU.csdata,"",@progbits
; Function info:
; codeLenInByte = 172752
; TotalNumSgprs: 94
; NumVgprs: 127
; ScratchSize: 272
; MemoryBound: 1
	.text
	.p2align	2                               ; -- Begin function _Z50ncclDevFunc_AllReduce_RING_SIMPLE_Sum_f8e4m3_0_0_1v
	.type	_Z50ncclDevFunc_AllReduce_RING_SIMPLE_Sum_f8e4m3_0_0_1v,@function
_Z50ncclDevFunc_AllReduce_RING_SIMPLE_Sum_f8e4m3_0_0_1v: ; @_Z50ncclDevFunc_AllReduce_RING_SIMPLE_Sum_f8e4m3_0_0_1v
; %bb.0:
	s_wait_loadcnt_dscnt 0x0
	s_wait_kmcnt 0x0
	s_mov_b32 s0, s33
	s_mov_b32 s33, s32
	s_or_saveexec_b32 s1, -1
	scratch_store_b32 off, v42, s33 offset:12 ; 4-byte Folded Spill
	s_wait_xcnt 0x0
	s_mov_b32 exec_lo, s1
	v_writelane_b32 v42, s0, 4
	s_add_co_i32 s32, s32, 32
	s_clause 0x2
	scratch_store_b32 off, v40, s33 offset:8
	; meta instruction
	scratch_store_b32 off, v41, s33 offset:4
	; meta instruction
	scratch_store_b32 off, v126, s33
	v_writelane_b32 v42, s34, 0
	v_writelane_b32 v42, s35, 1
	;; [unrolled: 1-line block ×4, first 2 shown]
	s_trap 2
	ds_load_b32 v0, v0
	s_wait_xcnt 0x2
	v_mov_b32_e32 v40, v31
	s_wait_dscnt 0x0
	v_cmp_gt_i32_e32 vcc_lo, 1, v0
	s_cbranch_vccnz .LBB3_8
; %bb.1:
	s_wait_xcnt 0x1
	v_and_b32_e32 v41, 0x3ff, v40
	s_mov_b32 s94, s12
	s_mov_b64 s[92:93], s[8:9]
	s_mov_b32 s95, 0
	s_get_pc_i64 s[34:35]
	s_add_nc_u64 s[34:35], s[34:35], _ZN12_GLOBAL__N_17runRingI14__hip_fp8_e4m37FuncSumIS1_E11ProtoSimpleILi2ELi2ELi0ELi1ELi0ELi0EELi0ELi0ELi1ELi0EEEviiP15ncclDevWorkColl@rel64+4
	s_branch .LBB3_3
.LBB3_2:                                ;   in Loop: Header=BB3_3 Depth=1
	s_or_b32 exec_lo, exec_lo, vcc_hi
	s_trap 2
	ds_load_b32 v0, v0
	s_add_co_i32 s95, s95, 1
	s_wait_dscnt 0x0
	v_cmp_lt_i32_e32 vcc_lo, s95, v0
	s_cbranch_vccz .LBB3_8
.LBB3_3:                                ; =>This Inner Loop Header: Depth=1
	s_trap 2
	ds_load_b32 v0, v0
	s_cmp_eq_u32 s95, 0
	s_cbranch_scc1 .LBB3_6
; %bb.4:                                ;   in Loop: Header=BB3_3 Depth=1
	s_trap 2
	s_wait_dscnt 0x0
	ds_load_b32 v1, v0
	s_wait_dscnt 0x0
	v_xor_b32_e32 v1, v1, v0
	s_delay_alu instid0(VALU_DEP_1) | instskip(NEXT) | instid1(VALU_DEP_1)
	v_and_b32_e32 v1, 0xff0000, v1
	v_cmp_eq_u32_e32 vcc_lo, 0, v1
	s_cbranch_vccnz .LBB3_6
; %bb.5:                                ;   in Loop: Header=BB3_3 Depth=1
	s_wait_storecnt 0x0
	s_barrier_signal -1
	s_barrier_wait -1
	ds_load_b32 v0, v0
.LBB3_6:                                ;   in Loop: Header=BB3_3 Depth=1
	s_wait_dscnt 0x0
	v_lshrrev_b32_e32 v0, 11, v0
	s_mov_b32 vcc_hi, exec_lo
	s_delay_alu instid0(VALU_DEP_1) | instskip(SKIP_1) | instid1(VALU_DEP_1)
	v_and_b32_e32 v1, 0x1fe0, v0
	s_wait_xcnt 0x0
	v_cmpx_lt_u32_e64 v41, v1
	s_cbranch_execz .LBB3_2
; %bb.7:                                ;   in Loop: Header=BB3_3 Depth=1
	s_mov_b64 s[0:1], src_shared_base
	v_dual_mov_b32 v31, v40 :: v_dual_mov_b32 v0, v41
	v_mov_b32_e32 v3, s1
	s_mov_b64 s[8:9], s[92:93]
	s_mov_b32 s12, s94
	s_swap_pc_i64 s[30:31], s[34:35]
	s_branch .LBB3_2
.LBB3_8:
	s_clause 0x2
	scratch_load_b32 v126, off, s33
	scratch_load_b32 v41, off, s33 offset:4
	scratch_load_b32 v40, off, s33 offset:8
	v_readlane_b32 s30, v42, 2
	v_readlane_b32 s31, v42, 3
	;; [unrolled: 1-line block ×4, first 2 shown]
	s_mov_b32 s32, s33
	v_readlane_b32 s0, v42, 4
	s_wait_xcnt 0x0
	s_or_saveexec_b32 s1, -1
	scratch_load_b32 v42, off, s33 offset:12 ; 4-byte Folded Reload
	s_wait_xcnt 0x0
	s_mov_b32 exec_lo, s1
	s_mov_b32 s33, s0
	s_wait_loadcnt 0x0
	s_set_pc_i64 s[30:31]
.Lfunc_end3:
	.size	_Z50ncclDevFunc_AllReduce_RING_SIMPLE_Sum_f8e4m3_0_0_1v, .Lfunc_end3-_Z50ncclDevFunc_AllReduce_RING_SIMPLE_Sum_f8e4m3_0_0_1v
                                        ; -- End function
	.set .L_Z50ncclDevFunc_AllReduce_RING_SIMPLE_Sum_f8e4m3_0_0_1v.num_vgpr, max(127, .L_ZN12_GLOBAL__N_17runRingI14__hip_fp8_e4m37FuncSumIS1_E11ProtoSimpleILi2ELi2ELi0ELi1ELi0ELi0EELi0ELi0ELi1ELi0EEEviiP15ncclDevWorkColl.num_vgpr)
	.set .L_Z50ncclDevFunc_AllReduce_RING_SIMPLE_Sum_f8e4m3_0_0_1v.num_agpr, max(0, .L_ZN12_GLOBAL__N_17runRingI14__hip_fp8_e4m37FuncSumIS1_E11ProtoSimpleILi2ELi2ELi0ELi1ELi0ELi0EELi0ELi0ELi1ELi0EEEviiP15ncclDevWorkColl.num_agpr)
	.set .L_Z50ncclDevFunc_AllReduce_RING_SIMPLE_Sum_f8e4m3_0_0_1v.numbered_sgpr, max(96, .L_ZN12_GLOBAL__N_17runRingI14__hip_fp8_e4m37FuncSumIS1_E11ProtoSimpleILi2ELi2ELi0ELi1ELi0ELi0EELi0ELi0ELi1ELi0EEEviiP15ncclDevWorkColl.numbered_sgpr)
	.set .L_Z50ncclDevFunc_AllReduce_RING_SIMPLE_Sum_f8e4m3_0_0_1v.num_named_barrier, max(0, .L_ZN12_GLOBAL__N_17runRingI14__hip_fp8_e4m37FuncSumIS1_E11ProtoSimpleILi2ELi2ELi0ELi1ELi0ELi0EELi0ELi0ELi1ELi0EEEviiP15ncclDevWorkColl.num_named_barrier)
	.set .L_Z50ncclDevFunc_AllReduce_RING_SIMPLE_Sum_f8e4m3_0_0_1v.private_seg_size, 32+max(.L_ZN12_GLOBAL__N_17runRingI14__hip_fp8_e4m37FuncSumIS1_E11ProtoSimpleILi2ELi2ELi0ELi1ELi0ELi0EELi0ELi0ELi1ELi0EEEviiP15ncclDevWorkColl.private_seg_size)
	.set .L_Z50ncclDevFunc_AllReduce_RING_SIMPLE_Sum_f8e4m3_0_0_1v.uses_vcc, or(1, .L_ZN12_GLOBAL__N_17runRingI14__hip_fp8_e4m37FuncSumIS1_E11ProtoSimpleILi2ELi2ELi0ELi1ELi0ELi0EELi0ELi0ELi1ELi0EEEviiP15ncclDevWorkColl.uses_vcc)
	.set .L_Z50ncclDevFunc_AllReduce_RING_SIMPLE_Sum_f8e4m3_0_0_1v.uses_flat_scratch, or(1, .L_ZN12_GLOBAL__N_17runRingI14__hip_fp8_e4m37FuncSumIS1_E11ProtoSimpleILi2ELi2ELi0ELi1ELi0ELi0EELi0ELi0ELi1ELi0EEEviiP15ncclDevWorkColl.uses_flat_scratch)
	.set .L_Z50ncclDevFunc_AllReduce_RING_SIMPLE_Sum_f8e4m3_0_0_1v.has_dyn_sized_stack, or(0, .L_ZN12_GLOBAL__N_17runRingI14__hip_fp8_e4m37FuncSumIS1_E11ProtoSimpleILi2ELi2ELi0ELi1ELi0ELi0EELi0ELi0ELi1ELi0EEEviiP15ncclDevWorkColl.has_dyn_sized_stack)
	.set .L_Z50ncclDevFunc_AllReduce_RING_SIMPLE_Sum_f8e4m3_0_0_1v.has_recursion, or(1, .L_ZN12_GLOBAL__N_17runRingI14__hip_fp8_e4m37FuncSumIS1_E11ProtoSimpleILi2ELi2ELi0ELi1ELi0ELi0EELi0ELi0ELi1ELi0EEEviiP15ncclDevWorkColl.has_recursion)
	.set .L_Z50ncclDevFunc_AllReduce_RING_SIMPLE_Sum_f8e4m3_0_0_1v.has_indirect_call, or(0, .L_ZN12_GLOBAL__N_17runRingI14__hip_fp8_e4m37FuncSumIS1_E11ProtoSimpleILi2ELi2ELi0ELi1ELi0ELi0EELi0ELi0ELi1ELi0EEEviiP15ncclDevWorkColl.has_indirect_call)
	.section	.AMDGPU.csdata,"",@progbits
; Function info:
; codeLenInByte = 512
; TotalNumSgprs: 98
; NumVgprs: 127
; ScratchSize: 304
; MemoryBound: 0
	.text
	.p2align	2                               ; -- Begin function _ZN12_GLOBAL__N_17runRingI14__hip_fp8_e4m37FuncSumIS1_E11ProtoSimpleILi2ELi2ELi0ELi2ELi0ELi0EELi0ELi0ELi2ELi0EEEviiP15ncclDevWorkColl
	.type	_ZN12_GLOBAL__N_17runRingI14__hip_fp8_e4m37FuncSumIS1_E11ProtoSimpleILi2ELi2ELi0ELi2ELi0ELi0EELi0ELi0ELi2ELi0EEEviiP15ncclDevWorkColl,@function
_ZN12_GLOBAL__N_17runRingI14__hip_fp8_e4m37FuncSumIS1_E11ProtoSimpleILi2ELi2ELi0ELi2ELi0ELi0EELi0ELi0ELi2ELi0EEEviiP15ncclDevWorkColl: ; @_ZN12_GLOBAL__N_17runRingI14__hip_fp8_e4m37FuncSumIS1_E11ProtoSimpleILi2ELi2ELi0ELi2ELi0ELi0EELi0ELi0ELi2ELi0EEEviiP15ncclDevWorkColl
; %bb.0:
	s_wait_loadcnt_dscnt 0x0
	s_wait_kmcnt 0x0
	s_mov_b32 s91, s33
	s_mov_b32 s33, s32
	s_or_saveexec_b32 s0, -1
	scratch_store_b32 off, v127, s33 offset:224 ; 4-byte Folded Spill
	s_wait_xcnt 0x0
	s_mov_b32 exec_lo, s0
	s_addk_co_i32 s32, 0xf0
	s_clause 0x2e
	scratch_store_b32 off, v40, s33 offset:184
	; meta instruction
	scratch_store_b32 off, v41, s33 offset:180
	; meta instruction
	;; [unrolled: 2-line block ×46, first 2 shown]
	scratch_store_b32 off, v126, s33
	v_writelane_b32 v127, s30, 0
	v_writelane_b32 v127, s31, 1
	s_trap 2
	flat_load_b32 v7, v[2:3]
	ds_load_b32 v6, v0
	s_mov_b32 s0, exec_lo
                                        ; implicit-def: $vgpr4_vgpr5
                                        ; implicit-def: $vgpr14_vgpr15
                                        ; kill: killed $vgpr4_vgpr5
                                        ; implicit-def: $vgpr4_vgpr5
	s_wait_dscnt 0x0
	v_readfirstlane_b32 s16, v6
	s_wait_loadcnt 0x0
	v_and_b32_e32 v8, 0xff, v7
	s_wait_xcnt 0x0
	s_delay_alu instid0(VALU_DEP_1)
	v_cmpx_ne_u32_e64 v6, v8
	s_xor_b32 s0, exec_lo, s0
	s_cbranch_execz .LBB4_6
; %bb.1:
	v_bfe_u32 v9, v7, 8, 8
	v_not_b32_e32 v8, v8
	s_mov_b32 s1, exec_lo
                                        ; implicit-def: $vgpr4_vgpr5
                                        ; implicit-def: $vgpr14_vgpr15
                                        ; kill: killed $vgpr4_vgpr5
                                        ; implicit-def: $vgpr4_vgpr5
	s_delay_alu instid0(VALU_DEP_2)
	v_cmpx_ne_u32_e64 v6, v9
	s_xor_b32 s1, exec_lo, s1
	s_cbranch_execz .LBB4_3
; %bb.2:
	s_clause 0x1
	flat_load_b128 v[10:13], v[2:3] offset:72
	flat_load_b64 v[4:5], v[2:3] offset:96
	v_add_nc_u32_e32 v6, v6, v8
	s_wait_loadcnt_dscnt 0x101
	s_delay_alu instid0(VALU_DEP_1) | instskip(SKIP_3) | instid1(VALU_DEP_3)
	v_mad_nc_u64_u32 v[8:9], v12, v6, v[10:11]
	s_wait_loadcnt_dscnt 0x0
	v_lshrrev_b64 v[14:15], 12, v[4:5]
	v_mov_b64_e32 v[4:5], v[12:13]
	v_mad_u32 v7, v13, v6, v9
	v_ashrrev_i32_e32 v6, 31, v6
	s_delay_alu instid0(VALU_DEP_1)
	v_mad_u32 v9, v12, v6, v7
	scratch_store_b64 off, v[8:9], s33 offset:188 ; 8-byte Folded Spill
                                        ; implicit-def: $vgpr9
                                        ; implicit-def: $vgpr8
.LBB4_3:
	s_wait_xcnt 0x0
	s_and_not1_saveexec_b32 s1, s1
	s_cbranch_execz .LBB4_5
; %bb.4:
	s_clause 0x1
	flat_load_b128 v[10:13], v[2:3] offset:72
	flat_load_b128 v[4:7], v[2:3] offset:88
	s_wait_loadcnt_dscnt 0x0
	v_dual_add_nc_u32 v6, v9, v8 :: v_dual_lshrrev_b32 v14, 1, v7
	s_delay_alu instid0(VALU_DEP_1) | instskip(NEXT) | instid1(VALU_DEP_1)
	v_mad_nc_u64_u32 v[10:11], v12, v6, v[10:11]
	v_mad_u32 v8, v13, v6, v11
	v_ashrrev_i32_e32 v6, 31, v6
	s_delay_alu instid0(VALU_DEP_1)
	v_mad_u32 v11, v12, v6, v8
	scratch_store_b64 off, v[10:11], s33 offset:188 ; 8-byte Folded Spill
.LBB4_5:
	s_wait_xcnt 0x0
	s_or_b32 exec_lo, exec_lo, s1
.LBB4_6:
	s_and_not1_saveexec_b32 s0, s0
	s_cbranch_execz .LBB4_8
; %bb.7:
	s_clause 0x1
	flat_load_b64 v[6:7], v[2:3] offset:96
	flat_load_b64 v[4:5], v[2:3] offset:72
	s_wait_loadcnt_dscnt 0x101
	v_lshlrev_b64_e32 v[14:15], 9, v[6:7]
	v_mov_b64_e32 v[6:7], 0
	scratch_store_b64 off, v[6:7], s33 offset:188 ; 8-byte Folded Spill
.LBB4_8:
	s_wait_xcnt 0x0
	s_or_b32 exec_lo, exec_lo, s0
	s_trap 2
	ds_load_b64 v[6:7], v0
	s_mov_b32 s1, 0
	s_mov_b32 s2, exec_lo
	s_wait_dscnt 0x0
	v_cmp_ne_u32_e32 vcc_lo, -1, v6
	v_cndmask_b32_e64 v15, 0, 1, vcc_lo
	v_cmp_ne_u32_e32 vcc_lo, -1, v7
	s_delay_alu instid0(VALU_DEP_2) | instskip(NEXT) | instid1(VALU_DEP_1)
	v_add_co_ci_u32_e64 v8, null, 0, v15, vcc_lo
	v_lshlrev_b32_e32 v6, 1, v8
	s_delay_alu instid0(VALU_DEP_1)
	v_cmpx_le_u32_e64 v6, v1
	s_xor_b32 s46, exec_lo, s2
	s_cbranch_execnz .LBB4_9
; %bb.7561:
	s_add_pc_i64 .LBB4_7554-.Lpost_addpc7
.Lpost_addpc7:
.LBB4_9:
	s_clause 0x3
	flat_load_b128 v[10:13], v[2:3] offset:16
	flat_load_b64 v[16:17], v[2:3] offset:104
	flat_load_u16 v7, v[2:3] offset:8
	flat_load_b32 v6, v[2:3] offset:4
	s_trap 2
	s_load_b32 s0, s[8:9], 0x0
	s_bfe_u32 s2, ttmp6, 0x4000c
	s_and_b32 s3, ttmp6, 15
	s_add_co_i32 s2, s2, 1
	s_getreg_b32 s4, hwreg(HW_REG_IB_STS2, 6, 4)
	s_mul_i32 s2, ttmp9, s2
	v_dual_mov_b32 v9, 0 :: v_dual_mov_b32 v30, 4
	s_add_co_i32 s3, s3, s2
	s_cmp_eq_u32 s4, 0
	s_cselect_b32 s2, ttmp9, s3
	s_wait_kmcnt 0x0
	s_cmp_lt_u32 s2, s0
	s_cselect_b32 s0, 12, 18
	s_delay_alu instid0(SALU_CYCLE_1)
	s_add_nc_u64 s[0:1], s[8:9], s[0:1]
	global_load_u16 v18, v9, s[0:1]
	s_wait_xcnt 0x0
	ds_load_b32 v9, v0
	s_mov_b32 s1, exec_lo
	s_wait_dscnt 0x0
	v_readfirstlane_b32 s7, v9
	v_cmpx_ge_i32_e64 v0, v15
	s_cbranch_execz .LBB4_19
; %bb.10:
	v_cmp_ge_u32_e64 s0, v0, v8
                                        ; implicit-def: $vgpr30
	s_and_saveexec_b32 s2, s0
	s_delay_alu instid0(SALU_CYCLE_1)
	s_xor_b32 s0, exec_lo, s2
	s_cbranch_execz .LBB4_16
; %bb.11:
	v_cndmask_b32_e64 v9, 0, 1, vcc_lo
	s_mov_b32 s2, exec_lo
	s_delay_alu instid0(VALU_DEP_1) | instskip(NEXT) | instid1(VALU_DEP_1)
	v_sub_nc_u32_e32 v9, v1, v9
	v_cmpx_ge_u32_e64 v0, v9
	s_xor_b32 s2, exec_lo, s2
; %bb.12:
                                        ; implicit-def: $vgpr8
; %bb.13:
	s_delay_alu instid0(SALU_CYCLE_1)
	s_or_saveexec_b32 s2, s2
	v_mov_b32_e32 v30, 16
	s_xor_b32 exec_lo, exec_lo, s2
; %bb.14:
	v_sub_nc_u32_e32 v8, v1, v8
	s_delay_alu instid0(VALU_DEP_1)
	v_cmp_lt_i32_e32 vcc_lo, v0, v8
	v_cndmask_b32_e64 v30, 32, 0, vcc_lo
; %bb.15:
	s_or_b32 exec_lo, exec_lo, s2
.LBB4_16:
	s_and_not1_saveexec_b32 s0, s0
; %bb.17:
	v_mov_b32_e32 v30, 8
; %bb.18:
	s_or_b32 exec_lo, exec_lo, s0
.LBB4_19:
	s_delay_alu instid0(SALU_CYCLE_1) | instskip(NEXT) | instid1(VALU_DEP_1)
	s_or_b32 exec_lo, exec_lo, s1
	v_dual_mov_b32 v19, -1 :: v_dual_bitop2_b32 v8, 36, v30 bitop3:0x40
	s_delay_alu instid0(VALU_DEP_1)
	v_cmp_ne_u32_e32 vcc_lo, 0, v8
	s_and_saveexec_b32 s0, vcc_lo
	s_cbranch_execz .LBB4_21
; %bb.20:
	s_trap 2
	ds_load_b32 v19, v0
.LBB4_21:
	s_or_b32 exec_lo, exec_lo, s0
	v_and_b32_e32 v8, 24, v30
	s_mov_b32 s1, exec_lo
	s_delay_alu instid0(VALU_DEP_1)
	v_cmpx_ne_u32_e32 0, v8
	s_cbranch_execz .LBB4_23
; %bb.22:
	s_trap 2
	s_wait_dscnt 0x0
	ds_load_b32 v19, v0
.LBB4_23:
	s_or_b32 exec_lo, exec_lo, s1
	s_wait_loadcnt 0x1
	v_lshrrev_b64 v[8:9], 31, v[6:7]
	v_mov_b64_e32 v[22:23], 0
	v_mov_b64_e32 v[6:7], 0
                                        ; implicit-def: $vgpr34
                                        ; implicit-def: $vgpr114_vgpr115
                                        ; implicit-def: $vgpr36_vgpr37
                                        ; implicit-def: $vgpr50_vgpr51
                                        ; implicit-def: $vgpr32_vgpr33
	s_delay_alu instid0(VALU_DEP_3)
	v_and_b32_e32 v20, 3, v8
                                        ; implicit-def: $vgpr8_vgpr9
                                        ; kill: killed $vgpr8_vgpr9
	s_and_saveexec_b32 s0, vcc_lo
	s_cbranch_execz .LBB4_33
; %bb.24:
	s_trap 2
	ds_load_b64 v[6:7], v0
	v_and_b32_e32 v8, 0xffff, v20
	s_wait_dscnt 0x0
	v_readfirstlane_b32 s2, v6
	v_readfirstlane_b32 s3, v7
	flat_load_b64 v[6:7], v19, s[2:3] scale_offset
	s_wait_loadcnt_dscnt 0x0
	v_mad_nc_u64_u32 v[8:9], 0xa8, v8, v[6:7]
	flat_load_b32 v6, v[8:9] offset:640
	s_wait_loadcnt_dscnt 0x0
	v_cmp_eq_u32_e32 vcc_lo, 1, v6
                                        ; implicit-def: $vgpr6_vgpr7
                                        ; kill: killed $vgpr6_vgpr7
	s_wait_xcnt 0x0
	s_and_saveexec_b32 s1, vcc_lo
	s_cbranch_execz .LBB4_26
; %bb.25:
	flat_load_b64 v[22:23], v[8:9] offset:648
	v_or_b32_e32 v30, 0x2000, v30
	s_wait_loadcnt_dscnt 0x0
	flat_load_b64 v[6:7], v[22:23]
	s_trap 2
	scratch_store_b64 off, v[22:23], s33 offset:216 ; 8-byte Folded Spill
	s_wait_loadcnt_dscnt 0x0
	ds_store_b64 v0, v[6:7]
	flat_load_b64 v[6:7], v[22:23] offset:8
	s_wait_loadcnt_dscnt 0x0
	ds_store_b64 v0, v[6:7]
	flat_load_b64 v[6:7], v[22:23] offset:16
	s_wait_loadcnt_dscnt 0x0
	ds_store_b64 v0, v[6:7]
.LBB4_26:
	s_wait_xcnt 0x0
	s_or_b32 exec_lo, exec_lo, s1
	flat_load_b64 v[6:7], v[8:9] offset:608
	s_mov_b32 s1, exec_lo
                                        ; implicit-def: $vgpr32_vgpr33
	s_wait_loadcnt_dscnt 0x0
	v_add_nc_u64_e32 v[114:115], 3, v[6:7]
	v_and_b32_e32 v6, 32, v30
	s_delay_alu instid0(VALU_DEP_2) | instskip(SKIP_1) | instid1(VALU_DEP_2)
	v_and_b32_e32 v114, -4, v114
	s_wait_xcnt 0x0
	v_cmpx_ne_u32_e32 0, v6
	s_cbranch_execz .LBB4_28
; %bb.27:
	flat_load_b64 v[32:33], v[8:9] offset:560
	global_wb scope:SCOPE_SYS
	s_wait_storecnt 0x0
	s_wait_xcnt 0x0
	s_wait_loadcnt_dscnt 0x0
	flat_store_b64 v[32:33], v[114:115] scope:SCOPE_SYS
.LBB4_28:
	s_wait_xcnt 0x0
	s_or_b32 exec_lo, exec_lo, s1
	v_add_nc_u64_e32 v[22:23], 0x1f8, v[8:9]
	v_mov_b64_e32 v[6:7], 0
	v_and_b32_e32 v21, 4, v30
	s_mov_b32 s1, exec_lo
                                        ; implicit-def: $vgpr34
                                        ; implicit-def: $vgpr36_vgpr37
                                        ; implicit-def: $vgpr50_vgpr51
	s_delay_alu instid0(VALU_DEP_1)
	v_cmpx_ne_u32_e32 0, v21
	s_cbranch_execz .LBB4_32
; %bb.29:
	v_and_b32_e32 v6, 0x800, v30
	s_mov_b32 s2, exec_lo
	s_delay_alu instid0(VALU_DEP_1)
	v_cmpx_eq_u32_e32 0, v6
	s_cbranch_execz .LBB4_31
; %bb.30:
	s_trap 2
	ds_store_b64 v0, v[22:23]
.LBB4_31:
	s_or_b32 exec_lo, exec_lo, s2
	flat_load_b64 v[32:33], v[8:9] offset:552
	s_wait_loadcnt_dscnt 0x0
	flat_load_b64 v[50:51], v[32:33] scope:SCOPE_SYS
	s_clause 0x2
	flat_load_b64 v[6:7], v[8:9] offset:600
	flat_load_b32 v34, v[8:9] offset:576
	flat_load_b64 v[36:37], v[8:9] offset:520
	s_wait_xcnt 0x0
	v_or_b32_e32 v8, 0x100, v30
	s_wait_loadcnt_dscnt 0x202
	v_cmp_eq_u64_e32 vcc_lo, 0, v[6:7]
	s_delay_alu instid0(VALU_DEP_2)
	v_cndmask_b32_e32 v30, v8, v30, vcc_lo
.LBB4_32:
	s_or_b32 exec_lo, exec_lo, s1
.LBB4_33:
	s_delay_alu instid0(SALU_CYCLE_1) | instskip(NEXT) | instid1(VALU_DEP_1)
	s_or_b32 exec_lo, exec_lo, s0
	v_and_b32_e32 v8, 24, v30
	s_mov_b32 s0, exec_lo
                                        ; implicit-def: $vgpr38_vgpr39
	s_delay_alu instid0(VALU_DEP_1)
	v_cmpx_ne_u32_e32 0, v8
	s_cbranch_execz .LBB4_41
; %bb.34:
	s_trap 2
	ds_load_b64 v[6:7], v0
	v_and_b32_e32 v8, 0xffff, v20
	s_mov_b32 s1, exec_lo
                                        ; implicit-def: $vgpr38_vgpr39
	s_wait_dscnt 0x0
	v_readfirstlane_b32 s2, v6
	v_readfirstlane_b32 s3, v7
	flat_load_b64 v[6:7], v19, s[2:3] scale_offset
	s_wait_xcnt 0x0
	v_or_b32_e32 v19, 0x100, v30
	s_wait_loadcnt_dscnt 0x0
	v_mad_nc_u64_u32 v[22:23], 0xa8, v8, v[6:7]
	flat_load_b128 v[6:9], v[22:23] offset:96
	s_wait_loadcnt_dscnt 0x0
	v_cmp_eq_u64_e32 vcc_lo, 0, v[6:7]
	v_cndmask_b32_e32 v30, v19, v30, vcc_lo
	s_delay_alu instid0(VALU_DEP_1) | instskip(SKIP_1) | instid1(VALU_DEP_1)
	v_and_b32_e32 v19, 16, v30
	s_wait_xcnt 0x0
	v_cmpx_ne_u32_e32 0, v19
	s_cbranch_execz .LBB4_36
; %bb.35:
	s_clause 0x2
	flat_load_b64 v[32:33], v[22:23] offset:48
	flat_load_b64 v[38:39], v[22:23] offset:120
	;; [unrolled: 1-line block ×3, first 2 shown]
.LBB4_36:
	s_wait_xcnt 0x0
	s_or_b32 exec_lo, exec_lo, s1
	v_add_nc_u64_e32 v[114:115], 3, v[8:9]
	v_and_b32_e32 v8, 8, v30
	s_mov_b32 s1, exec_lo
	s_delay_alu instid0(VALU_DEP_2) | instskip(NEXT) | instid1(VALU_DEP_2)
	v_and_b32_e32 v114, -4, v114
	v_cmpx_ne_u32_e32 0, v8
	s_cbranch_execz .LBB4_40
; %bb.37:
	v_and_b32_e32 v8, 0x800, v30
	s_mov_b32 s2, exec_lo
	s_delay_alu instid0(VALU_DEP_1)
	v_cmpx_eq_u32_e32 0, v8
	s_cbranch_execz .LBB4_39
; %bb.38:
	s_trap 2
	ds_store_b64 v0, v[22:23]
.LBB4_39:
	s_or_b32 exec_lo, exec_lo, s2
	s_wait_loadcnt_dscnt 0x202
	flat_load_b64 v[32:33], v[22:23] offset:56
	s_wait_loadcnt_dscnt 0x0
	flat_load_b64 v[50:51], v[32:33] scope:SCOPE_SYS
	s_clause 0x1
	flat_load_b32 v34, v[22:23] offset:72
	flat_load_b64 v[36:37], v[22:23] offset:16
.LBB4_40:
	s_wait_xcnt 0x0
	s_or_b32 exec_lo, exec_lo, s1
.LBB4_41:
	s_delay_alu instid0(SALU_CYCLE_1)
	s_or_b32 exec_lo, exec_lo, s0
	v_cmp_eq_u32_e64 s0, 0, v0
	s_and_saveexec_b32 s1, s0
	s_cbranch_execz .LBB4_43
; %bb.42:
	flat_load_b64 v[8:9], v[2:3] offset:32
	ds_store_2addr_b64 v0, v[12:13], v[10:11] offset1:1
	s_trap 2
	s_wait_loadcnt_dscnt 0x1
	ds_store_b64 v0, v[8:9]
	ds_store_b64 v0, v[16:17]
.LBB4_43:
	s_wait_xcnt 0x0
	s_or_b32 exec_lo, exec_lo, s1
	v_mov_b64_e32 v[48:49], 0
	s_wait_loadcnt 0x0
	v_and_b32_e32 v10, 0xffff, v18
	s_mov_b32 s47, exec_lo
	v_cmpx_lt_i64_e32 0, v[4:5]
	s_cbranch_execnz .LBB4_44
; %bb.7563:
	s_add_pc_i64 .LBB4_7520-.Lpost_addpc8
.Lpost_addpc8:
.LBB4_44:
	flat_load_b32 v8, v[2:3] offset:4
	s_clause 0x1
	scratch_store_b64 off, v[22:23], s33 offset:204
	scratch_store_b32 off, v10, s33 offset:212
	s_wait_xcnt 0x2
	v_dual_mov_b32 v3, 0 :: v_dual_bitop2_b32 v9, 31, v31 bitop3:0x40
	s_ashr_i32 s17, s16, 31
	s_add_co_i32 s56, s16, s16
	s_not_b32 s6, s16
	v_cmp_ne_u32_e64 s3, v1, v10
	s_wait_xcnt 0x0
	v_dual_mov_b32 v89, 1 :: v_dual_ashrrev_i32 v10, 31, v0
	s_cmp_gt_i32 s16, 0
	v_and_b32_e32 v2, 0x3ffffe00, v14
	s_cselect_b32 s6, s6, -1
	v_mov_b32_e32 v92, 0x88
	s_add_co_i32 s28, s6, s56
	v_cmp_eq_u32_e64 s6, 0, v9
	v_lshrrev_b32_e32 v9, 27, v10
	v_mul_u64_e32 v[22:23], s[16:17], v[2:3]
	s_wait_dscnt 0x2
	v_dual_ashrrev_i32 v35, 31, v34 :: v_dual_lshrrev_b32 v52, 5, v1
	v_and_b32_e32 v54, 0x1fe0, v1
	v_mov_b32_e32 v83, v3
	v_mov_b64_e32 v[112:113], v[2:3]
	s_delay_alu instid0(VALU_DEP_4) | instskip(SKIP_3) | instid1(VALU_DEP_3)
	v_dual_add_nc_u32 v2, v0, v9 :: v_dual_lshlrev_b32 v80, 9, v52
	v_mov_b32_e32 v81, v3
	v_subrev_nc_u32_e32 v84, 32, v54
	s_ashr_i32 s10, s7, 31
	v_and_b32_e32 v9, 0xffffffe0, v2
	v_ashrrev_i32_e32 v93, 5, v2
	v_add_nc_u32_e32 v86, 0xfffffe00, v80
	v_ashrrev_i32_e32 v85, 31, v84
	s_lshr_b32 s10, s10, 25
	v_sub_nc_u32_e32 v94, v0, v9
	v_lshlrev_b32_e32 v2, 11, v93
	s_add_co_i32 s7, s7, s10
	v_ashrrev_i32_e32 v87, 31, v86
	s_ashr_i32 s29, s28, 31
	s_ashr_i32 s57, s7, 7
	s_cmp_gt_i32 s16, 2
	v_cmp_ge_i32_e32 vcc_lo, v0, v1
	s_cselect_b32 s58, -1, 0
	s_add_co_i32 s13, s16, 1
	v_mov_b64_e32 v[64:65], 0
	v_cmp_eq_u64_e64 s4, 0, v[38:39]
	v_cmp_ne_u64_e64 s5, 0, v[38:39]
	v_mov_b64_e32 v[66:67], 0
	v_mov_b64_e32 v[48:49], 0
	v_add_nc_u64_e32 v[96:97], 32, v[84:85]
	v_add_nc_u64_e32 v[100:101], 0x200, v[86:87]
	v_cmp_eq_u32_e64 s1, 32, v1
	v_cmp_ne_u32_e64 s2, 32, v1
	v_dual_mov_b32 v90, 0x90 :: v_dual_mov_b32 v53, v3
	v_bfrev_b32_e32 v91, 1
	v_dual_mov_b32 v71, v3 :: v_dual_lshlrev_b32 v70, 11, v52
	v_dual_mov_b32 v55, v3 :: v_dual_lshlrev_b32 v82, 10, v52
	v_cmp_gt_i32_e64 s7, 1, v94
	v_cmp_lt_i32_e64 s11, v94, v15
	v_cmp_le_i32_e64 s12, v94, v15
	s_mov_b32 s19, 0
	s_mov_b64 s[20:21], 0xffffffff
	s_mov_b64 s[22:23], 0xffffffffffffff
	;; [unrolled: 1-line block ×3, first 2 shown]
	s_add_nc_u64 s[26:27], s[16:17], -1
	s_mov_b32 s63, 0
	s_trap 2
	scratch_store_b64 off, v[22:23], s33 offset:196 ; 8-byte Folded Spill
	s_wait_loadcnt_dscnt 0x0
	v_and_b32_e32 v8, 1, v8
	v_lshl_add_u32 v98, v94, 4, v2
	v_lshlrev_b32_e32 v9, 10, v93
	s_delay_alu instid0(VALU_DEP_3) | instskip(NEXT) | instid1(VALU_DEP_2)
	v_cmp_eq_u32_e64 s10, 1, v8
	v_dual_ashrrev_i32 v99, 31, v98 :: v_dual_sub_nc_u32 v102, v98, v9
	s_xor_b32 s59, s10, -1
	s_cmp_ge_i32 s13, s16
	s_delay_alu instid0(VALU_DEP_1)
	v_ashrrev_i32_e32 v103, 31, v102
	s_cselect_b32 s14, s16, 0
	s_add_co_i32 s60, s16, -2
	s_sub_co_i32 s42, s13, s14
	s_xor_b32 s61, vcc_lo, -1
	s_ashr_i32 s40, s17, 31
	s_sub_co_i32 s62, 0, s16
	s_ashr_i32 s43, s42, 31
	s_branch .LBB4_47
.LBB4_45:                               ;   in Loop: Header=BB4_47 Depth=1
	s_or_b32 exec_lo, exec_lo, s15
.LBB4_46:                               ;   in Loop: Header=BB4_47 Depth=1
	s_delay_alu instid0(SALU_CYCLE_1) | instskip(SKIP_2) | instid1(VALU_DEP_1)
	s_or_b32 exec_lo, exec_lo, s14
	s_wait_loadcnt 0x0
	v_add_nc_u64_e32 v[66:67], v[66:67], v[22:23]
	v_cmp_ge_i64_e32 vcc_lo, v[66:67], v[4:5]
	s_or_b32 s63, vcc_lo, s63
	s_delay_alu instid0(SALU_CYCLE_1)
	s_and_not1_b32 exec_lo, exec_lo, s63
	s_cbranch_execnz .LBB4_47
; %bb.7565:
	s_add_pc_i64 .LBB4_7519-.Lpost_addpc9
.Lpost_addpc9:
.LBB4_47:                               ; =>This Loop Header: Depth=1
                                        ;     Child Loop BB4_57 Depth 2
                                        ;       Child Loop BB4_65 Depth 3
                                        ;       Child Loop BB4_89 Depth 3
	;; [unrolled: 1-line block ×9, first 2 shown]
                                        ;     Child Loop BB4_199 Depth 2
                                        ;       Child Loop BB4_205 Depth 3
                                        ;       Child Loop BB4_229 Depth 3
	;; [unrolled: 1-line block ×3, first 2 shown]
                                        ;     Child Loop BB4_271 Depth 2
                                        ;       Child Loop BB4_274 Depth 3
                                        ;         Child Loop BB4_282 Depth 4
                                        ;         Child Loop BB4_310 Depth 4
	;; [unrolled: 1-line block ×9, first 2 shown]
                                        ;       Child Loop BB4_2520 Depth 3
                                        ;         Child Loop BB4_2526 Depth 4
                                        ;         Child Loop BB4_2554 Depth 4
	;; [unrolled: 1-line block ×3, first 2 shown]
                                        ;     Child Loop BB4_2595 Depth 2
                                        ;       Child Loop BB4_2603 Depth 3
                                        ;       Child Loop BB4_2631 Depth 3
                                        ;       Child Loop BB4_2650 Depth 3
                                        ;       Child Loop BB4_2678 Depth 3
                                        ;       Child Loop BB4_3674 Depth 3
                                        ;         Child Loop BB4_4171 Depth 4
                                        ;       Child Loop BB4_4181 Depth 3
                                        ;       Child Loop BB4_4761 Depth 3
                                        ;         Child Loop BB4_4798 Depth 4
                                        ;       Child Loop BB4_4811 Depth 3
                                        ;       Child Loop BB4_5808 Depth 3
	;; [unrolled: 1-line block ×6, first 2 shown]
                                        ;     Child Loop BB4_6976 Depth 2
                                        ;       Child Loop BB4_6982 Depth 3
                                        ;       Child Loop BB4_7010 Depth 3
	;; [unrolled: 1-line block ×3, first 2 shown]
                                        ;     Child Loop BB4_7051 Depth 2
                                        ;       Child Loop BB4_7054 Depth 3
                                        ;         Child Loop BB4_7062 Depth 4
                                        ;         Child Loop BB4_7090 Depth 4
	;; [unrolled: 1-line block ×5, first 2 shown]
                                        ;           Child Loop BB4_7142 Depth 5
                                        ;         Child Loop BB4_7151 Depth 4
                                        ;         Child Loop BB4_7156 Depth 4
                                        ;           Child Loop BB4_7157 Depth 5
                                        ;         Child Loop BB4_7169 Depth 4
                                        ;         Child Loop BB4_7174 Depth 4
	;; [unrolled: 1-line block ×6, first 2 shown]
                                        ;       Child Loop BB4_7235 Depth 3
                                        ;         Child Loop BB4_7241 Depth 4
                                        ;         Child Loop BB4_7269 Depth 4
	;; [unrolled: 1-line block ×3, first 2 shown]
                                        ;     Child Loop BB4_7313 Depth 2
                                        ;       Child Loop BB4_7321 Depth 3
                                        ;       Child Loop BB4_7345 Depth 3
	;; [unrolled: 1-line block ×9, first 2 shown]
                                        ;     Child Loop BB4_7453 Depth 2
                                        ;       Child Loop BB4_7459 Depth 3
                                        ;       Child Loop BB4_7483 Depth 3
	;; [unrolled: 1-line block ×3, first 2 shown]
	v_sub_nc_u64_e32 v[116:117], v[4:5], v[66:67]
	s_mov_b32 s44, exec_lo
	s_wait_xcnt 0x0
	s_delay_alu instid0(VALU_DEP_1)
	v_cmpx_lt_i64_e64 v[116:117], v[22:23]
	s_cbranch_execz .LBB4_53
; %bb.48:                               ;   in Loop: Header=BB4_47 Depth=1
	v_add_nc_u64_e32 v[8:9], s[26:27], v[116:117]
	s_delay_alu instid0(VALU_DEP_1) | instskip(NEXT) | instid1(VALU_DEP_1)
	v_dual_mov_b32 v10, v3 :: v_dual_bitop2_b32 v11, s17, v9 bitop3:0x54
	v_cmp_ne_u64_e32 vcc_lo, 0, v[10:11]
                                        ; implicit-def: $vgpr10_vgpr11
	s_and_saveexec_b32 s13, vcc_lo
	s_delay_alu instid0(SALU_CYCLE_1)
	s_xor_b32 s45, exec_lo, s13
	s_cbranch_execz .LBB4_50
; %bb.49:                               ;   in Loop: Header=BB4_47 Depth=1
	s_mov_b32 s41, s40
	v_dual_mov_b32 v15, v3 :: v_dual_ashrrev_i32 v10, 31, v9
	s_add_nc_u64 s[14:15], s[16:17], s[40:41]
	v_mov_b32_e32 v19, v3
	s_xor_b64 s[14:15], s[14:15], s[40:41]
	s_delay_alu instid0(VALU_DEP_2) | instskip(SKIP_3) | instid1(VALU_DEP_1)
	v_mov_b32_e32 v11, v10
	s_cvt_f32_u32 s13, s14
	s_cvt_f32_u32 s18, s15
	s_sub_nc_u64 s[74:75], 0, s[14:15]
	v_add_nc_u64_e32 v[8:9], v[8:9], v[10:11]
	s_delay_alu instid0(SALU_CYCLE_1) | instskip(NEXT) | instid1(SALU_CYCLE_3)
	s_fmamk_f32 s13, s18, 0x4f800000, s13
	v_s_rcp_f32 s13, s13
	s_delay_alu instid0(VALU_DEP_1) | instskip(NEXT) | instid1(VALU_DEP_2)
	v_xor_b32_e32 v2, v8, v10
	v_xor_b32_e32 v14, v9, v10
	;; [unrolled: 1-line block ×3, first 2 shown]
	s_delay_alu instid0(TRANS32_DEP_1) | instskip(NEXT) | instid1(SALU_CYCLE_3)
	s_mul_f32 s13, s13, 0x5f7ffffc
	s_mul_f32 s18, s13, 0x2f800000
	s_delay_alu instid0(SALU_CYCLE_3) | instskip(NEXT) | instid1(SALU_CYCLE_3)
	s_trunc_f32 s18, s18
	s_fmamk_f32 s13, s18, 0xcf800000, s13
	s_cvt_u32_f32 s73, s18
	s_delay_alu instid0(SALU_CYCLE_2) | instskip(NEXT) | instid1(SALU_CYCLE_3)
	s_cvt_u32_f32 s72, s13
	s_mul_u64 s[76:77], s[74:75], s[72:73]
	s_delay_alu instid0(SALU_CYCLE_1)
	s_mul_hi_u32 s79, s72, s77
	s_mul_i32 s78, s72, s77
	s_mul_hi_u32 s18, s72, s76
	s_mul_i32 s41, s73, s76
	s_add_nc_u64 s[78:79], s[18:19], s[78:79]
	s_mul_hi_u32 s13, s73, s76
	s_mul_hi_u32 s88, s73, s77
	s_add_co_u32 s18, s78, s41
	s_add_co_ci_u32 s18, s79, s13
	s_mul_i32 s76, s73, s77
	s_add_co_ci_u32 s77, s88, 0
	s_delay_alu instid0(SALU_CYCLE_1) | instskip(NEXT) | instid1(SALU_CYCLE_1)
	s_add_nc_u64 s[76:77], s[18:19], s[76:77]
	s_add_co_u32 s72, s72, s76
	s_cselect_b32 s13, -1, 0
	s_delay_alu instid0(SALU_CYCLE_1) | instskip(SKIP_1) | instid1(SALU_CYCLE_1)
	s_cmp_lg_u32 s13, 0
	s_add_co_ci_u32 s73, s73, s77
	s_mul_u64 s[74:75], s[74:75], s[72:73]
	s_delay_alu instid0(SALU_CYCLE_1)
	s_mul_hi_u32 s77, s72, s75
	s_mul_i32 s76, s72, s75
	s_mul_hi_u32 s18, s72, s74
	s_mul_i32 s41, s73, s74
	s_add_nc_u64 s[76:77], s[18:19], s[76:77]
	s_mul_hi_u32 s13, s73, s74
	s_mul_hi_u32 s78, s73, s75
	s_add_co_u32 s18, s76, s41
	s_add_co_ci_u32 s18, s77, s13
	s_mul_i32 s74, s73, s75
	s_add_co_ci_u32 s75, s78, 0
	s_delay_alu instid0(SALU_CYCLE_1) | instskip(NEXT) | instid1(SALU_CYCLE_1)
	s_add_nc_u64 s[74:75], s[18:19], s[74:75]
	s_add_co_u32 s72, s72, s74
	s_cselect_b32 s13, -1, 0
	v_mul_hi_u32 v18, v2, s72
	s_cmp_lg_u32 s13, 0
	s_add_co_ci_u32 s18, s73, s75
	s_and_b64 s[74:75], s[72:73], s[20:21]
	v_mul_u64_e32 v[12:13], s[18:19], v[2:3]
	v_mul_u64_e32 v[8:9], s[74:75], v[14:15]
	;; [unrolled: 1-line block ×3, first 2 shown]
	s_delay_alu instid0(VALU_DEP_3) | instskip(NEXT) | instid1(VALU_DEP_1)
	v_add_nc_u64_e32 v[12:13], v[18:19], v[12:13]
	v_add_co_u32 v8, vcc_lo, v12, v8
	s_delay_alu instid0(VALU_DEP_2) | instskip(NEXT) | instid1(VALU_DEP_4)
	v_add_co_ci_u32_e32 v18, vcc_lo, v13, v9, vcc_lo
	v_add_co_ci_u32_e32 v17, vcc_lo, 0, v17, vcc_lo
	s_delay_alu instid0(VALU_DEP_1) | instskip(NEXT) | instid1(VALU_DEP_1)
	v_add_nc_u64_e32 v[8:9], v[18:19], v[16:17]
	v_mul_u64_e32 v[12:13], s[14:15], v[8:9]
	s_delay_alu instid0(VALU_DEP_1) | instskip(NEXT) | instid1(VALU_DEP_2)
	v_sub_nc_u32_e32 v11, v14, v13
	v_sub_co_u32 v2, vcc_lo, v2, v12
	s_delay_alu instid0(VALU_DEP_1) | instskip(NEXT) | instid1(VALU_DEP_3)
	v_sub_co_ci_u32_e64 v16, null, v14, v13, vcc_lo
	v_subrev_co_ci_u32_e64 v11, null, s15, v11, vcc_lo
	s_delay_alu instid0(VALU_DEP_3) | instskip(SKIP_1) | instid1(VALU_DEP_3)
	v_sub_co_u32 v12, s13, v2, s14
	v_add_nc_u64_e32 v[14:15], 1, v[8:9]
	v_subrev_co_ci_u32_e64 v11, null, 0, v11, s13
	s_delay_alu instid0(VALU_DEP_3) | instskip(SKIP_1) | instid1(VALU_DEP_3)
	v_cmp_le_u32_e32 vcc_lo, s14, v12
	v_cndmask_b32_e64 v12, 0, -1, vcc_lo
	v_cmp_le_u32_e32 vcc_lo, s15, v11
	v_cndmask_b32_e64 v13, 0, -1, vcc_lo
	v_cmp_le_u32_e32 vcc_lo, s14, v2
	v_cndmask_b32_e64 v2, 0, -1, vcc_lo
	v_cmp_le_u32_e32 vcc_lo, s15, v16
	v_cndmask_b32_e64 v17, 0, -1, vcc_lo
	v_cmp_eq_u32_e32 vcc_lo, s15, v11
	v_cndmask_b32_e32 v11, v13, v12, vcc_lo
	v_cmp_eq_u32_e32 vcc_lo, s15, v16
	v_add_nc_u64_e32 v[12:13], 2, v[8:9]
	v_cndmask_b32_e32 v2, v17, v2, vcc_lo
	s_delay_alu instid0(VALU_DEP_4) | instskip(NEXT) | instid1(VALU_DEP_2)
	v_cmp_ne_u32_e32 vcc_lo, 0, v11
	v_cmp_ne_u32_e64 s13, 0, v2
	s_delay_alu instid0(VALU_DEP_4) | instskip(NEXT) | instid1(VALU_DEP_1)
	v_dual_cndmask_b32 v11, v15, v13 :: v_dual_cndmask_b32 v2, v14, v12
	v_dual_cndmask_b32 v9, v9, v11, s13 :: v_dual_cndmask_b32 v2, v8, v2, s13
	s_delay_alu instid0(VALU_DEP_1) | instskip(NEXT) | instid1(VALU_DEP_2)
	v_dual_mov_b32 v11, v10 :: v_dual_bitop2_b32 v9, v9, v10 bitop3:0x14
	v_xor_b32_e32 v8, v2, v10
	s_delay_alu instid0(VALU_DEP_1)
	v_sub_nc_u64_e32 v[10:11], v[8:9], v[10:11]
                                        ; implicit-def: $vgpr8_vgpr9
.LBB4_50:                               ;   in Loop: Header=BB4_47 Depth=1
	s_and_not1_saveexec_b32 s13, s45
	s_cbranch_execz .LBB4_52
; %bb.51:                               ;   in Loop: Header=BB4_47 Depth=1
	v_cvt_f32_u32_e32 v2, s16
	s_delay_alu instid0(VALU_DEP_1) | instskip(SKIP_1) | instid1(TRANS32_DEP_1)
	v_rcp_iflag_f32_e32 v2, v2
	v_nop
	v_mul_f32_e32 v2, 0x4f7ffffe, v2
	s_delay_alu instid0(VALU_DEP_1) | instskip(NEXT) | instid1(VALU_DEP_1)
	v_cvt_u32_f32_e32 v2, v2
	v_mul_lo_u32 v9, s62, v2
	s_delay_alu instid0(VALU_DEP_1) | instskip(NEXT) | instid1(VALU_DEP_1)
	v_mul_hi_u32 v9, v2, v9
	v_add_nc_u32_e32 v2, v2, v9
	s_delay_alu instid0(VALU_DEP_1) | instskip(NEXT) | instid1(VALU_DEP_1)
	v_mul_hi_u32 v2, v8, v2
	v_mul_lo_u32 v9, v2, s16
	s_delay_alu instid0(VALU_DEP_1) | instskip(NEXT) | instid1(VALU_DEP_1)
	v_dual_sub_nc_u32 v8, v8, v9 :: v_dual_add_nc_u32 v9, 1, v2
	v_subrev_nc_u32_e32 v10, s16, v8
	v_cmp_le_u32_e32 vcc_lo, s16, v8
	s_delay_alu instid0(VALU_DEP_2) | instskip(NEXT) | instid1(VALU_DEP_1)
	v_dual_cndmask_b32 v8, v8, v10, vcc_lo :: v_dual_cndmask_b32 v2, v2, v9, vcc_lo
	v_cmp_le_u32_e32 vcc_lo, s16, v8
	s_delay_alu instid0(VALU_DEP_2) | instskip(NEXT) | instid1(VALU_DEP_1)
	v_add_nc_u32_e32 v9, 1, v2
	v_cndmask_b32_e32 v2, v2, v9, vcc_lo
	s_delay_alu instid0(VALU_DEP_1)
	v_mov_b64_e32 v[10:11], v[2:3]
.LBB4_52:                               ;   in Loop: Header=BB4_47 Depth=1
	s_or_b32 exec_lo, exec_lo, s13
	s_delay_alu instid0(VALU_DEP_1) | instskip(NEXT) | instid1(VALU_DEP_1)
	v_add_nc_u64_e32 v[112:113], 15, v[10:11]
	v_and_b32_e32 v112, -16, v112
.LBB4_53:                               ;   in Loop: Header=BB4_47 Depth=1
	s_or_b32 exec_lo, exec_lo, s44
	scratch_load_b64 v[10:11], off, s33 offset:188 ; 8-byte Folded Reload
	v_mul_u64_e32 v[12:13], s[28:29], v[112:113]
	s_delay_alu instid0(VALU_DEP_1) | instskip(NEXT) | instid1(VALU_DEP_1)
	v_sub_nc_u64_e32 v[8:9], v[116:117], v[12:13]
	v_min_i64 v[8:9], v[112:113], v[8:9]
	s_delay_alu instid0(VALU_DEP_1) | instskip(SKIP_1) | instid1(VALU_DEP_2)
	v_max_i32_e32 v22, 0, v8
	v_cmp_lt_i32_e32 vcc_lo, 0, v8
	v_add_nc_u32_e32 v2, 31, v22
	s_and_b32 s13, s61, vcc_lo
	s_delay_alu instid0(VALU_DEP_1) | instskip(NEXT) | instid1(VALU_DEP_1)
	v_lshrrev_b32_e32 v2, 1, v2
	v_and_b32_e32 v9, 0x3ffffff0, v2
	s_delay_alu instid0(VALU_DEP_1)
	v_dual_mov_b32 v2, 0 :: v_dual_max_i32 v8, s57, v9
	s_wait_loadcnt 0x0
	v_add_nc_u64_e32 v[118:119], v[66:67], v[10:11]
	v_mov_b32_e32 v10, 0
	s_wait_xcnt 0x0
	s_and_saveexec_b32 s14, s13
	s_cbranch_execz .LBB4_195
; %bb.54:                               ;   in Loop: Header=BB4_47 Depth=1
	v_mov_b32_e32 v10, 0
	s_mov_b32 s41, 1
	s_mov_b32 s18, -1
	s_mov_b32 s15, 0
	s_branch .LBB4_57
.LBB4_55:                               ;   in Loop: Header=BB4_57 Depth=2
	s_wait_xcnt 0x0
	s_or_b32 exec_lo, exec_lo, s44
	v_add_nc_u64_e32 v[114:115], 2, v[114:115]
	global_wb scope:SCOPE_SYS
	s_wait_storecnt 0x0
	s_wait_loadcnt_dscnt 0x0
	flat_store_b64 v[32:33], v[114:115] scope:SCOPE_SYS
.LBB4_56:                               ;   in Loop: Header=BB4_57 Depth=2
	s_wait_xcnt 0x0
	s_or_b32 exec_lo, exec_lo, s13
	v_dual_add_nc_u32 v10, v8, v10 :: v_dual_mov_b32 v2, s41
	s_xor_b32 s13, s18, -1
	s_mov_b32 s18, 0
	s_mov_b32 s41, 2
	s_delay_alu instid0(VALU_DEP_1) | instskip(SKIP_1) | instid1(SALU_CYCLE_1)
	v_cmp_ge_i32_e32 vcc_lo, v10, v22
	s_or_b32 s13, s13, vcc_lo
	s_and_b32 s13, exec_lo, s13
	s_delay_alu instid0(SALU_CYCLE_1) | instskip(NEXT) | instid1(SALU_CYCLE_1)
	s_or_b32 s15, s13, s15
	s_and_not1_b32 exec_lo, exec_lo, s15
	s_cbranch_execz .LBB4_194
.LBB4_57:                               ;   Parent Loop BB4_47 Depth=1
                                        ; =>  This Loop Header: Depth=2
                                        ;       Child Loop BB4_65 Depth 3
                                        ;       Child Loop BB4_89 Depth 3
	;; [unrolled: 1-line block ×9, first 2 shown]
	s_and_saveexec_b32 s13, s0
	s_cbranch_execz .LBB4_59
; %bb.58:                               ;   in Loop: Header=BB4_57 Depth=2
	s_trap 2
	ds_load_b64 v[14:15], v0
	v_ashrrev_i32_e32 v11, 31, v10
	s_wait_dscnt 0x0
	v_add_nc_u64_e32 v[14:15], v[14:15], v[118:119]
	s_delay_alu instid0(VALU_DEP_1) | instskip(NEXT) | instid1(VALU_DEP_1)
	v_add_nc_u64_e32 v[14:15], v[14:15], v[12:13]
	v_add_nc_u64_e32 v[14:15], v[14:15], v[10:11]
	ds_store_b64 v0, v[14:15]
	ds_store_b64 v0, v[64:65]
.LBB4_59:                               ;   in Loop: Header=BB4_57 Depth=2
	s_or_b32 exec_lo, exec_lo, s13
	v_sub_nc_u32_e32 v2, v22, v10
	v_and_b32_e32 v9, 8, v30
	s_mov_b32 s44, exec_lo
	s_delay_alu instid0(VALU_DEP_2) | instskip(NEXT) | instid1(VALU_DEP_2)
	v_min_i32_e32 v8, v8, v2
	v_cmpx_ne_u32_e32 0, v9
	s_cbranch_execz .LBB4_81
; %bb.60:                               ;   in Loop: Header=BB4_57 Depth=2
	s_wait_loadcnt_dscnt 0x1
	v_add_nc_u64_e32 v[16:17], 8, v[50:51]
	v_add_nc_u64_e32 v[14:15], 2, v[114:115]
	s_mov_b32 s45, exec_lo
	s_delay_alu instid0(VALU_DEP_1)
	v_cmpx_lt_u64_e64 v[16:17], v[14:15]
	s_cbranch_execz .LBB4_72
; %bb.61:                               ;   in Loop: Header=BB4_57 Depth=2
	v_and_b32_e32 v2, 64, v30
	s_mov_b32 s72, 0
	s_mov_b32 s76, 0
                                        ; implicit-def: $sgpr73
                                        ; implicit-def: $sgpr74
                                        ; implicit-def: $sgpr75
	s_delay_alu instid0(VALU_DEP_1)
	v_cmp_eq_u32_e32 vcc_lo, 0, v2
	s_branch .LBB4_65
.LBB4_62:                               ;   in Loop: Header=BB4_65 Depth=3
	s_wait_loadcnt_dscnt 0x0
	v_add_nc_u64_e32 v[16:17], 8, v[50:51]
	s_or_b32 s79, s79, exec_lo
	s_delay_alu instid0(VALU_DEP_1)
	v_cmp_ge_u64_e64 s13, v[16:17], v[14:15]
	s_or_not1_b32 s78, s13, exec_lo
.LBB4_63:                               ;   in Loop: Header=BB4_65 Depth=3
	s_or_b32 exec_lo, exec_lo, s89
	s_delay_alu instid0(SALU_CYCLE_1)
	s_and_not1_b32 s13, s75, exec_lo
	s_and_b32 s75, s79, exec_lo
	s_and_not1_b32 s74, s74, exec_lo
	s_and_b32 s78, s78, exec_lo
	s_or_b32 s75, s13, s75
	s_or_b32 s74, s74, s78
.LBB4_64:                               ;   in Loop: Header=BB4_65 Depth=3
	s_or_b32 exec_lo, exec_lo, s77
	s_delay_alu instid0(SALU_CYCLE_1) | instskip(NEXT) | instid1(SALU_CYCLE_1)
	s_and_b32 s13, exec_lo, s74
	s_or_b32 s72, s13, s72
	s_and_not1_b32 s13, s73, exec_lo
	s_and_b32 s73, s75, exec_lo
	s_delay_alu instid0(SALU_CYCLE_1)
	s_or_b32 s73, s13, s73
	s_and_not1_b32 exec_lo, exec_lo, s72
	s_cbranch_execz .LBB4_69
.LBB4_65:                               ;   Parent Loop BB4_47 Depth=1
                                        ;     Parent Loop BB4_57 Depth=2
                                        ; =>    This Inner Loop Header: Depth=3
	s_sleep 1
	s_wait_loadcnt_dscnt 0x0
	flat_load_b64 v[50:51], v[32:33] scope:SCOPE_SYS
	s_or_b32 s75, s75, exec_lo
	s_or_b32 s74, s74, exec_lo
                                        ; implicit-def: $vgpr2
	s_wait_xcnt 0x0
	s_and_saveexec_b32 s77, vcc_lo
	s_cbranch_execz .LBB4_64
; %bb.66:                               ;   in Loop: Header=BB4_65 Depth=3
	s_cmp_lt_i32 s76, 0x270f
	s_mov_b32 s78, -1
	s_cselect_b32 s88, -1, 0
	s_cmp_gt_i32 s76, 0x270e
	s_cbranch_scc0 .LBB4_68
; %bb.67:                               ;   in Loop: Header=BB4_65 Depth=3
	s_trap 2
	ds_load_b64 v[16:17], v0
	s_and_not1_b32 s76, s88, exec_lo
	s_mov_b32 s79, 0
	s_wait_storecnt 0x0
	s_wait_loadcnt_dscnt 0x0
	flat_load_b32 v2, v[16:17] scope:SCOPE_SYS
	s_wait_loadcnt_dscnt 0x0
	global_inv scope:SCOPE_SYS
	v_cmp_eq_u32_e64 s13, 0, v2
	s_and_b32 s13, s13, exec_lo
	s_delay_alu instid0(SALU_CYCLE_1)
	s_or_b32 s88, s76, s13
	s_mov_b32 s76, 0
	s_and_saveexec_b32 s89, s88
	s_cbranch_execz .LBB4_63
	s_branch .LBB4_62
.LBB4_68:                               ;   in Loop: Header=BB4_65 Depth=3
	s_add_co_i32 s76, s76, 1
	s_mov_b32 s79, -1
                                        ; implicit-def: $vgpr2
	s_and_saveexec_b32 s89, s88
	s_cbranch_execz .LBB4_63
	s_branch .LBB4_62
.LBB4_69:                               ;   in Loop: Header=BB4_57 Depth=2
	s_or_b32 exec_lo, exec_lo, s72
	s_xor_b32 s13, s73, -1
	s_delay_alu instid0(SALU_CYCLE_1) | instskip(NEXT) | instid1(SALU_CYCLE_1)
	s_and_saveexec_b32 s72, s13
	s_xor_b32 s13, exec_lo, s72
	s_cbranch_execz .LBB4_71
; %bb.70:                               ;   in Loop: Header=BB4_57 Depth=2
	v_or_b32_e32 v30, 64, v30
	s_wait_storecnt 0x0
	s_wait_loadcnt_dscnt 0x0
	ds_store_b32 v0, v2
	s_trap 2
.LBB4_71:                               ;   in Loop: Header=BB4_57 Depth=2
	s_or_b32 exec_lo, exec_lo, s13
.LBB4_72:                               ;   in Loop: Header=BB4_57 Depth=2
	s_delay_alu instid0(SALU_CYCLE_1) | instskip(SKIP_3) | instid1(VALU_DEP_1)
	s_or_b32 exec_lo, exec_lo, s45
	v_and_b32_e32 v2, 0x100, v30
	s_mov_b32 s13, -1
	;;#ASMSTART
	s_wakeup
	;;#ASMEND
                                        ; implicit-def: $vgpr16_vgpr17
	v_cmp_ne_u32_e32 vcc_lo, 0, v2
	v_and_b32_e32 v2, 7, v114
	s_and_saveexec_b32 s45, vcc_lo
	s_cbranch_execz .LBB4_76
; %bb.73:                               ;   in Loop: Header=BB4_57 Depth=2
	s_delay_alu instid0(VALU_DEP_1)
	v_mad_nc_u64_u32 v[18:19], v2, 24, v[6:7]
	v_ashrrev_i32_e32 v9, 31, v8
	s_mov_b32 s72, exec_lo
                                        ; implicit-def: $vgpr16_vgpr17
	s_clause 0x1
	flat_load_b32 v11, v[18:19]
	flat_store_b64 v[18:19], v[8:9] offset:8
	s_wait_loadcnt_dscnt 0x1
	v_cmp_ne_u32_e32 vcc_lo, 1, v11
	s_wait_xcnt 0x0
	v_cmpx_eq_u32_e32 1, v11
	s_cbranch_execz .LBB4_75
; %bb.74:                               ;   in Loop: Header=BB4_57 Depth=2
	flat_load_b32 v16, v[18:19] offset:4 scope:SCOPE_SYS
	s_wait_loadcnt_dscnt 0x0
	v_ashrrev_i32_e32 v17, 31, v16
.LBB4_75:                               ;   in Loop: Header=BB4_57 Depth=2
	s_wait_xcnt 0x0
	s_or_b32 exec_lo, exec_lo, s72
	s_delay_alu instid0(SALU_CYCLE_1)
	s_or_not1_b32 s13, vcc_lo, exec_lo
.LBB4_76:                               ;   in Loop: Header=BB4_57 Depth=2
	s_or_b32 exec_lo, exec_lo, s45
	s_and_saveexec_b32 s45, s13
; %bb.77:                               ;   in Loop: Header=BB4_57 Depth=2
	v_mul_u64_e32 v[16:17], v[2:3], v[34:35]
; %bb.78:                               ;   in Loop: Header=BB4_57 Depth=2
	s_or_b32 exec_lo, exec_lo, s45
	s_delay_alu instid0(VALU_DEP_1)
	v_add_nc_u64_e32 v[16:17], v[36:37], v[16:17]
	v_and_b32_e32 v2, 0x2000, v30
	s_mov_b32 s13, exec_lo
	ds_store_b64 v0, v[16:17] offset:784
	v_cmpx_ne_u32_e32 0, v2
	s_cbranch_execz .LBB4_80
; %bb.79:                               ;   in Loop: Header=BB4_57 Depth=2
	ds_load_b64 v[16:17], v0 offset:872
	s_wait_dscnt 0x0
	v_add_nc_u64_e32 v[16:17], 1, v[16:17]
	ds_store_b64 v0, v[16:17] offset:872
.LBB4_80:                               ;   in Loop: Header=BB4_57 Depth=2
	s_or_b32 exec_lo, exec_lo, s13
	v_mov_b64_e32 v[114:115], v[14:15]
.LBB4_81:                               ;   in Loop: Header=BB4_57 Depth=2
	s_or_b32 exec_lo, exec_lo, s44
	s_and_saveexec_b32 s13, s2
	s_cbranch_execz .LBB4_100
; %bb.82:                               ;   in Loop: Header=BB4_57 Depth=2
	s_and_saveexec_b32 s44, s3
	s_delay_alu instid0(SALU_CYCLE_1)
	s_xor_b32 s44, exec_lo, s44
	s_cbranch_execz .LBB4_97
; %bb.83:                               ;   in Loop: Header=BB4_57 Depth=2
	s_and_saveexec_b32 s45, s6
	s_cbranch_execz .LBB4_96
; %bb.84:                               ;   in Loop: Header=BB4_57 Depth=2
	s_mov_b32 s73, exec_lo
	s_mov_b32 s72, exec_lo
	v_mbcnt_lo_u32_b32 v2, s73, 0
	global_wb scope:SCOPE_DEV
	s_wait_storecnt 0x0
	s_wait_loadcnt_dscnt 0x0
	global_inv scope:SCOPE_DEV
	v_cmpx_eq_u32_e32 0, v2
	s_cbranch_execz .LBB4_86
; %bb.85:                               ;   in Loop: Header=BB4_57 Depth=2
	s_bcnt1_i32_b32 s73, s73
	s_delay_alu instid0(SALU_CYCLE_1)
	v_mov_b32_e32 v2, s73
	s_wait_loadcnt 0x0
	ds_add_u64 v0, v[2:3]
	s_trap 2
.LBB4_86:                               ;   in Loop: Header=BB4_57 Depth=2
	s_or_b32 exec_lo, exec_lo, s72
	s_trap 2
	ds_load_b64 v[14:15], v0
	s_wait_dscnt 0x0
	v_add_nc_u64_e32 v[48:49], v[48:49], v[52:53]
	s_mov_b32 s72, exec_lo
	s_delay_alu instid0(VALU_DEP_1)
	v_cmpx_lt_u64_e64 v[14:15], v[48:49]
	s_cbranch_execz .LBB4_95
; %bb.87:                               ;   in Loop: Header=BB4_57 Depth=2
	s_mov_b32 s73, 0
	s_mov_b32 s76, 0
                                        ; implicit-def: $sgpr74
                                        ; implicit-def: $sgpr75
	s_branch .LBB4_89
.LBB4_88:                               ;   in Loop: Header=BB4_89 Depth=3
	s_or_b32 exec_lo, exec_lo, s78
	s_delay_alu instid0(SALU_CYCLE_1) | instskip(NEXT) | instid1(SALU_CYCLE_1)
	s_and_b32 s77, exec_lo, s79
	s_or_b32 s73, s77, s73
	s_and_not1_b32 s74, s74, exec_lo
	s_and_b32 s77, s75, exec_lo
	s_delay_alu instid0(SALU_CYCLE_1)
	s_or_b32 s74, s74, s77
	s_and_not1_b32 exec_lo, exec_lo, s73
	s_cbranch_execz .LBB4_93
.LBB4_89:                               ;   Parent Loop BB4_47 Depth=1
                                        ;     Parent Loop BB4_57 Depth=2
                                        ; =>    This Inner Loop Header: Depth=3
	s_add_co_i32 s76, s76, 1
	s_delay_alu instid0(SALU_CYCLE_1) | instskip(SKIP_1) | instid1(SALU_CYCLE_1)
	s_cmp_lg_u32 s76, 0x2710
	s_cselect_b32 s77, -1, 0
	s_and_b32 vcc_lo, exec_lo, s77
	s_cbranch_vccz .LBB4_91
; %bb.90:                               ;   in Loop: Header=BB4_89 Depth=3
	s_mov_b32 s79, -1
	s_or_b32 s75, s75, exec_lo
	s_and_saveexec_b32 s78, s77
	s_cbranch_execz .LBB4_88
	s_branch .LBB4_92
.LBB4_91:                               ;   in Loop: Header=BB4_89 Depth=3
	s_trap 2
	ds_load_b64 v[14:15], v0
	s_and_not1_b32 s77, s77, exec_lo
	s_mov_b32 s76, 0
	s_wait_loadcnt_dscnt 0x0
	flat_load_b32 v2, v[14:15] scope:SCOPE_SYS
	s_wait_loadcnt_dscnt 0x0
	global_inv scope:SCOPE_SYS
	v_cmp_eq_u32_e32 vcc_lo, 0, v2
	s_and_b32 s78, vcc_lo, exec_lo
	s_delay_alu instid0(SALU_CYCLE_1)
	s_or_b32 s77, s77, s78
	s_mov_b32 s79, -1
	s_or_b32 s75, s75, exec_lo
	s_and_saveexec_b32 s78, s77
	s_cbranch_execz .LBB4_88
.LBB4_92:                               ;   in Loop: Header=BB4_89 Depth=3
	s_sleep 1
	s_trap 2
	ds_load_b64 v[14:15], v0
	s_wait_dscnt 0x0
	s_and_not1_b32 s75, s75, exec_lo
	v_cmp_ge_u64_e32 vcc_lo, v[14:15], v[48:49]
	s_or_not1_b32 s79, vcc_lo, exec_lo
	s_branch .LBB4_88
.LBB4_93:                               ;   in Loop: Header=BB4_57 Depth=2
	s_or_b32 exec_lo, exec_lo, s73
	s_and_saveexec_b32 s73, s74
	s_delay_alu instid0(SALU_CYCLE_1)
	s_xor_b32 s73, exec_lo, s73
	s_cbranch_execz .LBB4_95
; %bb.94:                               ;   in Loop: Header=BB4_57 Depth=2
	ds_store_b32 v0, v89
	s_trap 2
.LBB4_95:                               ;   in Loop: Header=BB4_57 Depth=2
	s_or_b32 exec_lo, exec_lo, s72
	;;#ASMSTART
	s_wakeup
	;;#ASMEND
.LBB4_96:                               ;   in Loop: Header=BB4_57 Depth=2
	s_or_b32 exec_lo, exec_lo, s45
.LBB4_97:                               ;   in Loop: Header=BB4_57 Depth=2
	s_and_not1_saveexec_b32 s44, s44
	s_cbranch_execz .LBB4_99
; %bb.98:                               ;   in Loop: Header=BB4_57 Depth=2
	global_wb scope:SCOPE_DEV
	s_wait_storecnt 0x0
	s_wait_loadcnt_dscnt 0x0
	global_inv scope:SCOPE_DEV
	s_barrier_signal -1
	s_barrier_wait -1
.LBB4_99:                               ;   in Loop: Header=BB4_57 Depth=2
	s_or_b32 exec_lo, exec_lo, s44
.LBB4_100:                              ;   in Loop: Header=BB4_57 Depth=2
	s_delay_alu instid0(SALU_CYCLE_1) | instskip(SKIP_4) | instid1(VALU_DEP_1)
	s_or_b32 exec_lo, exec_lo, s13
	s_trap 2
	ds_load_b32 v9, v0
	v_and_b32_e32 v2, 0x4000, v30
	s_xor_b32 s13, s1, -1
	v_cmp_ne_u32_e32 vcc_lo, 0, v2
	s_and_b32 s44, s13, vcc_lo
	s_delay_alu instid0(SALU_CYCLE_1)
	s_and_saveexec_b32 s13, s44
	s_cbranch_execz .LBB4_119
; %bb.101:                              ;   in Loop: Header=BB4_57 Depth=2
	s_and_saveexec_b32 s44, s3
	s_delay_alu instid0(SALU_CYCLE_1)
	s_xor_b32 s44, exec_lo, s44
	s_cbranch_execz .LBB4_116
; %bb.102:                              ;   in Loop: Header=BB4_57 Depth=2
	s_and_saveexec_b32 s45, s6
	s_cbranch_execz .LBB4_115
; %bb.103:                              ;   in Loop: Header=BB4_57 Depth=2
	s_mov_b32 s73, exec_lo
	s_mov_b32 s72, exec_lo
	v_mbcnt_lo_u32_b32 v2, s73, 0
	global_wb scope:SCOPE_DEV
	s_wait_storecnt 0x0
	s_wait_loadcnt_dscnt 0x0
	global_inv scope:SCOPE_DEV
	v_cmpx_eq_u32_e32 0, v2
	s_cbranch_execz .LBB4_105
; %bb.104:                              ;   in Loop: Header=BB4_57 Depth=2
	s_bcnt1_i32_b32 s73, s73
	s_delay_alu instid0(SALU_CYCLE_1)
	v_mov_b32_e32 v2, s73
	s_wait_loadcnt 0x0
	ds_add_u64 v0, v[2:3]
	s_trap 2
.LBB4_105:                              ;   in Loop: Header=BB4_57 Depth=2
	s_or_b32 exec_lo, exec_lo, s72
	s_trap 2
	ds_load_b64 v[14:15], v0
	s_wait_dscnt 0x0
	v_add_nc_u64_e32 v[48:49], v[48:49], v[52:53]
	s_mov_b32 s72, exec_lo
	s_delay_alu instid0(VALU_DEP_1)
	v_cmpx_lt_u64_e64 v[14:15], v[48:49]
	s_cbranch_execz .LBB4_114
; %bb.106:                              ;   in Loop: Header=BB4_57 Depth=2
	s_mov_b32 s73, 0
	s_mov_b32 s76, 0
                                        ; implicit-def: $sgpr74
                                        ; implicit-def: $sgpr75
	s_branch .LBB4_108
.LBB4_107:                              ;   in Loop: Header=BB4_108 Depth=3
	s_or_b32 exec_lo, exec_lo, s78
	s_delay_alu instid0(SALU_CYCLE_1) | instskip(NEXT) | instid1(SALU_CYCLE_1)
	s_and_b32 s77, exec_lo, s79
	s_or_b32 s73, s77, s73
	s_and_not1_b32 s74, s74, exec_lo
	s_and_b32 s77, s75, exec_lo
	s_delay_alu instid0(SALU_CYCLE_1)
	s_or_b32 s74, s74, s77
	s_and_not1_b32 exec_lo, exec_lo, s73
	s_cbranch_execz .LBB4_112
.LBB4_108:                              ;   Parent Loop BB4_47 Depth=1
                                        ;     Parent Loop BB4_57 Depth=2
                                        ; =>    This Inner Loop Header: Depth=3
	s_add_co_i32 s76, s76, 1
	s_delay_alu instid0(SALU_CYCLE_1) | instskip(SKIP_1) | instid1(SALU_CYCLE_1)
	s_cmp_lg_u32 s76, 0x2710
	s_cselect_b32 s77, -1, 0
	s_and_b32 vcc_lo, exec_lo, s77
	s_cbranch_vccz .LBB4_110
; %bb.109:                              ;   in Loop: Header=BB4_108 Depth=3
	s_mov_b32 s79, -1
	s_or_b32 s75, s75, exec_lo
	s_and_saveexec_b32 s78, s77
	s_cbranch_execz .LBB4_107
	s_branch .LBB4_111
.LBB4_110:                              ;   in Loop: Header=BB4_108 Depth=3
	s_trap 2
	ds_load_b64 v[14:15], v0
	s_and_not1_b32 s77, s77, exec_lo
	s_mov_b32 s76, 0
	s_wait_loadcnt_dscnt 0x0
	flat_load_b32 v2, v[14:15] scope:SCOPE_SYS
	s_wait_loadcnt_dscnt 0x0
	global_inv scope:SCOPE_SYS
	v_cmp_eq_u32_e32 vcc_lo, 0, v2
	s_and_b32 s78, vcc_lo, exec_lo
	s_delay_alu instid0(SALU_CYCLE_1)
	s_or_b32 s77, s77, s78
	s_mov_b32 s79, -1
	s_or_b32 s75, s75, exec_lo
	s_and_saveexec_b32 s78, s77
	s_cbranch_execz .LBB4_107
.LBB4_111:                              ;   in Loop: Header=BB4_108 Depth=3
	s_sleep 1
	s_trap 2
	ds_load_b64 v[14:15], v0
	s_wait_dscnt 0x0
	s_and_not1_b32 s75, s75, exec_lo
	v_cmp_ge_u64_e32 vcc_lo, v[14:15], v[48:49]
	s_or_not1_b32 s79, vcc_lo, exec_lo
	s_branch .LBB4_107
.LBB4_112:                              ;   in Loop: Header=BB4_57 Depth=2
	s_or_b32 exec_lo, exec_lo, s73
	s_and_saveexec_b32 s73, s74
	s_delay_alu instid0(SALU_CYCLE_1)
	s_xor_b32 s73, exec_lo, s73
	s_cbranch_execz .LBB4_114
; %bb.113:                              ;   in Loop: Header=BB4_57 Depth=2
	ds_store_b32 v0, v89
	s_trap 2
.LBB4_114:                              ;   in Loop: Header=BB4_57 Depth=2
	s_or_b32 exec_lo, exec_lo, s72
	;;#ASMSTART
	s_wakeup
	;;#ASMEND
.LBB4_115:                              ;   in Loop: Header=BB4_57 Depth=2
	s_or_b32 exec_lo, exec_lo, s45
.LBB4_116:                              ;   in Loop: Header=BB4_57 Depth=2
	s_and_not1_saveexec_b32 s44, s44
	s_cbranch_execz .LBB4_118
; %bb.117:                              ;   in Loop: Header=BB4_57 Depth=2
	global_wb scope:SCOPE_DEV
	s_wait_storecnt 0x0
	s_wait_loadcnt_dscnt 0x0
	global_inv scope:SCOPE_DEV
	s_barrier_signal -1
	s_barrier_wait -1
.LBB4_118:                              ;   in Loop: Header=BB4_57 Depth=2
	s_or_b32 exec_lo, exec_lo, s44
.LBB4_119:                              ;   in Loop: Header=BB4_57 Depth=2
	s_delay_alu instid0(SALU_CYCLE_1)
	s_or_b32 exec_lo, exec_lo, s13
	s_trap 2
	ds_load_b64 v[14:15], v0
	s_wait_dscnt 0x0
	v_cmp_eq_u64_e32 vcc_lo, 0, v[14:15]
	s_cbranch_vccnz .LBB4_127
; %bb.120:                              ;   in Loop: Header=BB4_57 Depth=2
	s_trap 2
	ds_load_b64 v[16:17], v0
	s_wait_dscnt 0x0
	v_cmp_eq_u64_e32 vcc_lo, 0, v[16:17]
	s_cbranch_vccnz .LBB4_127
; %bb.121:                              ;   in Loop: Header=BB4_57 Depth=2
	s_mov_b32 s13, -1
	s_and_saveexec_b32 s44, s7
	s_cbranch_execz .LBB4_123
; %bb.122:                              ;   in Loop: Header=BB4_57 Depth=2
	ds_load_b32 v2, v0 offset:720
	s_wait_dscnt 0x0
	v_and_b32_e32 v2, 15, v2
	s_delay_alu instid0(VALU_DEP_1)
	v_cmp_eq_u32_e32 vcc_lo, 0, v2
	s_or_not1_b32 s13, vcc_lo, exec_lo
.LBB4_123:                              ;   in Loop: Header=BB4_57 Depth=2
	s_or_b32 exec_lo, exec_lo, s44
	s_and_saveexec_b32 s44, s11
	s_cbranch_execz .LBB4_125
; %bb.124:                              ;   in Loop: Header=BB4_57 Depth=2
	ds_load_b32 v2, v0 offset:784
	s_wait_dscnt 0x0
	v_and_b32_e32 v2, 15, v2
	s_delay_alu instid0(VALU_DEP_1) | instskip(SKIP_3) | instid1(SALU_CYCLE_1)
	v_cmp_eq_u32_e32 vcc_lo, 0, v2
	s_and_b32 s45, s13, vcc_lo
	s_and_not1_b32 s13, s13, exec_lo
	s_and_b32 s45, s45, exec_lo
	s_or_b32 s13, s13, s45
.LBB4_125:                              ;   in Loop: Header=BB4_57 Depth=2
	s_or_b32 exec_lo, exec_lo, s44
	v_cmp_eq_u32_e32 vcc_lo, 0, v9
	s_xor_b32 s13, s13, -1
	v_mov_b32_e32 v18, v93
	v_cndmask_b32_e64 v11, 0, 1, s13
	s_mov_b32 s45, -1
	v_dual_cndmask_b32 v2, 0, v8 :: v_dual_mov_b32 v9, 0
	v_mov_b32_e32 v20, v0
	s_delay_alu instid0(VALU_DEP_3) | instskip(NEXT) | instid1(VALU_DEP_3)
	v_cmp_ne_u32_e32 vcc_lo, 0, v11
	v_mov_b32_e32 v11, v2
	s_cbranch_vccz .LBB4_132
; %bb.126:                              ;   in Loop: Header=BB4_57 Depth=2
	s_and_saveexec_b32 s13, s45
	s_cbranch_execnz .LBB4_145
	s_branch .LBB4_153
.LBB4_127:                              ;   in Loop: Header=BB4_57 Depth=2
	s_mov_b32 s13, 0
	s_and_saveexec_b32 s44, s2
	s_cbranch_execnz .LBB4_154
.LBB4_128:                              ;   in Loop: Header=BB4_57 Depth=2
	s_or_b32 exec_lo, exec_lo, s44
                                        ; implicit-def: $vgpr2
	s_and_saveexec_b32 s44, s10
	s_delay_alu instid0(SALU_CYCLE_1)
	s_xor_b32 s44, exec_lo, s44
	s_cbranch_execz .LBB4_172
.LBB4_129:                              ;   in Loop: Header=BB4_57 Depth=2
	v_and_b32_e32 v2, 16, v30
	s_delay_alu instid0(VALU_DEP_1) | instskip(SKIP_2) | instid1(SALU_CYCLE_1)
	v_cmp_ne_u32_e32 vcc_lo, 0, v2
	v_and_b32_e32 v2, 16, v30
	s_and_b32 s45, vcc_lo, s13
	s_and_saveexec_b32 s13, s45
	s_cbranch_execz .LBB4_131
; %bb.130:                              ;   in Loop: Header=BB4_57 Depth=2
	v_mov_b32_e32 v2, 1
	global_wb scope:SCOPE_SYS
	s_wait_storecnt 0x0
	s_wait_loadcnt_dscnt 0x0
	global_inv scope:SCOPE_SYS
.LBB4_131:                              ;   in Loop: Header=BB4_57 Depth=2
	s_or_b32 exec_lo, exec_lo, s13
	s_and_not1_saveexec_b32 s13, s44
	s_cbranch_execz .LBB4_191
	s_branch .LBB4_173
.LBB4_132:                              ;   in Loop: Header=BB4_57 Depth=2
	v_ashrrev_i32_e32 v9, 31, v2
	s_mov_b32 s13, exec_lo
	s_delay_alu instid0(VALU_DEP_1) | instskip(NEXT) | instid1(VALU_DEP_1)
	v_lshrrev_b32_e32 v9, 21, v9
	v_add_nc_u32_e32 v9, v2, v9
	s_delay_alu instid0(VALU_DEP_1) | instskip(NEXT) | instid1(VALU_DEP_1)
	v_ashrrev_i32_e32 v9, 11, v9
	v_sub_nc_u32_e32 v23, v9, v93
	s_delay_alu instid0(VALU_DEP_1)
	v_cmpx_lt_i32_e32 0, v23
	s_cbranch_execz .LBB4_136
; %bb.133:                              ;   in Loop: Header=BB4_57 Depth=2
	v_mov_b64_e32 v[18:19], v[16:17]
	v_mov_b64_e32 v[20:21], v[14:15]
	s_mov_b32 s44, 0
.LBB4_134:                              ;   Parent Loop BB4_47 Depth=1
                                        ;     Parent Loop BB4_57 Depth=2
                                        ; =>    This Inner Loop Header: Depth=3
	s_delay_alu instid0(VALU_DEP_1)
	v_add_nc_u64_e32 v[28:29], v[98:99], v[20:21]
	v_sub_nc_u32_e32 v23, v23, v52
	v_add_nc_u64_e32 v[20:21], v[20:21], v[70:71]
	s_clause 0x3
	global_load_b128 v[24:27], v[28:29], off th:TH_LOAD_NT
	global_load_b128 v[40:43], v[28:29], off offset:512 th:TH_LOAD_NT
	global_load_b128 v[44:47], v[28:29], off offset:1024 th:TH_LOAD_NT
	;; [unrolled: 1-line block ×3, first 2 shown]
	s_wait_xcnt 0x0
	v_add_nc_u64_e32 v[28:29], v[98:99], v[18:19]
	v_cmp_gt_i32_e32 vcc_lo, 1, v23
	v_add_nc_u64_e32 v[18:19], v[18:19], v[70:71]
	s_wait_loadcnt 0x3
	global_store_b128 v[28:29], v[24:27], off th:TH_STORE_NT
	s_wait_loadcnt 0x2
	global_store_b128 v[28:29], v[40:43], off offset:512 th:TH_STORE_NT
	s_wait_loadcnt 0x1
	global_store_b128 v[28:29], v[44:47], off offset:1024 th:TH_STORE_NT
	;; [unrolled: 2-line block ×3, first 2 shown]
	s_or_b32 s44, vcc_lo, s44
	s_wait_xcnt 0x0
	s_and_not1_b32 exec_lo, exec_lo, s44
	s_cbranch_execnz .LBB4_134
; %bb.135:                              ;   in Loop: Header=BB4_57 Depth=2
	s_or_b32 exec_lo, exec_lo, s44
.LBB4_136:                              ;   in Loop: Header=BB4_57 Depth=2
	s_delay_alu instid0(SALU_CYCLE_1) | instskip(SKIP_3) | instid1(VALU_DEP_1)
	s_or_b32 exec_lo, exec_lo, s13
	v_dual_lshlrev_b32 v21, 11, v9 :: v_dual_mov_b32 v9, 0
	s_mov_b32 s45, 0
	s_mov_b32 s44, exec_lo
                                        ; implicit-def: $vgpr11
                                        ; implicit-def: $vgpr20
                                        ; implicit-def: $vgpr18
	v_cmpx_ne_u32_e64 v2, v21
	s_cbranch_execz .LBB4_144
; %bb.137:                              ;   in Loop: Header=BB4_57 Depth=2
	v_dual_lshlrev_b32 v9, 5, v23 :: v_dual_sub_nc_u32 v18, v2, v21
	s_mov_b32 s45, exec_lo
	s_delay_alu instid0(VALU_DEP_1) | instskip(NEXT) | instid1(VALU_DEP_1)
	v_dual_sub_nc_u32 v9, v94, v9 :: v_dual_ashrrev_i32 v19, 31, v18
	v_ashrrev_i32_e32 v11, 31, v9
	s_delay_alu instid0(VALU_DEP_1) | instskip(NEXT) | instid1(VALU_DEP_1)
	v_lshrrev_b32_e32 v11, 27, v11
	v_add_nc_u32_e32 v11, v9, v11
	s_delay_alu instid0(VALU_DEP_1) | instskip(NEXT) | instid1(VALU_DEP_1)
	v_and_b32_e32 v20, 0xffffffe0, v11
	v_dual_sub_nc_u32 v26, v9, v20 :: v_dual_lshrrev_b32 v19, 23, v19
	s_delay_alu instid0(VALU_DEP_1) | instskip(NEXT) | instid1(VALU_DEP_2)
	v_dual_ashrrev_i32 v20, 5, v11 :: v_dual_lshlrev_b32 v9, 4, v26
	v_add_nc_u32_e32 v19, v18, v19
	s_delay_alu instid0(VALU_DEP_2) | instskip(NEXT) | instid1(VALU_DEP_2)
	v_lshl_add_u32 v11, v20, 9, v9
	v_and_b32_e32 v23, 0xfffffe00, v19
	v_ashrrev_i32_e32 v19, 9, v19
	s_delay_alu instid0(VALU_DEP_3) | instskip(NEXT) | instid1(VALU_DEP_3)
	v_sub_nc_u32_e32 v9, v18, v11
	v_sub_nc_u32_e32 v27, v18, v23
	s_delay_alu instid0(VALU_DEP_1) | instskip(NEXT) | instid1(VALU_DEP_4)
	v_cmp_lt_i32_e32 vcc_lo, 15, v27
	v_add_co_ci_u32_e64 v19, null, 0, v19, vcc_lo
	s_delay_alu instid0(VALU_DEP_1)
	v_sub_nc_u32_e32 v24, v19, v20
	v_cmpx_lt_i32_e32 15, v9
	s_cbranch_execz .LBB4_141
; %bb.138:                              ;   in Loop: Header=BB4_57 Depth=2
	v_add_nc_u32_e32 v18, v11, v21
	s_mov_b32 s72, 0
	s_delay_alu instid0(VALU_DEP_1)
	v_ashrrev_i32_e32 v19, 31, v18
.LBB4_139:                              ;   Parent Loop BB4_47 Depth=1
                                        ;     Parent Loop BB4_57 Depth=2
                                        ; =>    This Inner Loop Header: Depth=3
	s_delay_alu instid0(VALU_DEP_1) | instskip(SKIP_2) | instid1(VALU_DEP_2)
	v_add_nc_u64_e32 v[28:29], v[14:15], v[18:19]
	v_sub_nc_u32_e32 v9, v9, v80
	v_sub_nc_u32_e32 v24, v24, v52
	v_cmp_gt_i32_e64 s13, 16, v9
	global_load_b128 v[40:43], v[28:29], off th:TH_LOAD_NT
	s_wait_xcnt 0x0
	v_add_nc_u64_e32 v[28:29], v[16:17], v[18:19]
	v_add_nc_u64_e32 v[18:19], v[18:19], v[80:81]
	s_or_b32 s72, s13, s72
	s_wait_loadcnt 0x0
	global_store_b128 v[28:29], v[40:43], off th:TH_STORE_NT
	s_wait_xcnt 0x0
	s_and_not1_b32 exec_lo, exec_lo, s72
	s_cbranch_execnz .LBB4_139
; %bb.140:                              ;   in Loop: Header=BB4_57 Depth=2
	s_or_b32 exec_lo, exec_lo, s72
.LBB4_141:                              ;   in Loop: Header=BB4_57 Depth=2
	s_delay_alu instid0(SALU_CYCLE_1) | instskip(SKIP_3) | instid1(VALU_DEP_1)
	s_or_b32 exec_lo, exec_lo, s45
	v_dual_mov_b32 v9, 0 :: v_dual_bitop2_b32 v19, 15, v2 bitop3:0x40
	s_mov_b32 s45, 0
	s_mov_b32 s72, exec_lo
                                        ; implicit-def: $vgpr20
                                        ; implicit-def: $vgpr18
	v_cndmask_b32_e32 v11, v27, v19, vcc_lo
	s_delay_alu instid0(VALU_DEP_1)
	v_cmpx_ne_u32_e32 0, v11
	s_cbranch_execz .LBB4_143
; %bb.142:                              ;   in Loop: Header=BB4_57 Depth=2
	v_cmp_lt_i32_e64 s13, 0, v24
	s_mov_b32 s45, exec_lo
	v_dual_sub_nc_u32 v18, v27, v19 :: v_dual_cndmask_b32 v9, 0, v52, s13
	s_delay_alu instid0(VALU_DEP_1) | instskip(NEXT) | instid1(VALU_DEP_1)
	v_dual_cndmask_b32 v18, 0, v18 :: v_dual_sub_nc_u32 v9, v9, v24
	v_lshl_add_u32 v20, v9, 5, v26
	s_delay_alu instid0(VALU_DEP_1) | instskip(NEXT) | instid1(VALU_DEP_1)
	v_ashrrev_i32_e32 v9, 31, v20
	v_lshrrev_b32_e32 v9, 27, v9
	s_delay_alu instid0(VALU_DEP_1) | instskip(SKIP_1) | instid1(VALU_DEP_2)
	v_add_nc_u32_e32 v19, v20, v9
	v_add3_u32 v9, v23, v21, v18
	v_ashrrev_i32_e32 v18, 5, v19
.LBB4_143:                              ;   in Loop: Header=BB4_57 Depth=2
	s_or_b32 exec_lo, exec_lo, s72
	s_delay_alu instid0(SALU_CYCLE_1)
	s_and_b32 s45, s45, exec_lo
.LBB4_144:                              ;   in Loop: Header=BB4_57 Depth=2
	s_or_b32 exec_lo, exec_lo, s44
	s_and_saveexec_b32 s13, s45
	s_cbranch_execz .LBB4_153
.LBB4_145:                              ;   in Loop: Header=BB4_57 Depth=2
	v_ashrrev_i32_e32 v19, 31, v11
	s_mov_b32 s44, exec_lo
	s_delay_alu instid0(VALU_DEP_1) | instskip(NEXT) | instid1(VALU_DEP_1)
	v_lshrrev_b32_e32 v19, 23, v19
	v_add_nc_u32_e32 v19, v11, v19
	s_delay_alu instid0(VALU_DEP_1) | instskip(NEXT) | instid1(VALU_DEP_1)
	v_dual_ashrrev_i32 v26, 9, v19 :: v_dual_ashrrev_i32 v19, 31, v20
	v_dual_sub_nc_u32 v21, v26, v18 :: v_dual_lshrrev_b32 v23, 27, v19
	s_delay_alu instid0(VALU_DEP_1)
	v_cmpx_lt_i32_e32 0, v21
	s_cbranch_execz .LBB4_149
; %bb.146:                              ;   in Loop: Header=BB4_57 Depth=2
	s_delay_alu instid0(VALU_DEP_2) | instskip(SKIP_1) | instid1(VALU_DEP_1)
	v_dual_add_nc_u32 v19, v20, v23 :: v_dual_lshlrev_b32 v18, 9, v18
	s_mov_b32 s45, 0
	v_and_b32_e32 v19, 0xffffffe0, v19
	s_delay_alu instid0(VALU_DEP_1) | instskip(NEXT) | instid1(VALU_DEP_1)
	v_sub_nc_u32_e32 v19, v20, v19
	v_add3_u32 v18, v9, v19, v18
	s_delay_alu instid0(VALU_DEP_1)
	v_ashrrev_i32_e32 v19, 31, v18
.LBB4_147:                              ;   Parent Loop BB4_47 Depth=1
                                        ;     Parent Loop BB4_57 Depth=2
                                        ; =>    This Inner Loop Header: Depth=3
	s_delay_alu instid0(VALU_DEP_1)
	v_add_nc_u64_e32 v[24:25], v[18:19], v[14:15]
	v_sub_nc_u32_e32 v21, v21, v52
	v_add_nc_u64_e32 v[14:15], v[14:15], v[80:81]
	s_clause 0xf
	flat_load_u8 v27, v[24:25] th:TH_LOAD_NT
	flat_load_u8 v28, v[24:25] offset:32 th:TH_LOAD_NT
	flat_load_u8 v29, v[24:25] offset:64 th:TH_LOAD_NT
	;; [unrolled: 1-line block ×15, first 2 shown]
	s_wait_xcnt 0x0
	v_add_nc_u64_e32 v[24:25], v[18:19], v[16:17]
	v_add_nc_u64_e32 v[16:17], v[16:17], v[80:81]
	v_cmp_gt_i32_e32 vcc_lo, 1, v21
	s_wait_loadcnt_dscnt 0xf0f
	flat_store_b8 v[24:25], v27 th:TH_STORE_NT
	s_wait_loadcnt_dscnt 0xe0f
	flat_store_b8 v[24:25], v28 offset:32 th:TH_STORE_NT
	s_wait_loadcnt_dscnt 0xd0f
	flat_store_b8 v[24:25], v29 offset:64 th:TH_STORE_NT
	;; [unrolled: 2-line block ×15, first 2 shown]
	s_or_b32 s45, vcc_lo, s45
	s_wait_xcnt 0x0
	s_and_not1_b32 exec_lo, exec_lo, s45
	s_cbranch_execnz .LBB4_147
; %bb.148:                              ;   in Loop: Header=BB4_57 Depth=2
	s_or_b32 exec_lo, exec_lo, s45
.LBB4_149:                              ;   in Loop: Header=BB4_57 Depth=2
	s_delay_alu instid0(SALU_CYCLE_1) | instskip(SKIP_1) | instid1(VALU_DEP_1)
	s_or_b32 exec_lo, exec_lo, s44
	v_lshlrev_b32_e32 v14, 9, v26
	v_cmp_ne_u32_e32 vcc_lo, v11, v14
	s_and_b32 exec_lo, exec_lo, vcc_lo
	s_cbranch_execz .LBB4_153
; %bb.150:                              ;   in Loop: Header=BB4_57 Depth=2
	v_dual_add_nc_u32 v15, v20, v23 :: v_dual_lshlrev_b32 v16, 5, v21
	s_delay_alu instid0(VALU_DEP_1) | instskip(NEXT) | instid1(VALU_DEP_1)
	v_and_b32_e32 v15, 0xffffffe0, v15
	v_sub_nc_u32_e32 v15, v20, v15
	s_delay_alu instid0(VALU_DEP_1) | instskip(NEXT) | instid1(VALU_DEP_1)
	v_sub_nc_u32_e32 v15, v15, v16
	v_add_nc_u32_e32 v16, v14, v15
	s_delay_alu instid0(VALU_DEP_1) | instskip(NEXT) | instid1(VALU_DEP_1)
	v_sub_nc_u32_e32 v11, v11, v16
	v_cmp_lt_i32_e32 vcc_lo, 0, v11
	s_and_b32 exec_lo, exec_lo, vcc_lo
	s_cbranch_execz .LBB4_153
; %bb.151:                              ;   in Loop: Header=BB4_57 Depth=2
	s_trap 2
	ds_load_b64 v[14:15], v0
	v_add_nc_u32_e32 v16, v16, v9
	s_mov_b32 s44, 0
	s_delay_alu instid0(VALU_DEP_1)
	v_ashrrev_i32_e32 v17, 31, v16
.LBB4_152:                              ;   Parent Loop BB4_47 Depth=1
                                        ;     Parent Loop BB4_57 Depth=2
                                        ; =>    This Inner Loop Header: Depth=3
	s_wait_dscnt 0x0
	s_delay_alu instid0(VALU_DEP_1) | instskip(SKIP_2) | instid1(VALU_DEP_2)
	v_add_nc_u64_e32 v[18:19], v[14:15], v[16:17]
	v_sub_nc_u32_e32 v11, v11, v54
	v_add_nc_u64_e32 v[16:17], v[16:17], v[54:55]
	v_cmp_gt_i32_e32 vcc_lo, 1, v11
	flat_load_u8 v9, v[18:19] th:TH_LOAD_NT
	s_or_b32 s44, vcc_lo, s44
	s_wait_loadcnt_dscnt 0x0
	flat_store_b8 v[18:19], v9 th:TH_STORE_NT
	s_wait_xcnt 0x0
	s_and_not1_b32 exec_lo, exec_lo, s44
	s_cbranch_execnz .LBB4_152
.LBB4_153:                              ;   in Loop: Header=BB4_57 Depth=2
	s_or_b32 exec_lo, exec_lo, s13
	v_cmp_lt_i32_e64 s13, 0, v2
	s_and_saveexec_b32 s44, s2
	s_cbranch_execz .LBB4_128
.LBB4_154:                              ;   in Loop: Header=BB4_57 Depth=2
	s_and_saveexec_b32 s45, s3
	s_delay_alu instid0(SALU_CYCLE_1)
	s_xor_b32 s45, exec_lo, s45
	s_cbranch_execz .LBB4_169
; %bb.155:                              ;   in Loop: Header=BB4_57 Depth=2
	s_and_saveexec_b32 s72, s6
	s_cbranch_execz .LBB4_168
; %bb.156:                              ;   in Loop: Header=BB4_57 Depth=2
	s_mov_b32 s74, exec_lo
	s_mov_b32 s73, exec_lo
	v_mbcnt_lo_u32_b32 v2, s74, 0
	global_wb scope:SCOPE_DEV
	s_wait_storecnt 0x0
	s_wait_loadcnt_dscnt 0x0
	global_inv scope:SCOPE_DEV
	v_cmpx_eq_u32_e32 0, v2
	s_cbranch_execz .LBB4_158
; %bb.157:                              ;   in Loop: Header=BB4_57 Depth=2
	s_bcnt1_i32_b32 s74, s74
	s_delay_alu instid0(SALU_CYCLE_1)
	v_mov_b32_e32 v2, s74
	s_wait_loadcnt 0x0
	ds_add_u64 v0, v[2:3]
	s_trap 2
.LBB4_158:                              ;   in Loop: Header=BB4_57 Depth=2
	s_or_b32 exec_lo, exec_lo, s73
	s_trap 2
	ds_load_b64 v[14:15], v0
	s_wait_dscnt 0x0
	v_add_nc_u64_e32 v[48:49], v[48:49], v[52:53]
	s_mov_b32 s73, exec_lo
	s_delay_alu instid0(VALU_DEP_1)
	v_cmpx_lt_u64_e64 v[14:15], v[48:49]
	s_cbranch_execz .LBB4_167
; %bb.159:                              ;   in Loop: Header=BB4_57 Depth=2
	s_mov_b32 s74, 0
	s_mov_b32 s77, 0
                                        ; implicit-def: $sgpr75
                                        ; implicit-def: $sgpr76
	s_branch .LBB4_161
.LBB4_160:                              ;   in Loop: Header=BB4_161 Depth=3
	s_or_b32 exec_lo, exec_lo, s79
	s_delay_alu instid0(SALU_CYCLE_1) | instskip(NEXT) | instid1(SALU_CYCLE_1)
	s_and_b32 s78, exec_lo, s88
	s_or_b32 s74, s78, s74
	s_and_not1_b32 s75, s75, exec_lo
	s_and_b32 s78, s76, exec_lo
	s_delay_alu instid0(SALU_CYCLE_1)
	s_or_b32 s75, s75, s78
	s_and_not1_b32 exec_lo, exec_lo, s74
	s_cbranch_execz .LBB4_165
.LBB4_161:                              ;   Parent Loop BB4_47 Depth=1
                                        ;     Parent Loop BB4_57 Depth=2
                                        ; =>    This Inner Loop Header: Depth=3
	s_add_co_i32 s77, s77, 1
	s_delay_alu instid0(SALU_CYCLE_1) | instskip(SKIP_1) | instid1(SALU_CYCLE_1)
	s_cmp_lg_u32 s77, 0x2710
	s_cselect_b32 s78, -1, 0
	s_and_b32 vcc_lo, exec_lo, s78
	s_cbranch_vccz .LBB4_163
; %bb.162:                              ;   in Loop: Header=BB4_161 Depth=3
	s_mov_b32 s88, -1
	s_or_b32 s76, s76, exec_lo
	s_and_saveexec_b32 s79, s78
	s_cbranch_execz .LBB4_160
	s_branch .LBB4_164
.LBB4_163:                              ;   in Loop: Header=BB4_161 Depth=3
	s_trap 2
	ds_load_b64 v[14:15], v0
	s_and_not1_b32 s78, s78, exec_lo
	s_mov_b32 s77, 0
	s_wait_loadcnt_dscnt 0x0
	flat_load_b32 v2, v[14:15] scope:SCOPE_SYS
	s_wait_loadcnt_dscnt 0x0
	global_inv scope:SCOPE_SYS
	v_cmp_eq_u32_e32 vcc_lo, 0, v2
	s_and_b32 s79, vcc_lo, exec_lo
	s_delay_alu instid0(SALU_CYCLE_1)
	s_or_b32 s78, s78, s79
	s_mov_b32 s88, -1
	s_or_b32 s76, s76, exec_lo
	s_and_saveexec_b32 s79, s78
	s_cbranch_execz .LBB4_160
.LBB4_164:                              ;   in Loop: Header=BB4_161 Depth=3
	s_sleep 1
	s_trap 2
	ds_load_b64 v[14:15], v0
	s_wait_dscnt 0x0
	s_and_not1_b32 s76, s76, exec_lo
	v_cmp_ge_u64_e32 vcc_lo, v[14:15], v[48:49]
	s_or_not1_b32 s88, vcc_lo, exec_lo
	s_branch .LBB4_160
.LBB4_165:                              ;   in Loop: Header=BB4_57 Depth=2
	s_or_b32 exec_lo, exec_lo, s74
	s_and_saveexec_b32 s74, s75
	s_delay_alu instid0(SALU_CYCLE_1)
	s_xor_b32 s74, exec_lo, s74
	s_cbranch_execz .LBB4_167
; %bb.166:                              ;   in Loop: Header=BB4_57 Depth=2
	ds_store_b32 v0, v89
	s_trap 2
.LBB4_167:                              ;   in Loop: Header=BB4_57 Depth=2
	s_or_b32 exec_lo, exec_lo, s73
	;;#ASMSTART
	s_wakeup
	;;#ASMEND
.LBB4_168:                              ;   in Loop: Header=BB4_57 Depth=2
	s_or_b32 exec_lo, exec_lo, s72
.LBB4_169:                              ;   in Loop: Header=BB4_57 Depth=2
	s_and_not1_saveexec_b32 s45, s45
	s_cbranch_execz .LBB4_171
; %bb.170:                              ;   in Loop: Header=BB4_57 Depth=2
	global_wb scope:SCOPE_DEV
	s_wait_storecnt 0x0
	s_wait_loadcnt_dscnt 0x0
	global_inv scope:SCOPE_DEV
	s_barrier_signal -1
	s_barrier_wait -1
.LBB4_171:                              ;   in Loop: Header=BB4_57 Depth=2
	s_or_b32 exec_lo, exec_lo, s45
	s_delay_alu instid0(SALU_CYCLE_1) | instskip(SKIP_1) | instid1(SALU_CYCLE_1)
	s_or_b32 exec_lo, exec_lo, s44
                                        ; implicit-def: $vgpr2
	s_and_saveexec_b32 s44, s10
	s_xor_b32 s44, exec_lo, s44
	s_cbranch_execnz .LBB4_129
.LBB4_172:                              ;   in Loop: Header=BB4_57 Depth=2
	s_and_not1_saveexec_b32 s13, s44
	s_cbranch_execz .LBB4_191
.LBB4_173:                              ;   in Loop: Header=BB4_57 Depth=2
	s_and_saveexec_b32 s44, s3
	s_delay_alu instid0(SALU_CYCLE_1)
	s_xor_b32 s44, exec_lo, s44
	s_cbranch_execz .LBB4_188
; %bb.174:                              ;   in Loop: Header=BB4_57 Depth=2
	s_and_saveexec_b32 s45, s6
	s_cbranch_execz .LBB4_187
; %bb.175:                              ;   in Loop: Header=BB4_57 Depth=2
	s_mov_b32 s73, exec_lo
	s_mov_b32 s72, exec_lo
	v_mbcnt_lo_u32_b32 v2, s73, 0
	;;#ASMSTART
	s_waitcnt lgkmcnt(0) vmcnt(0)
	;;#ASMEND
	s_delay_alu instid0(VALU_DEP_1)
	v_cmpx_eq_u32_e32 0, v2
	s_cbranch_execz .LBB4_177
; %bb.176:                              ;   in Loop: Header=BB4_57 Depth=2
	s_bcnt1_i32_b32 s73, s73
	s_delay_alu instid0(SALU_CYCLE_1)
	v_mov_b32_e32 v2, s73
	s_wait_storecnt 0x0
	s_wait_loadcnt_dscnt 0x0
	ds_add_u64 v0, v[2:3]
	s_trap 2
.LBB4_177:                              ;   in Loop: Header=BB4_57 Depth=2
	s_or_b32 exec_lo, exec_lo, s72
	s_trap 2
	ds_load_b64 v[14:15], v0
	s_wait_dscnt 0x0
	v_add_nc_u64_e32 v[48:49], v[48:49], v[52:53]
	s_mov_b32 s72, exec_lo
	s_delay_alu instid0(VALU_DEP_1)
	v_cmpx_lt_u64_e64 v[14:15], v[48:49]
	s_cbranch_execz .LBB4_186
; %bb.178:                              ;   in Loop: Header=BB4_57 Depth=2
	s_mov_b32 s73, 0
	s_mov_b32 s76, 0
                                        ; implicit-def: $sgpr74
                                        ; implicit-def: $sgpr75
	s_branch .LBB4_180
.LBB4_179:                              ;   in Loop: Header=BB4_180 Depth=3
	s_or_b32 exec_lo, exec_lo, s78
	s_delay_alu instid0(SALU_CYCLE_1) | instskip(NEXT) | instid1(SALU_CYCLE_1)
	s_and_b32 s77, exec_lo, s79
	s_or_b32 s73, s77, s73
	s_and_not1_b32 s74, s74, exec_lo
	s_and_b32 s77, s75, exec_lo
	s_delay_alu instid0(SALU_CYCLE_1)
	s_or_b32 s74, s74, s77
	s_and_not1_b32 exec_lo, exec_lo, s73
	s_cbranch_execz .LBB4_184
.LBB4_180:                              ;   Parent Loop BB4_47 Depth=1
                                        ;     Parent Loop BB4_57 Depth=2
                                        ; =>    This Inner Loop Header: Depth=3
	s_add_co_i32 s76, s76, 1
	s_delay_alu instid0(SALU_CYCLE_1) | instskip(SKIP_1) | instid1(SALU_CYCLE_1)
	s_cmp_lg_u32 s76, 0x2710
	s_cselect_b32 s77, -1, 0
	s_and_b32 vcc_lo, exec_lo, s77
	s_cbranch_vccz .LBB4_182
; %bb.181:                              ;   in Loop: Header=BB4_180 Depth=3
	s_mov_b32 s79, -1
	s_or_b32 s75, s75, exec_lo
	s_and_saveexec_b32 s78, s77
	s_cbranch_execz .LBB4_179
	s_branch .LBB4_183
.LBB4_182:                              ;   in Loop: Header=BB4_180 Depth=3
	s_trap 2
	ds_load_b64 v[14:15], v0
	s_and_not1_b32 s77, s77, exec_lo
	s_mov_b32 s76, 0
	s_wait_storecnt 0x0
	s_wait_loadcnt_dscnt 0x0
	flat_load_b32 v2, v[14:15] scope:SCOPE_SYS
	s_wait_loadcnt_dscnt 0x0
	global_inv scope:SCOPE_SYS
	v_cmp_eq_u32_e32 vcc_lo, 0, v2
	s_and_b32 s78, vcc_lo, exec_lo
	s_delay_alu instid0(SALU_CYCLE_1)
	s_or_b32 s77, s77, s78
	s_mov_b32 s79, -1
	s_or_b32 s75, s75, exec_lo
	s_and_saveexec_b32 s78, s77
	s_cbranch_execz .LBB4_179
.LBB4_183:                              ;   in Loop: Header=BB4_180 Depth=3
	s_sleep 1
	s_trap 2
	ds_load_b64 v[14:15], v0
	s_wait_dscnt 0x0
	s_and_not1_b32 s75, s75, exec_lo
	v_cmp_ge_u64_e32 vcc_lo, v[14:15], v[48:49]
	s_or_not1_b32 s79, vcc_lo, exec_lo
	s_branch .LBB4_179
.LBB4_184:                              ;   in Loop: Header=BB4_57 Depth=2
	s_or_b32 exec_lo, exec_lo, s73
	s_and_saveexec_b32 s73, s74
	s_delay_alu instid0(SALU_CYCLE_1)
	s_xor_b32 s73, exec_lo, s73
	s_cbranch_execz .LBB4_186
; %bb.185:                              ;   in Loop: Header=BB4_57 Depth=2
	ds_store_b32 v0, v89
	s_trap 2
.LBB4_186:                              ;   in Loop: Header=BB4_57 Depth=2
	s_or_b32 exec_lo, exec_lo, s72
	;;#ASMSTART
	s_wakeup
	;;#ASMEND
.LBB4_187:                              ;   in Loop: Header=BB4_57 Depth=2
	s_or_b32 exec_lo, exec_lo, s45
.LBB4_188:                              ;   in Loop: Header=BB4_57 Depth=2
	s_and_not1_saveexec_b32 s44, s44
	s_cbranch_execz .LBB4_190
; %bb.189:                              ;   in Loop: Header=BB4_57 Depth=2
	;;#ASMSTART
	s_waitcnt lgkmcnt(0) vmcnt(0)
	;;#ASMEND
	s_barrier_signal -1
	s_barrier_wait -1
.LBB4_190:                              ;   in Loop: Header=BB4_57 Depth=2
	s_or_b32 exec_lo, exec_lo, s44
	v_and_b32_e32 v2, 16, v30
.LBB4_191:                              ;   in Loop: Header=BB4_57 Depth=2
	s_or_b32 exec_lo, exec_lo, s13
	s_delay_alu instid0(SALU_CYCLE_1) | instskip(NEXT) | instid1(VALU_DEP_1)
	s_mov_b32 s13, exec_lo
	v_cmpx_ne_u32_e32 0, v2
	s_cbranch_execz .LBB4_56
; %bb.192:                              ;   in Loop: Header=BB4_57 Depth=2
	s_and_saveexec_b32 s44, s5
	s_cbranch_execz .LBB4_55
; %bb.193:                              ;   in Loop: Header=BB4_57 Depth=2
	global_wb scope:SCOPE_SYS
	s_wait_storecnt 0x0
	s_wait_loadcnt_dscnt 0x0
	flat_store_b32 v[38:39], v89 scope:SCOPE_SYS
	s_branch .LBB4_55
.LBB4_194:                              ;   in Loop: Header=BB4_47 Depth=1
	s_or_b32 exec_lo, exec_lo, s15
.LBB4_195:                              ;   in Loop: Header=BB4_47 Depth=1
	s_delay_alu instid0(SALU_CYCLE_1) | instskip(NEXT) | instid1(SALU_CYCLE_1)
	s_or_b32 exec_lo, exec_lo, s14
	s_mov_b32 s14, exec_lo
	v_cmpx_gt_i32_e32 2, v2
	s_cbranch_execz .LBB4_267
; %bb.196:                              ;   in Loop: Header=BB4_47 Depth=1
	v_cmp_eq_u32_e64 s18, 0, v2
	s_mov_b32 s15, 0
	s_branch .LBB4_199
.LBB4_197:                              ;   in Loop: Header=BB4_199 Depth=2
	s_wait_xcnt 0x0
	s_or_b32 exec_lo, exec_lo, s18
	v_add_nc_u64_e32 v[114:115], 2, v[114:115]
	global_wb scope:SCOPE_SYS
	s_wait_storecnt 0x0
	s_wait_loadcnt_dscnt 0x0
	flat_store_b64 v[32:33], v[114:115] scope:SCOPE_SYS
.LBB4_198:                              ;   in Loop: Header=BB4_199 Depth=2
	s_wait_xcnt 0x0
	s_or_b32 exec_lo, exec_lo, s13
	v_add_nc_u32_e32 v10, v8, v10
	s_mov_b32 s18, 0
	s_and_not1_b32 exec_lo, exec_lo, s15
	s_cbranch_execz .LBB4_266
.LBB4_199:                              ;   Parent Loop BB4_47 Depth=1
                                        ; =>  This Loop Header: Depth=2
                                        ;       Child Loop BB4_205 Depth 3
                                        ;       Child Loop BB4_229 Depth 3
	;; [unrolled: 1-line block ×3, first 2 shown]
	s_delay_alu instid0(VALU_DEP_1) | instskip(SKIP_2) | instid1(VALU_DEP_2)
	v_sub_nc_u32_e32 v2, v22, v10
	v_and_b32_e32 v9, 8, v30
	s_mov_b32 s41, exec_lo
	v_min_i32_e32 v8, v8, v2
	s_delay_alu instid0(VALU_DEP_2)
	v_cmpx_ne_u32_e32 0, v9
	s_cbranch_execz .LBB4_221
; %bb.200:                              ;   in Loop: Header=BB4_199 Depth=2
	s_wait_loadcnt_dscnt 0x1
	v_add_nc_u64_e32 v[14:15], 8, v[50:51]
	v_add_nc_u64_e32 v[12:13], 2, v[114:115]
	s_mov_b32 s44, exec_lo
	s_delay_alu instid0(VALU_DEP_1)
	v_cmpx_lt_u64_e64 v[14:15], v[12:13]
	s_cbranch_execz .LBB4_212
; %bb.201:                              ;   in Loop: Header=BB4_199 Depth=2
	v_and_b32_e32 v2, 64, v30
	s_mov_b32 s45, 0
	s_mov_b32 s75, 0
                                        ; implicit-def: $sgpr72
                                        ; implicit-def: $sgpr73
                                        ; implicit-def: $sgpr74
	s_delay_alu instid0(VALU_DEP_1)
	v_cmp_eq_u32_e32 vcc_lo, 0, v2
	s_branch .LBB4_205
.LBB4_202:                              ;   in Loop: Header=BB4_205 Depth=3
	s_wait_loadcnt_dscnt 0x0
	v_add_nc_u64_e32 v[14:15], 8, v[50:51]
	s_or_b32 s78, s78, exec_lo
	s_delay_alu instid0(VALU_DEP_1)
	v_cmp_ge_u64_e64 s13, v[14:15], v[12:13]
	s_or_not1_b32 s77, s13, exec_lo
.LBB4_203:                              ;   in Loop: Header=BB4_205 Depth=3
	s_or_b32 exec_lo, exec_lo, s88
	s_delay_alu instid0(SALU_CYCLE_1)
	s_and_not1_b32 s13, s74, exec_lo
	s_and_b32 s74, s78, exec_lo
	s_and_not1_b32 s73, s73, exec_lo
	s_and_b32 s77, s77, exec_lo
	s_or_b32 s74, s13, s74
	s_or_b32 s73, s73, s77
.LBB4_204:                              ;   in Loop: Header=BB4_205 Depth=3
	s_or_b32 exec_lo, exec_lo, s76
	s_delay_alu instid0(SALU_CYCLE_1) | instskip(NEXT) | instid1(SALU_CYCLE_1)
	s_and_b32 s13, exec_lo, s73
	s_or_b32 s45, s13, s45
	s_and_not1_b32 s13, s72, exec_lo
	s_and_b32 s72, s74, exec_lo
	s_delay_alu instid0(SALU_CYCLE_1)
	s_or_b32 s72, s13, s72
	s_and_not1_b32 exec_lo, exec_lo, s45
	s_cbranch_execz .LBB4_209
.LBB4_205:                              ;   Parent Loop BB4_47 Depth=1
                                        ;     Parent Loop BB4_199 Depth=2
                                        ; =>    This Inner Loop Header: Depth=3
	s_sleep 1
	s_wait_loadcnt_dscnt 0x0
	flat_load_b64 v[50:51], v[32:33] scope:SCOPE_SYS
	s_or_b32 s74, s74, exec_lo
	s_or_b32 s73, s73, exec_lo
                                        ; implicit-def: $vgpr2
	s_wait_xcnt 0x0
	s_and_saveexec_b32 s76, vcc_lo
	s_cbranch_execz .LBB4_204
; %bb.206:                              ;   in Loop: Header=BB4_205 Depth=3
	s_cmp_lt_i32 s75, 0x270f
	s_mov_b32 s77, -1
	s_cselect_b32 s79, -1, 0
	s_cmp_gt_i32 s75, 0x270e
	s_cbranch_scc0 .LBB4_208
; %bb.207:                              ;   in Loop: Header=BB4_205 Depth=3
	s_trap 2
	ds_load_b64 v[14:15], v0
	s_and_not1_b32 s75, s79, exec_lo
	s_mov_b32 s78, 0
	s_wait_storecnt 0x0
	s_wait_loadcnt_dscnt 0x0
	flat_load_b32 v2, v[14:15] scope:SCOPE_SYS
	s_wait_loadcnt_dscnt 0x0
	global_inv scope:SCOPE_SYS
	v_cmp_eq_u32_e64 s13, 0, v2
	s_and_b32 s13, s13, exec_lo
	s_delay_alu instid0(SALU_CYCLE_1)
	s_or_b32 s79, s75, s13
	s_mov_b32 s75, 0
	s_and_saveexec_b32 s88, s79
	s_cbranch_execz .LBB4_203
	s_branch .LBB4_202
.LBB4_208:                              ;   in Loop: Header=BB4_205 Depth=3
	s_add_co_i32 s75, s75, 1
	s_mov_b32 s78, -1
                                        ; implicit-def: $vgpr2
	s_and_saveexec_b32 s88, s79
	s_cbranch_execz .LBB4_203
	s_branch .LBB4_202
.LBB4_209:                              ;   in Loop: Header=BB4_199 Depth=2
	s_or_b32 exec_lo, exec_lo, s45
	s_xor_b32 s13, s72, -1
	s_delay_alu instid0(SALU_CYCLE_1) | instskip(NEXT) | instid1(SALU_CYCLE_1)
	s_and_saveexec_b32 s45, s13
	s_xor_b32 s13, exec_lo, s45
	s_cbranch_execz .LBB4_211
; %bb.210:                              ;   in Loop: Header=BB4_199 Depth=2
	v_or_b32_e32 v30, 64, v30
	s_wait_storecnt 0x0
	s_wait_loadcnt_dscnt 0x0
	ds_store_b32 v0, v2
	s_trap 2
.LBB4_211:                              ;   in Loop: Header=BB4_199 Depth=2
	s_or_b32 exec_lo, exec_lo, s13
.LBB4_212:                              ;   in Loop: Header=BB4_199 Depth=2
	s_delay_alu instid0(SALU_CYCLE_1) | instskip(SKIP_3) | instid1(VALU_DEP_1)
	s_or_b32 exec_lo, exec_lo, s44
	v_and_b32_e32 v2, 0x100, v30
	s_mov_b32 s13, -1
	;;#ASMSTART
	s_wakeup
	;;#ASMEND
                                        ; implicit-def: $vgpr14_vgpr15
	v_cmp_ne_u32_e32 vcc_lo, 0, v2
	v_and_b32_e32 v2, 7, v114
	s_and_saveexec_b32 s44, vcc_lo
	s_cbranch_execz .LBB4_216
; %bb.213:                              ;   in Loop: Header=BB4_199 Depth=2
	s_delay_alu instid0(VALU_DEP_1)
	v_mad_nc_u64_u32 v[16:17], v2, 24, v[6:7]
	v_ashrrev_i32_e32 v9, 31, v8
	s_mov_b32 s45, exec_lo
                                        ; implicit-def: $vgpr14_vgpr15
	s_clause 0x1
	flat_load_b32 v11, v[16:17]
	flat_store_b64 v[16:17], v[8:9] offset:8
	s_wait_loadcnt_dscnt 0x1
	v_cmp_ne_u32_e32 vcc_lo, 1, v11
	s_wait_xcnt 0x0
	v_cmpx_eq_u32_e32 1, v11
	s_cbranch_execz .LBB4_215
; %bb.214:                              ;   in Loop: Header=BB4_199 Depth=2
	flat_load_b32 v14, v[16:17] offset:4 scope:SCOPE_SYS
	s_wait_loadcnt_dscnt 0x0
	v_ashrrev_i32_e32 v15, 31, v14
.LBB4_215:                              ;   in Loop: Header=BB4_199 Depth=2
	s_wait_xcnt 0x0
	s_or_b32 exec_lo, exec_lo, s45
	s_delay_alu instid0(SALU_CYCLE_1)
	s_or_not1_b32 s13, vcc_lo, exec_lo
.LBB4_216:                              ;   in Loop: Header=BB4_199 Depth=2
	s_or_b32 exec_lo, exec_lo, s44
	s_and_saveexec_b32 s44, s13
; %bb.217:                              ;   in Loop: Header=BB4_199 Depth=2
	v_mul_u64_e32 v[14:15], v[2:3], v[34:35]
; %bb.218:                              ;   in Loop: Header=BB4_199 Depth=2
	s_or_b32 exec_lo, exec_lo, s44
	s_delay_alu instid0(VALU_DEP_1)
	v_add_nc_u64_e32 v[14:15], v[36:37], v[14:15]
	v_and_b32_e32 v2, 0x2000, v30
	s_mov_b32 s13, exec_lo
	ds_store_b64 v0, v[14:15] offset:784
	v_cmpx_ne_u32_e32 0, v2
	s_cbranch_execz .LBB4_220
; %bb.219:                              ;   in Loop: Header=BB4_199 Depth=2
	ds_load_b64 v[14:15], v0 offset:872
	s_wait_dscnt 0x0
	v_add_nc_u64_e32 v[14:15], 1, v[14:15]
	ds_store_b64 v0, v[14:15] offset:872
.LBB4_220:                              ;   in Loop: Header=BB4_199 Depth=2
	s_or_b32 exec_lo, exec_lo, s13
	v_mov_b64_e32 v[114:115], v[12:13]
.LBB4_221:                              ;   in Loop: Header=BB4_199 Depth=2
	s_or_b32 exec_lo, exec_lo, s41
	s_xor_b32 s13, s18, -1
	s_delay_alu instid0(SALU_CYCLE_1) | instskip(NEXT) | instid1(SALU_CYCLE_1)
	s_and_b32 s13, exec_lo, s13
	s_or_b32 s15, s13, s15
	s_and_saveexec_b32 s13, s2
	s_cbranch_execz .LBB4_240
; %bb.222:                              ;   in Loop: Header=BB4_199 Depth=2
	s_and_saveexec_b32 s18, s3
	s_delay_alu instid0(SALU_CYCLE_1)
	s_xor_b32 s18, exec_lo, s18
	s_cbranch_execz .LBB4_237
; %bb.223:                              ;   in Loop: Header=BB4_199 Depth=2
	s_and_saveexec_b32 s41, s6
	s_cbranch_execz .LBB4_236
; %bb.224:                              ;   in Loop: Header=BB4_199 Depth=2
	s_mov_b32 s45, exec_lo
	s_mov_b32 s44, exec_lo
	v_mbcnt_lo_u32_b32 v2, s45, 0
	global_wb scope:SCOPE_DEV
	s_wait_storecnt 0x0
	s_wait_loadcnt_dscnt 0x0
	global_inv scope:SCOPE_DEV
	v_cmpx_eq_u32_e32 0, v2
	s_cbranch_execz .LBB4_226
; %bb.225:                              ;   in Loop: Header=BB4_199 Depth=2
	s_bcnt1_i32_b32 s45, s45
	s_delay_alu instid0(SALU_CYCLE_1)
	v_mov_b32_e32 v2, s45
	s_wait_loadcnt 0x0
	ds_add_u64 v0, v[2:3]
	s_trap 2
.LBB4_226:                              ;   in Loop: Header=BB4_199 Depth=2
	s_or_b32 exec_lo, exec_lo, s44
	s_trap 2
	ds_load_b64 v[12:13], v0
	s_wait_dscnt 0x0
	v_add_nc_u64_e32 v[48:49], v[48:49], v[52:53]
	s_mov_b32 s44, exec_lo
	s_delay_alu instid0(VALU_DEP_1)
	v_cmpx_lt_u64_e64 v[12:13], v[48:49]
	s_cbranch_execz .LBB4_235
; %bb.227:                              ;   in Loop: Header=BB4_199 Depth=2
	s_mov_b32 s45, 0
	s_mov_b32 s74, 0
                                        ; implicit-def: $sgpr72
                                        ; implicit-def: $sgpr73
	s_branch .LBB4_229
.LBB4_228:                              ;   in Loop: Header=BB4_229 Depth=3
	s_or_b32 exec_lo, exec_lo, s76
	s_delay_alu instid0(SALU_CYCLE_1) | instskip(NEXT) | instid1(SALU_CYCLE_1)
	s_and_b32 s75, exec_lo, s77
	s_or_b32 s45, s75, s45
	s_and_not1_b32 s72, s72, exec_lo
	s_and_b32 s75, s73, exec_lo
	s_delay_alu instid0(SALU_CYCLE_1)
	s_or_b32 s72, s72, s75
	s_and_not1_b32 exec_lo, exec_lo, s45
	s_cbranch_execz .LBB4_233
.LBB4_229:                              ;   Parent Loop BB4_47 Depth=1
                                        ;     Parent Loop BB4_199 Depth=2
                                        ; =>    This Inner Loop Header: Depth=3
	s_add_co_i32 s74, s74, 1
	s_delay_alu instid0(SALU_CYCLE_1) | instskip(SKIP_1) | instid1(SALU_CYCLE_1)
	s_cmp_lg_u32 s74, 0x2710
	s_cselect_b32 s75, -1, 0
	s_and_b32 vcc_lo, exec_lo, s75
	s_cbranch_vccz .LBB4_231
; %bb.230:                              ;   in Loop: Header=BB4_229 Depth=3
	s_mov_b32 s77, -1
	s_or_b32 s73, s73, exec_lo
	s_and_saveexec_b32 s76, s75
	s_cbranch_execz .LBB4_228
	s_branch .LBB4_232
.LBB4_231:                              ;   in Loop: Header=BB4_229 Depth=3
	s_trap 2
	ds_load_b64 v[12:13], v0
	s_and_not1_b32 s75, s75, exec_lo
	s_mov_b32 s74, 0
	s_wait_loadcnt_dscnt 0x0
	flat_load_b32 v2, v[12:13] scope:SCOPE_SYS
	s_wait_loadcnt_dscnt 0x0
	global_inv scope:SCOPE_SYS
	v_cmp_eq_u32_e32 vcc_lo, 0, v2
	s_and_b32 s76, vcc_lo, exec_lo
	s_delay_alu instid0(SALU_CYCLE_1)
	s_or_b32 s75, s75, s76
	s_mov_b32 s77, -1
	s_or_b32 s73, s73, exec_lo
	s_and_saveexec_b32 s76, s75
	s_cbranch_execz .LBB4_228
.LBB4_232:                              ;   in Loop: Header=BB4_229 Depth=3
	s_sleep 1
	s_trap 2
	ds_load_b64 v[12:13], v0
	s_wait_dscnt 0x0
	s_and_not1_b32 s73, s73, exec_lo
	v_cmp_ge_u64_e32 vcc_lo, v[12:13], v[48:49]
	s_or_not1_b32 s77, vcc_lo, exec_lo
	s_branch .LBB4_228
.LBB4_233:                              ;   in Loop: Header=BB4_199 Depth=2
	s_or_b32 exec_lo, exec_lo, s45
	s_and_saveexec_b32 s45, s72
	s_delay_alu instid0(SALU_CYCLE_1)
	s_xor_b32 s45, exec_lo, s45
	s_cbranch_execz .LBB4_235
; %bb.234:                              ;   in Loop: Header=BB4_199 Depth=2
	ds_store_b32 v0, v89
	s_trap 2
.LBB4_235:                              ;   in Loop: Header=BB4_199 Depth=2
	s_or_b32 exec_lo, exec_lo, s44
	;;#ASMSTART
	s_wakeup
	;;#ASMEND
.LBB4_236:                              ;   in Loop: Header=BB4_199 Depth=2
	s_or_b32 exec_lo, exec_lo, s41
.LBB4_237:                              ;   in Loop: Header=BB4_199 Depth=2
	s_and_not1_saveexec_b32 s18, s18
	s_cbranch_execz .LBB4_239
; %bb.238:                              ;   in Loop: Header=BB4_199 Depth=2
	global_wb scope:SCOPE_DEV
	s_wait_storecnt 0x0
	s_wait_loadcnt_dscnt 0x0
	global_inv scope:SCOPE_DEV
	s_barrier_signal -1
	s_barrier_wait -1
.LBB4_239:                              ;   in Loop: Header=BB4_199 Depth=2
	s_or_b32 exec_lo, exec_lo, s18
.LBB4_240:                              ;   in Loop: Header=BB4_199 Depth=2
	s_delay_alu instid0(SALU_CYCLE_1) | instskip(SKIP_1) | instid1(SALU_CYCLE_1)
	s_or_b32 exec_lo, exec_lo, s13
                                        ; implicit-def: $vgpr2
	s_and_saveexec_b32 s13, s10
	s_xor_b32 s18, exec_lo, s13
	s_cbranch_execz .LBB4_244
; %bb.241:                              ;   in Loop: Header=BB4_199 Depth=2
	s_trap 2
	ds_load_b32 v2, v0
	v_cmp_lt_i32_e32 vcc_lo, 0, v8
	s_wait_dscnt 0x0
	v_readfirstlane_b32 s13, v2
	v_and_b32_e32 v2, 16, v30
	s_cmp_eq_u32 s13, 0
	s_delay_alu instid0(VALU_DEP_1) | instskip(SKIP_3) | instid1(SALU_CYCLE_1)
	v_cmp_ne_u32_e64 s13, 0, v2
	s_cselect_b32 s41, -1, 0
	v_and_b32_e32 v2, 16, v30
	s_and_b32 s41, vcc_lo, s41
	s_and_b32 s41, s13, s41
	s_delay_alu instid0(SALU_CYCLE_1)
	s_and_saveexec_b32 s13, s41
	s_cbranch_execz .LBB4_243
; %bb.242:                              ;   in Loop: Header=BB4_199 Depth=2
	v_mov_b32_e32 v2, 1
	global_wb scope:SCOPE_SYS
	s_wait_loadcnt 0x0
	s_wait_storecnt 0x0
	global_inv scope:SCOPE_SYS
.LBB4_243:                              ;   in Loop: Header=BB4_199 Depth=2
	s_or_b32 exec_lo, exec_lo, s13
	s_and_not1_saveexec_b32 s13, s18
	s_cbranch_execz .LBB4_263
	s_branch .LBB4_245
.LBB4_244:                              ;   in Loop: Header=BB4_199 Depth=2
	s_and_not1_saveexec_b32 s13, s18
	s_cbranch_execz .LBB4_263
.LBB4_245:                              ;   in Loop: Header=BB4_199 Depth=2
	s_and_saveexec_b32 s18, s3
	s_delay_alu instid0(SALU_CYCLE_1)
	s_xor_b32 s18, exec_lo, s18
	s_cbranch_execz .LBB4_260
; %bb.246:                              ;   in Loop: Header=BB4_199 Depth=2
	s_and_saveexec_b32 s41, s6
	s_cbranch_execz .LBB4_259
; %bb.247:                              ;   in Loop: Header=BB4_199 Depth=2
	s_mov_b32 s45, exec_lo
	s_mov_b32 s44, exec_lo
	v_mbcnt_lo_u32_b32 v2, s45, 0
	;;#ASMSTART
	s_waitcnt lgkmcnt(0) vmcnt(0)
	;;#ASMEND
	s_delay_alu instid0(VALU_DEP_1)
	v_cmpx_eq_u32_e32 0, v2
	s_cbranch_execz .LBB4_249
; %bb.248:                              ;   in Loop: Header=BB4_199 Depth=2
	s_bcnt1_i32_b32 s45, s45
	s_delay_alu instid0(SALU_CYCLE_1)
	v_mov_b32_e32 v2, s45
	s_wait_storecnt 0x0
	s_wait_loadcnt_dscnt 0x0
	ds_add_u64 v0, v[2:3]
	s_trap 2
.LBB4_249:                              ;   in Loop: Header=BB4_199 Depth=2
	s_or_b32 exec_lo, exec_lo, s44
	s_trap 2
	ds_load_b64 v[12:13], v0
	s_wait_dscnt 0x0
	v_add_nc_u64_e32 v[48:49], v[48:49], v[52:53]
	s_mov_b32 s44, exec_lo
	s_delay_alu instid0(VALU_DEP_1)
	v_cmpx_lt_u64_e64 v[12:13], v[48:49]
	s_cbranch_execz .LBB4_258
; %bb.250:                              ;   in Loop: Header=BB4_199 Depth=2
	s_mov_b32 s45, 0
	s_mov_b32 s74, 0
                                        ; implicit-def: $sgpr72
                                        ; implicit-def: $sgpr73
	s_branch .LBB4_252
.LBB4_251:                              ;   in Loop: Header=BB4_252 Depth=3
	s_or_b32 exec_lo, exec_lo, s76
	s_delay_alu instid0(SALU_CYCLE_1) | instskip(NEXT) | instid1(SALU_CYCLE_1)
	s_and_b32 s75, exec_lo, s77
	s_or_b32 s45, s75, s45
	s_and_not1_b32 s72, s72, exec_lo
	s_and_b32 s75, s73, exec_lo
	s_delay_alu instid0(SALU_CYCLE_1)
	s_or_b32 s72, s72, s75
	s_and_not1_b32 exec_lo, exec_lo, s45
	s_cbranch_execz .LBB4_256
.LBB4_252:                              ;   Parent Loop BB4_47 Depth=1
                                        ;     Parent Loop BB4_199 Depth=2
                                        ; =>    This Inner Loop Header: Depth=3
	s_add_co_i32 s74, s74, 1
	s_delay_alu instid0(SALU_CYCLE_1) | instskip(SKIP_1) | instid1(SALU_CYCLE_1)
	s_cmp_lg_u32 s74, 0x2710
	s_cselect_b32 s75, -1, 0
	s_and_b32 vcc_lo, exec_lo, s75
	s_cbranch_vccz .LBB4_254
; %bb.253:                              ;   in Loop: Header=BB4_252 Depth=3
	s_mov_b32 s77, -1
	s_or_b32 s73, s73, exec_lo
	s_and_saveexec_b32 s76, s75
	s_cbranch_execz .LBB4_251
	s_branch .LBB4_255
.LBB4_254:                              ;   in Loop: Header=BB4_252 Depth=3
	s_trap 2
	ds_load_b64 v[12:13], v0
	s_and_not1_b32 s75, s75, exec_lo
	s_mov_b32 s74, 0
	s_wait_storecnt 0x0
	s_wait_loadcnt_dscnt 0x0
	flat_load_b32 v2, v[12:13] scope:SCOPE_SYS
	s_wait_loadcnt_dscnt 0x0
	global_inv scope:SCOPE_SYS
	v_cmp_eq_u32_e32 vcc_lo, 0, v2
	s_and_b32 s76, vcc_lo, exec_lo
	s_delay_alu instid0(SALU_CYCLE_1)
	s_or_b32 s75, s75, s76
	s_mov_b32 s77, -1
	s_or_b32 s73, s73, exec_lo
	s_and_saveexec_b32 s76, s75
	s_cbranch_execz .LBB4_251
.LBB4_255:                              ;   in Loop: Header=BB4_252 Depth=3
	s_sleep 1
	s_trap 2
	ds_load_b64 v[12:13], v0
	s_wait_dscnt 0x0
	s_and_not1_b32 s73, s73, exec_lo
	v_cmp_ge_u64_e32 vcc_lo, v[12:13], v[48:49]
	s_or_not1_b32 s77, vcc_lo, exec_lo
	s_branch .LBB4_251
.LBB4_256:                              ;   in Loop: Header=BB4_199 Depth=2
	s_or_b32 exec_lo, exec_lo, s45
	s_and_saveexec_b32 s45, s72
	s_delay_alu instid0(SALU_CYCLE_1)
	s_xor_b32 s45, exec_lo, s45
	s_cbranch_execz .LBB4_258
; %bb.257:                              ;   in Loop: Header=BB4_199 Depth=2
	ds_store_b32 v0, v89
	s_trap 2
.LBB4_258:                              ;   in Loop: Header=BB4_199 Depth=2
	s_or_b32 exec_lo, exec_lo, s44
	;;#ASMSTART
	s_wakeup
	;;#ASMEND
.LBB4_259:                              ;   in Loop: Header=BB4_199 Depth=2
	s_or_b32 exec_lo, exec_lo, s41
.LBB4_260:                              ;   in Loop: Header=BB4_199 Depth=2
	s_and_not1_saveexec_b32 s18, s18
	s_cbranch_execz .LBB4_262
; %bb.261:                              ;   in Loop: Header=BB4_199 Depth=2
	;;#ASMSTART
	s_waitcnt lgkmcnt(0) vmcnt(0)
	;;#ASMEND
	s_barrier_signal -1
	s_barrier_wait -1
.LBB4_262:                              ;   in Loop: Header=BB4_199 Depth=2
	s_or_b32 exec_lo, exec_lo, s18
	v_and_b32_e32 v2, 16, v30
.LBB4_263:                              ;   in Loop: Header=BB4_199 Depth=2
	s_or_b32 exec_lo, exec_lo, s13
	s_delay_alu instid0(SALU_CYCLE_1) | instskip(NEXT) | instid1(VALU_DEP_1)
	s_mov_b32 s13, exec_lo
	v_cmpx_ne_u32_e32 0, v2
	s_cbranch_execz .LBB4_198
; %bb.264:                              ;   in Loop: Header=BB4_199 Depth=2
	s_and_saveexec_b32 s18, s5
	s_cbranch_execz .LBB4_197
; %bb.265:                              ;   in Loop: Header=BB4_199 Depth=2
	global_wb scope:SCOPE_SYS
	s_wait_storecnt 0x0
	s_wait_loadcnt_dscnt 0x0
	flat_store_b32 v[38:39], v89 scope:SCOPE_SYS
	s_branch .LBB4_197
.LBB4_266:                              ;   in Loop: Header=BB4_47 Depth=1
	s_or_b32 exec_lo, exec_lo, s15
.LBB4_267:                              ;   in Loop: Header=BB4_47 Depth=1
	s_delay_alu instid0(SALU_CYCLE_1) | instskip(NEXT) | instid1(SALU_CYCLE_1)
	s_or_b32 exec_lo, exec_lo, s14
	s_and_not1_b32 vcc_lo, exec_lo, s58
	s_cbranch_vccnz .LBB4_2592
; %bb.268:                              ;   in Loop: Header=BB4_47 Depth=1
	s_mov_b32 s18, 2
	s_branch .LBB4_271
.LBB4_269:                              ;   in Loop: Header=BB4_271 Depth=2
	s_or_b32 exec_lo, exec_lo, s15
.LBB4_270:                              ;   in Loop: Header=BB4_271 Depth=2
	s_delay_alu instid0(SALU_CYCLE_1) | instskip(SKIP_1) | instid1(SALU_CYCLE_1)
	s_or_b32 exec_lo, exec_lo, s14
	s_add_co_i32 s18, s18, 1
	s_cmp_eq_u32 s18, s16
	s_cbranch_scc1 .LBB4_2592
.LBB4_271:                              ;   Parent Loop BB4_47 Depth=1
                                        ; =>  This Loop Header: Depth=2
                                        ;       Child Loop BB4_274 Depth 3
                                        ;         Child Loop BB4_282 Depth 4
                                        ;         Child Loop BB4_310 Depth 4
	;; [unrolled: 1-line block ×9, first 2 shown]
                                        ;       Child Loop BB4_2520 Depth 3
                                        ;         Child Loop BB4_2526 Depth 4
                                        ;         Child Loop BB4_2554 Depth 4
	;; [unrolled: 1-line block ×3, first 2 shown]
	s_sub_co_i32 s13, s56, s18
	s_mov_b32 s44, 0
	s_cmp_ge_i32 s13, s16
	v_mov_b32_e32 v42, 0
	s_cselect_b32 s14, s16, 0
	s_delay_alu instid0(SALU_CYCLE_1) | instskip(NEXT) | instid1(SALU_CYCLE_1)
	s_sub_co_i32 s14, s13, s14
	s_ashr_i32 s15, s14, 31
	s_delay_alu instid0(SALU_CYCLE_1) | instskip(NEXT) | instid1(VALU_DEP_1)
	v_mul_u64_e32 v[44:45], s[14:15], v[112:113]
	v_sub_nc_u64_e32 v[8:9], v[116:117], v[44:45]
	s_delay_alu instid0(VALU_DEP_1) | instskip(NEXT) | instid1(VALU_DEP_1)
	v_min_i64 v[8:9], v[112:113], v[8:9]
	v_max_i32_e32 v76, 0, v8
	v_cmp_lt_i32_e32 vcc_lo, 0, v8
	s_delay_alu instid0(VALU_DEP_2) | instskip(SKIP_1) | instid1(VALU_DEP_1)
	v_add_nc_u32_e32 v2, 31, v76
	s_and_b32 s13, s61, vcc_lo
	v_lshrrev_b32_e32 v2, 1, v2
	s_delay_alu instid0(VALU_DEP_1) | instskip(NEXT) | instid1(VALU_DEP_1)
	v_and_b32_e32 v9, 0x3ffffff0, v2
	v_dual_mov_b32 v2, 0 :: v_dual_max_i32 v40, s57, v9
	s_and_saveexec_b32 s41, s13
	s_cbranch_execz .LBB4_2517
; %bb.272:                              ;   in Loop: Header=BB4_271 Depth=2
	v_mov_b32_e32 v42, 0
	s_mov_b32 s72, 1
	s_mov_b32 s45, -1
	s_branch .LBB4_274
.LBB4_273:                              ;   in Loop: Header=BB4_274 Depth=3
	s_wait_xcnt 0x0
	s_or_b32 exec_lo, exec_lo, s13
	v_dual_add_nc_u32 v42, v40, v42 :: v_dual_mov_b32 v2, s72
	s_xor_b32 s13, s45, -1
	s_mov_b32 s45, 0
	s_mov_b32 s72, 2
	s_delay_alu instid0(VALU_DEP_1) | instskip(SKIP_1) | instid1(SALU_CYCLE_1)
	v_cmp_ge_i32_e32 vcc_lo, v42, v76
	s_or_b32 s13, s13, vcc_lo
	s_and_b32 s13, exec_lo, s13
	s_delay_alu instid0(SALU_CYCLE_1) | instskip(NEXT) | instid1(SALU_CYCLE_1)
	s_or_b32 s44, s13, s44
	s_and_not1_b32 exec_lo, exec_lo, s44
	s_cbranch_execz .LBB4_2516
.LBB4_274:                              ;   Parent Loop BB4_47 Depth=1
                                        ;     Parent Loop BB4_271 Depth=2
                                        ; =>    This Loop Header: Depth=3
                                        ;         Child Loop BB4_282 Depth 4
                                        ;         Child Loop BB4_310 Depth 4
	;; [unrolled: 1-line block ×9, first 2 shown]
	s_and_saveexec_b32 s13, s0
	s_cbranch_execz .LBB4_276
; %bb.275:                              ;   in Loop: Header=BB4_274 Depth=3
	s_trap 2
	ds_load_b64 v[8:9], v0
	v_ashrrev_i32_e32 v43, 31, v42
	s_wait_dscnt 0x0
	v_add_nc_u64_e32 v[8:9], v[8:9], v[118:119]
	s_delay_alu instid0(VALU_DEP_1) | instskip(NEXT) | instid1(VALU_DEP_1)
	v_add_nc_u64_e32 v[8:9], v[8:9], v[44:45]
	v_add_nc_u64_e32 v[8:9], v[8:9], v[42:43]
	ds_store_b64 v0, v[8:9]
	ds_store_b64 v0, v[64:65]
.LBB4_276:                              ;   in Loop: Header=BB4_274 Depth=3
	s_or_b32 exec_lo, exec_lo, s13
	v_sub_nc_u32_e32 v2, v76, v42
	v_and_b32_e32 v8, 12, v30
	s_mov_b32 s14, exec_lo
	s_delay_alu instid0(VALU_DEP_2) | instskip(NEXT) | instid1(VALU_DEP_2)
	v_min_i32_e32 v40, v40, v2
	v_cmpx_ne_u32_e32 0, v8
	s_cbranch_execz .LBB4_302
; %bb.277:                              ;   in Loop: Header=BB4_274 Depth=3
	v_and_b32_e32 v2, 8, v30
	v_add_nc_u64_e32 v[8:9], 2, v[114:115]
	s_mov_b32 s15, exec_lo
	s_wait_loadcnt_dscnt 0x1
	s_delay_alu instid0(VALU_DEP_2) | instskip(NEXT) | instid1(VALU_DEP_1)
	v_add_nc_u64_e32 v[10:11], v[50:51], v[2:3]
	v_cmpx_lt_u64_e64 v[10:11], v[8:9]
	s_cbranch_execz .LBB4_289
; %bb.278:                              ;   in Loop: Header=BB4_274 Depth=3
	v_and_b32_e32 v10, 64, v30
	s_mov_b32 s73, 0
	s_mov_b32 s77, 0
                                        ; implicit-def: $sgpr74
                                        ; implicit-def: $sgpr75
                                        ; implicit-def: $sgpr76
	s_delay_alu instid0(VALU_DEP_1)
	v_cmp_eq_u32_e32 vcc_lo, 0, v10
	s_branch .LBB4_282
.LBB4_279:                              ;   in Loop: Header=BB4_282 Depth=4
	s_wait_loadcnt_dscnt 0x0
	v_add_nc_u64_e32 v[12:13], v[50:51], v[2:3]
	s_or_b32 s88, s88, exec_lo
	s_delay_alu instid0(VALU_DEP_1)
	v_cmp_ge_u64_e64 s13, v[12:13], v[8:9]
	s_or_not1_b32 s79, s13, exec_lo
.LBB4_280:                              ;   in Loop: Header=BB4_282 Depth=4
	s_or_b32 exec_lo, exec_lo, s90
	s_delay_alu instid0(SALU_CYCLE_1)
	s_and_not1_b32 s13, s76, exec_lo
	s_and_b32 s76, s88, exec_lo
	s_and_not1_b32 s75, s75, exec_lo
	s_and_b32 s79, s79, exec_lo
	s_or_b32 s76, s13, s76
	s_or_b32 s75, s75, s79
.LBB4_281:                              ;   in Loop: Header=BB4_282 Depth=4
	s_or_b32 exec_lo, exec_lo, s78
	s_delay_alu instid0(SALU_CYCLE_1) | instskip(NEXT) | instid1(SALU_CYCLE_1)
	s_and_b32 s13, exec_lo, s75
	s_or_b32 s73, s13, s73
	s_and_not1_b32 s13, s74, exec_lo
	s_and_b32 s74, s76, exec_lo
	s_delay_alu instid0(SALU_CYCLE_1)
	s_or_b32 s74, s13, s74
	s_and_not1_b32 exec_lo, exec_lo, s73
	s_cbranch_execz .LBB4_286
.LBB4_282:                              ;   Parent Loop BB4_47 Depth=1
                                        ;     Parent Loop BB4_271 Depth=2
                                        ;       Parent Loop BB4_274 Depth=3
                                        ; =>      This Inner Loop Header: Depth=4
	s_sleep 1
	s_wait_loadcnt_dscnt 0x0
	flat_load_b64 v[50:51], v[32:33] scope:SCOPE_SYS
	s_or_b32 s76, s76, exec_lo
	s_or_b32 s75, s75, exec_lo
                                        ; implicit-def: $vgpr10
	s_wait_xcnt 0x0
	s_and_saveexec_b32 s78, vcc_lo
	s_cbranch_execz .LBB4_281
; %bb.283:                              ;   in Loop: Header=BB4_282 Depth=4
	s_cmp_lt_i32 s77, 0x270f
	s_mov_b32 s79, -1
	s_cselect_b32 s89, -1, 0
	s_cmp_gt_i32 s77, 0x270e
	s_cbranch_scc0 .LBB4_285
; %bb.284:                              ;   in Loop: Header=BB4_282 Depth=4
	s_trap 2
	ds_load_b64 v[10:11], v0
	s_and_not1_b32 s77, s89, exec_lo
	s_mov_b32 s88, 0
	s_wait_storecnt 0x0
	s_wait_loadcnt_dscnt 0x0
	flat_load_b32 v10, v[10:11] scope:SCOPE_SYS
	s_wait_loadcnt_dscnt 0x0
	global_inv scope:SCOPE_SYS
	v_cmp_eq_u32_e64 s13, 0, v10
	s_and_b32 s13, s13, exec_lo
	s_delay_alu instid0(SALU_CYCLE_1)
	s_or_b32 s89, s77, s13
	s_mov_b32 s77, 0
	s_and_saveexec_b32 s90, s89
	s_cbranch_execz .LBB4_280
	s_branch .LBB4_279
.LBB4_285:                              ;   in Loop: Header=BB4_282 Depth=4
	s_add_co_i32 s77, s77, 1
	s_mov_b32 s88, -1
                                        ; implicit-def: $vgpr10
	s_and_saveexec_b32 s90, s89
	s_cbranch_execz .LBB4_280
	s_branch .LBB4_279
.LBB4_286:                              ;   in Loop: Header=BB4_274 Depth=3
	s_or_b32 exec_lo, exec_lo, s73
	s_xor_b32 s13, s74, -1
	s_delay_alu instid0(SALU_CYCLE_1) | instskip(NEXT) | instid1(SALU_CYCLE_1)
	s_and_saveexec_b32 s73, s13
	s_xor_b32 s13, exec_lo, s73
	s_cbranch_execz .LBB4_288
; %bb.287:                              ;   in Loop: Header=BB4_274 Depth=3
	v_or_b32_e32 v30, 64, v30
	s_wait_storecnt 0x0
	s_wait_loadcnt_dscnt 0x0
	ds_store_b32 v0, v10
	s_trap 2
.LBB4_288:                              ;   in Loop: Header=BB4_274 Depth=3
	s_or_b32 exec_lo, exec_lo, s13
.LBB4_289:                              ;   in Loop: Header=BB4_274 Depth=3
	s_delay_alu instid0(SALU_CYCLE_1) | instskip(SKIP_2) | instid1(VALU_DEP_1)
	s_or_b32 exec_lo, exec_lo, s15
	v_and_b32_e32 v10, 0x108, v30
	;;#ASMSTART
	s_wakeup
	;;#ASMEND
	v_cmp_ne_u32_e32 vcc_lo, 0x108, v10
                                        ; implicit-def: $vgpr10_vgpr11
	s_and_saveexec_b32 s13, vcc_lo
	s_delay_alu instid0(SALU_CYCLE_1)
	s_xor_b32 s13, exec_lo, s13
; %bb.290:                              ;   in Loop: Header=BB4_274 Depth=3
	v_dual_mov_b32 v11, v3 :: v_dual_bitop2_b32 v10, 7, v114 bitop3:0x40
                                        ; implicit-def: $vgpr114_vgpr115
; %bb.291:                              ;   in Loop: Header=BB4_274 Depth=3
	s_and_not1_saveexec_b32 s13, s13
	s_cbranch_execz .LBB4_293
; %bb.292:                              ;   in Loop: Header=BB4_274 Depth=3
	v_dual_ashrrev_i32 v41, 31, v40 :: v_dual_bitop2_b32 v10, 7, v114 bitop3:0x40
	v_mov_b32_e32 v11, v3
	s_delay_alu instid0(VALU_DEP_2)
	v_mad_nc_u64_u32 v[12:13], v10, 24, v[6:7]
	flat_store_b64 v[12:13], v[40:41] offset:8
.LBB4_293:                              ;   in Loop: Header=BB4_274 Depth=3
	s_wait_xcnt 0x0
	s_or_b32 exec_lo, exec_lo, s13
	v_and_b32_e32 v12, 0x100, v30
	s_mov_b32 s13, -1
	s_delay_alu instid0(VALU_DEP_1)
	v_cmp_ne_u32_e32 vcc_lo, 0, v12
                                        ; implicit-def: $vgpr12_vgpr13
	s_and_saveexec_b32 s15, vcc_lo
	s_cbranch_execz .LBB4_297
; %bb.294:                              ;   in Loop: Header=BB4_274 Depth=3
	v_mad_nc_u64_u32 v[14:15], v10, 24, v[6:7]
	s_delay_alu instid0(VALU_DEP_1)
	v_mad_u32 v15, v11, 24, v15
	flat_load_b32 v12, v[14:15]
	s_wait_loadcnt_dscnt 0x0
	v_cmp_eq_u32_e64 s13, 1, v12
	v_cmp_ne_u32_e32 vcc_lo, 1, v12
                                        ; implicit-def: $vgpr12_vgpr13
	s_wait_xcnt 0x0
	s_and_saveexec_b32 s73, s13
	s_cbranch_execz .LBB4_296
; %bb.295:                              ;   in Loop: Header=BB4_274 Depth=3
	flat_load_b32 v12, v[14:15] offset:4 scope:SCOPE_SYS
	s_wait_loadcnt_dscnt 0x0
	v_ashrrev_i32_e32 v13, 31, v12
.LBB4_296:                              ;   in Loop: Header=BB4_274 Depth=3
	s_wait_xcnt 0x0
	s_or_b32 exec_lo, exec_lo, s73
	s_delay_alu instid0(SALU_CYCLE_1)
	s_or_not1_b32 s13, vcc_lo, exec_lo
.LBB4_297:                              ;   in Loop: Header=BB4_274 Depth=3
	s_or_b32 exec_lo, exec_lo, s15
	s_and_saveexec_b32 s15, s13
; %bb.298:                              ;   in Loop: Header=BB4_274 Depth=3
	v_mul_u64_e32 v[12:13], v[10:11], v[34:35]
; %bb.299:                              ;   in Loop: Header=BB4_274 Depth=3
	s_or_b32 exec_lo, exec_lo, s15
	v_cmp_eq_u32_e32 vcc_lo, 0, v2
	s_delay_alu instid0(VALU_DEP_2) | instskip(SKIP_3) | instid1(VALU_DEP_1)
	v_add_nc_u64_e32 v[10:11], v[36:37], v[12:13]
	v_and_b32_e32 v14, 0x2000, v30
	s_mov_b32 s13, exec_lo
	v_cndmask_b32_e32 v2, 0xc8, v90, vcc_lo
	v_add_nc_u32_e32 v2, v0, v2
	ds_store_b64 v2, v[10:11] offset:584
	v_cmpx_ne_u32_e32 0, v14
	s_cbranch_execz .LBB4_301
; %bb.300:                              ;   in Loop: Header=BB4_274 Depth=3
	ds_load_b64 v[10:11], v0 offset:872
	s_wait_dscnt 0x0
	v_add_nc_u64_e32 v[10:11], 1, v[10:11]
	ds_store_b64 v0, v[10:11] offset:872
.LBB4_301:                              ;   in Loop: Header=BB4_274 Depth=3
	s_or_b32 exec_lo, exec_lo, s13
	v_mov_b64_e32 v[114:115], v[8:9]
.LBB4_302:                              ;   in Loop: Header=BB4_274 Depth=3
	s_or_b32 exec_lo, exec_lo, s14
	s_and_saveexec_b32 s13, s2
	s_cbranch_execz .LBB4_321
; %bb.303:                              ;   in Loop: Header=BB4_274 Depth=3
	s_and_saveexec_b32 s14, s3
	s_delay_alu instid0(SALU_CYCLE_1)
	s_xor_b32 s14, exec_lo, s14
	s_cbranch_execz .LBB4_318
; %bb.304:                              ;   in Loop: Header=BB4_274 Depth=3
	s_and_saveexec_b32 s15, s6
	s_cbranch_execz .LBB4_317
; %bb.305:                              ;   in Loop: Header=BB4_274 Depth=3
	s_mov_b32 s74, exec_lo
	s_mov_b32 s73, exec_lo
	v_mbcnt_lo_u32_b32 v2, s74, 0
	global_wb scope:SCOPE_DEV
	s_wait_storecnt 0x0
	s_wait_loadcnt_dscnt 0x0
	global_inv scope:SCOPE_DEV
	v_cmpx_eq_u32_e32 0, v2
	s_cbranch_execz .LBB4_307
; %bb.306:                              ;   in Loop: Header=BB4_274 Depth=3
	s_bcnt1_i32_b32 s74, s74
	s_delay_alu instid0(SALU_CYCLE_1)
	v_mov_b32_e32 v2, s74
	s_wait_loadcnt 0x0
	ds_add_u64 v0, v[2:3]
	s_trap 2
.LBB4_307:                              ;   in Loop: Header=BB4_274 Depth=3
	s_or_b32 exec_lo, exec_lo, s73
	s_trap 2
	ds_load_b64 v[8:9], v0
	s_wait_dscnt 0x0
	v_add_nc_u64_e32 v[48:49], v[48:49], v[52:53]
	s_mov_b32 s73, exec_lo
	s_delay_alu instid0(VALU_DEP_1)
	v_cmpx_lt_u64_e64 v[8:9], v[48:49]
	s_cbranch_execz .LBB4_316
; %bb.308:                              ;   in Loop: Header=BB4_274 Depth=3
	s_mov_b32 s74, 0
	s_mov_b32 s77, 0
                                        ; implicit-def: $sgpr75
                                        ; implicit-def: $sgpr76
	s_branch .LBB4_310
.LBB4_309:                              ;   in Loop: Header=BB4_310 Depth=4
	s_or_b32 exec_lo, exec_lo, s79
	s_delay_alu instid0(SALU_CYCLE_1) | instskip(NEXT) | instid1(SALU_CYCLE_1)
	s_and_b32 s78, exec_lo, s88
	s_or_b32 s74, s78, s74
	s_and_not1_b32 s75, s75, exec_lo
	s_and_b32 s78, s76, exec_lo
	s_delay_alu instid0(SALU_CYCLE_1)
	s_or_b32 s75, s75, s78
	s_and_not1_b32 exec_lo, exec_lo, s74
	s_cbranch_execz .LBB4_314
.LBB4_310:                              ;   Parent Loop BB4_47 Depth=1
                                        ;     Parent Loop BB4_271 Depth=2
                                        ;       Parent Loop BB4_274 Depth=3
                                        ; =>      This Inner Loop Header: Depth=4
	s_add_co_i32 s77, s77, 1
	s_delay_alu instid0(SALU_CYCLE_1) | instskip(SKIP_1) | instid1(SALU_CYCLE_1)
	s_cmp_lg_u32 s77, 0x2710
	s_cselect_b32 s78, -1, 0
	s_and_b32 vcc_lo, exec_lo, s78
	s_cbranch_vccz .LBB4_312
; %bb.311:                              ;   in Loop: Header=BB4_310 Depth=4
	s_mov_b32 s88, -1
	s_or_b32 s76, s76, exec_lo
	s_and_saveexec_b32 s79, s78
	s_cbranch_execz .LBB4_309
	s_branch .LBB4_313
.LBB4_312:                              ;   in Loop: Header=BB4_310 Depth=4
	s_trap 2
	ds_load_b64 v[8:9], v0
	s_and_not1_b32 s78, s78, exec_lo
	s_mov_b32 s77, 0
	s_wait_loadcnt_dscnt 0x0
	flat_load_b32 v2, v[8:9] scope:SCOPE_SYS
	s_wait_loadcnt_dscnt 0x0
	global_inv scope:SCOPE_SYS
	v_cmp_eq_u32_e32 vcc_lo, 0, v2
	s_and_b32 s79, vcc_lo, exec_lo
	s_delay_alu instid0(SALU_CYCLE_1)
	s_or_b32 s78, s78, s79
	s_mov_b32 s88, -1
	s_or_b32 s76, s76, exec_lo
	s_and_saveexec_b32 s79, s78
	s_cbranch_execz .LBB4_309
.LBB4_313:                              ;   in Loop: Header=BB4_310 Depth=4
	s_sleep 1
	s_trap 2
	ds_load_b64 v[8:9], v0
	s_wait_dscnt 0x0
	s_and_not1_b32 s76, s76, exec_lo
	v_cmp_ge_u64_e32 vcc_lo, v[8:9], v[48:49]
	s_or_not1_b32 s88, vcc_lo, exec_lo
	s_branch .LBB4_309
.LBB4_314:                              ;   in Loop: Header=BB4_274 Depth=3
	s_or_b32 exec_lo, exec_lo, s74
	s_and_saveexec_b32 s74, s75
	s_delay_alu instid0(SALU_CYCLE_1)
	s_xor_b32 s74, exec_lo, s74
	s_cbranch_execz .LBB4_316
; %bb.315:                              ;   in Loop: Header=BB4_274 Depth=3
	ds_store_b32 v0, v89
	s_trap 2
.LBB4_316:                              ;   in Loop: Header=BB4_274 Depth=3
	s_or_b32 exec_lo, exec_lo, s73
	;;#ASMSTART
	s_wakeup
	;;#ASMEND
.LBB4_317:                              ;   in Loop: Header=BB4_274 Depth=3
	s_or_b32 exec_lo, exec_lo, s15
.LBB4_318:                              ;   in Loop: Header=BB4_274 Depth=3
	s_and_not1_saveexec_b32 s14, s14
	s_cbranch_execz .LBB4_320
; %bb.319:                              ;   in Loop: Header=BB4_274 Depth=3
	global_wb scope:SCOPE_DEV
	s_wait_storecnt 0x0
	s_wait_loadcnt_dscnt 0x0
	global_inv scope:SCOPE_DEV
	s_barrier_signal -1
	s_barrier_wait -1
.LBB4_320:                              ;   in Loop: Header=BB4_274 Depth=3
	s_or_b32 exec_lo, exec_lo, s14
.LBB4_321:                              ;   in Loop: Header=BB4_274 Depth=3
	s_delay_alu instid0(SALU_CYCLE_1) | instskip(SKIP_4) | instid1(VALU_DEP_1)
	s_or_b32 exec_lo, exec_lo, s13
	s_trap 2
	ds_load_b32 v8, v0
	v_and_b32_e32 v2, 0x4000, v30
	s_xor_b32 s13, s1, -1
	v_cmp_ne_u32_e32 vcc_lo, 0, v2
	s_and_b32 s14, s13, vcc_lo
	s_delay_alu instid0(SALU_CYCLE_1)
	s_and_saveexec_b32 s13, s14
	s_cbranch_execz .LBB4_340
; %bb.322:                              ;   in Loop: Header=BB4_274 Depth=3
	s_and_saveexec_b32 s14, s3
	s_delay_alu instid0(SALU_CYCLE_1)
	s_xor_b32 s14, exec_lo, s14
	s_cbranch_execz .LBB4_337
; %bb.323:                              ;   in Loop: Header=BB4_274 Depth=3
	s_and_saveexec_b32 s15, s6
	s_cbranch_execz .LBB4_336
; %bb.324:                              ;   in Loop: Header=BB4_274 Depth=3
	s_mov_b32 s74, exec_lo
	s_mov_b32 s73, exec_lo
	v_mbcnt_lo_u32_b32 v2, s74, 0
	global_wb scope:SCOPE_DEV
	s_wait_storecnt 0x0
	s_wait_loadcnt_dscnt 0x0
	global_inv scope:SCOPE_DEV
	v_cmpx_eq_u32_e32 0, v2
	s_cbranch_execz .LBB4_326
; %bb.325:                              ;   in Loop: Header=BB4_274 Depth=3
	s_bcnt1_i32_b32 s74, s74
	s_delay_alu instid0(SALU_CYCLE_1)
	v_mov_b32_e32 v2, s74
	s_wait_loadcnt 0x0
	ds_add_u64 v0, v[2:3]
	s_trap 2
.LBB4_326:                              ;   in Loop: Header=BB4_274 Depth=3
	s_or_b32 exec_lo, exec_lo, s73
	s_trap 2
	ds_load_b64 v[10:11], v0
	s_wait_dscnt 0x0
	v_add_nc_u64_e32 v[48:49], v[48:49], v[52:53]
	s_mov_b32 s73, exec_lo
	s_delay_alu instid0(VALU_DEP_1)
	v_cmpx_lt_u64_e64 v[10:11], v[48:49]
	s_cbranch_execz .LBB4_335
; %bb.327:                              ;   in Loop: Header=BB4_274 Depth=3
	s_mov_b32 s74, 0
	s_mov_b32 s77, 0
                                        ; implicit-def: $sgpr75
                                        ; implicit-def: $sgpr76
	s_branch .LBB4_329
.LBB4_328:                              ;   in Loop: Header=BB4_329 Depth=4
	s_or_b32 exec_lo, exec_lo, s79
	s_delay_alu instid0(SALU_CYCLE_1) | instskip(NEXT) | instid1(SALU_CYCLE_1)
	s_and_b32 s78, exec_lo, s88
	s_or_b32 s74, s78, s74
	s_and_not1_b32 s75, s75, exec_lo
	s_and_b32 s78, s76, exec_lo
	s_delay_alu instid0(SALU_CYCLE_1)
	s_or_b32 s75, s75, s78
	s_and_not1_b32 exec_lo, exec_lo, s74
	s_cbranch_execz .LBB4_333
.LBB4_329:                              ;   Parent Loop BB4_47 Depth=1
                                        ;     Parent Loop BB4_271 Depth=2
                                        ;       Parent Loop BB4_274 Depth=3
                                        ; =>      This Inner Loop Header: Depth=4
	s_add_co_i32 s77, s77, 1
	s_delay_alu instid0(SALU_CYCLE_1) | instskip(SKIP_1) | instid1(SALU_CYCLE_1)
	s_cmp_lg_u32 s77, 0x2710
	s_cselect_b32 s78, -1, 0
	s_and_b32 vcc_lo, exec_lo, s78
	s_cbranch_vccz .LBB4_331
; %bb.330:                              ;   in Loop: Header=BB4_329 Depth=4
	s_mov_b32 s88, -1
	s_or_b32 s76, s76, exec_lo
	s_and_saveexec_b32 s79, s78
	s_cbranch_execz .LBB4_328
	s_branch .LBB4_332
.LBB4_331:                              ;   in Loop: Header=BB4_329 Depth=4
	s_trap 2
	ds_load_b64 v[10:11], v0
	s_and_not1_b32 s78, s78, exec_lo
	s_mov_b32 s77, 0
	s_wait_loadcnt_dscnt 0x0
	flat_load_b32 v2, v[10:11] scope:SCOPE_SYS
	s_wait_loadcnt_dscnt 0x0
	global_inv scope:SCOPE_SYS
	v_cmp_eq_u32_e32 vcc_lo, 0, v2
	s_and_b32 s79, vcc_lo, exec_lo
	s_delay_alu instid0(SALU_CYCLE_1)
	s_or_b32 s78, s78, s79
	s_mov_b32 s88, -1
	s_or_b32 s76, s76, exec_lo
	s_and_saveexec_b32 s79, s78
	s_cbranch_execz .LBB4_328
.LBB4_332:                              ;   in Loop: Header=BB4_329 Depth=4
	s_sleep 1
	s_trap 2
	ds_load_b64 v[10:11], v0
	s_wait_dscnt 0x0
	s_and_not1_b32 s76, s76, exec_lo
	v_cmp_ge_u64_e32 vcc_lo, v[10:11], v[48:49]
	s_or_not1_b32 s88, vcc_lo, exec_lo
	s_branch .LBB4_328
.LBB4_333:                              ;   in Loop: Header=BB4_274 Depth=3
	s_or_b32 exec_lo, exec_lo, s74
	s_and_saveexec_b32 s74, s75
	s_delay_alu instid0(SALU_CYCLE_1)
	s_xor_b32 s74, exec_lo, s74
	s_cbranch_execz .LBB4_335
; %bb.334:                              ;   in Loop: Header=BB4_274 Depth=3
	ds_store_b32 v0, v89
	s_trap 2
.LBB4_335:                              ;   in Loop: Header=BB4_274 Depth=3
	s_or_b32 exec_lo, exec_lo, s73
	;;#ASMSTART
	s_wakeup
	;;#ASMEND
.LBB4_336:                              ;   in Loop: Header=BB4_274 Depth=3
	s_or_b32 exec_lo, exec_lo, s15
.LBB4_337:                              ;   in Loop: Header=BB4_274 Depth=3
	s_and_not1_saveexec_b32 s14, s14
	s_cbranch_execz .LBB4_339
; %bb.338:                              ;   in Loop: Header=BB4_274 Depth=3
	global_wb scope:SCOPE_DEV
	s_wait_storecnt 0x0
	s_wait_loadcnt_dscnt 0x0
	global_inv scope:SCOPE_DEV
	s_barrier_signal -1
	s_barrier_wait -1
.LBB4_339:                              ;   in Loop: Header=BB4_274 Depth=3
	s_or_b32 exec_lo, exec_lo, s14
.LBB4_340:                              ;   in Loop: Header=BB4_274 Depth=3
	s_delay_alu instid0(SALU_CYCLE_1)
	s_or_b32 exec_lo, exec_lo, s13
	s_trap 2
	ds_load_b64 v[46:47], v0
	s_wait_dscnt 0x0
	v_cmp_eq_u64_e32 vcc_lo, 0, v[46:47]
	s_cbranch_vccnz .LBB4_348
; %bb.341:                              ;   in Loop: Header=BB4_274 Depth=3
	s_trap 2
	ds_load_b64 v[56:57], v0
	s_wait_dscnt 0x0
	v_cmp_eq_u64_e32 vcc_lo, 0, v[56:57]
	s_cbranch_vccnz .LBB4_348
; %bb.342:                              ;   in Loop: Header=BB4_274 Depth=3
	s_mov_b32 s13, -1
	s_and_saveexec_b32 s14, s12
	s_cbranch_execz .LBB4_344
; %bb.343:                              ;   in Loop: Header=BB4_274 Depth=3
	ds_load_b32 v2, v0 offset:720
	s_wait_dscnt 0x0
	v_and_b32_e32 v2, 15, v2
	s_delay_alu instid0(VALU_DEP_1)
	v_cmp_eq_u32_e32 vcc_lo, 0, v2
	s_or_not1_b32 s13, vcc_lo, exec_lo
.LBB4_344:                              ;   in Loop: Header=BB4_274 Depth=3
	s_or_b32 exec_lo, exec_lo, s14
	s_and_saveexec_b32 s14, s11
	s_cbranch_execz .LBB4_346
; %bb.345:                              ;   in Loop: Header=BB4_274 Depth=3
	ds_load_b32 v2, v0 offset:784
	s_wait_dscnt 0x0
	v_and_b32_e32 v2, 15, v2
	s_delay_alu instid0(VALU_DEP_1) | instskip(SKIP_3) | instid1(SALU_CYCLE_1)
	v_cmp_eq_u32_e32 vcc_lo, 0, v2
	s_and_b32 s15, s13, vcc_lo
	s_and_not1_b32 s13, s13, exec_lo
	s_and_b32 s15, s15, exec_lo
	s_or_b32 s13, s13, s15
.LBB4_346:                              ;   in Loop: Header=BB4_274 Depth=3
	s_or_b32 exec_lo, exec_lo, s14
	v_cmp_eq_u32_e32 vcc_lo, 0, v8
	s_xor_b32 s13, s13, -1
	v_mov_b32_e32 v18, 0
	v_cndmask_b32_e64 v2, 0, 1, s13
	s_mov_b32 s13, -1
	v_dual_cndmask_b32 v41, 0, v40 :: v_dual_mov_b32 v20, v0
	s_delay_alu instid0(VALU_DEP_2) | instskip(NEXT) | instid1(VALU_DEP_2)
	v_cmp_ne_u32_e32 vcc_lo, 0, v2
	v_dual_mov_b32 v2, v93 :: v_dual_mov_b32 v19, v41
	s_cbranch_vccz .LBB4_353
; %bb.347:                              ;   in Loop: Header=BB4_274 Depth=3
	s_and_saveexec_b32 s14, s13
	s_cbranch_execnz .LBB4_1854
	s_branch .LBB4_2474
.LBB4_348:                              ;   in Loop: Header=BB4_274 Depth=3
	s_mov_b32 s13, 0
	s_and_saveexec_b32 s14, s2
	s_cbranch_execnz .LBB4_2475
.LBB4_349:                              ;   in Loop: Header=BB4_274 Depth=3
	s_or_b32 exec_lo, exec_lo, s14
                                        ; implicit-def: $vgpr2
	s_and_saveexec_b32 s14, s10
	s_delay_alu instid0(SALU_CYCLE_1)
	s_xor_b32 s14, exec_lo, s14
	s_cbranch_execz .LBB4_2493
.LBB4_350:                              ;   in Loop: Header=BB4_274 Depth=3
	v_and_b32_e32 v2, 16, v30
	s_delay_alu instid0(VALU_DEP_1) | instskip(SKIP_2) | instid1(SALU_CYCLE_1)
	v_cmp_ne_u32_e32 vcc_lo, 0, v2
	v_and_b32_e32 v2, 16, v30
	s_and_b32 s15, vcc_lo, s13
	s_and_saveexec_b32 s13, s15
	s_cbranch_execz .LBB4_352
; %bb.351:                              ;   in Loop: Header=BB4_274 Depth=3
	v_mov_b32_e32 v2, 1
	global_wb scope:SCOPE_SYS
	s_wait_storecnt 0x0
	s_wait_loadcnt_dscnt 0x0
	global_inv scope:SCOPE_SYS
.LBB4_352:                              ;   in Loop: Header=BB4_274 Depth=3
	s_or_b32 exec_lo, exec_lo, s13
	s_and_not1_saveexec_b32 s13, s14
	s_cbranch_execz .LBB4_2512
	s_branch .LBB4_2494
.LBB4_353:                              ;   in Loop: Header=BB4_274 Depth=3
	v_ashrrev_i32_e32 v2, 31, v41
	s_mov_b32 s14, exec_lo
	s_delay_alu instid0(VALU_DEP_1) | instskip(NEXT) | instid1(VALU_DEP_1)
	v_lshrrev_b32_e32 v2, 22, v2
	v_add_nc_u32_e32 v2, v41, v2
	s_delay_alu instid0(VALU_DEP_1) | instskip(NEXT) | instid1(VALU_DEP_1)
	v_ashrrev_i32_e32 v77, 10, v2
	v_sub_nc_u32_e32 v43, v77, v93
	s_delay_alu instid0(VALU_DEP_1)
	v_cmpx_lt_i32_e32 0, v43
	s_cbranch_execz .LBB4_1349
; %bb.354:                              ;   in Loop: Header=BB4_274 Depth=3
	s_trap 2
	ds_load_b64 v[8:9], v0
	v_add_nc_u64_e32 v[58:59], v[46:47], v[102:103]
	v_add_nc_u64_e32 v[62:63], v[56:57], v[102:103]
	s_mov_b32 s15, 0
	s_wait_dscnt 0x0
	v_add_nc_u64_e32 v[60:61], v[8:9], v[102:103]
	s_branch .LBB4_356
.LBB4_355:                              ;   in Loop: Header=BB4_356 Depth=4
	s_or_b32 exec_lo, exec_lo, s13
	v_lshl_or_b32 v8, v106, 8, v105
	v_dual_lshlrev_b32 v9, 16, v72 :: v_dual_lshlrev_b32 v10, 24, v73
	v_lshl_or_b32 v11, v79, 8, v78
	v_dual_lshlrev_b32 v13, 16, v95 :: v_dual_lshlrev_b32 v14, 24, v104
	;; [unrolled: 2-line block ×3, first 2 shown]
	v_or3_b32 v9, v8, v9, v10
	s_delay_alu instid0(VALU_DEP_4)
	v_or3_b32 v8, v11, v13, v14
	v_dual_lshlrev_b32 v11, 24, v21 :: v_dual_lshlrev_b32 v13, 16, v20
	v_lshl_or_b32 v14, v110, 8, v109
	v_or3_b32 v10, v15, v24, v25
	v_lshl_or_b32 v15, v122, 8, v121
	v_dual_lshlrev_b32 v16, 16, v16 :: v_dual_lshlrev_b32 v17, 24, v17
	v_lshl_or_b32 v20, v23, 8, v22
	v_dual_lshlrev_b32 v21, 16, v111 :: v_dual_lshlrev_b32 v22, 24, v120
	;; [unrolled: 2-line block ×3, first 2 shown]
	v_dual_lshlrev_b32 v2, 24, v2 :: v_dual_lshlrev_b32 v24, 16, v12
	v_lshl_or_b32 v25, v28, 8, v88
	v_or3_b32 v11, v14, v13, v11
	v_sub_nc_u32_e32 v43, v43, v52
	v_or3_b32 v13, v15, v16, v17
	v_or3_b32 v12, v20, v21, v22
	;; [unrolled: 1-line block ×4, first 2 shown]
	s_clause 0x1
	global_store_b128 v[62:63], v[8:11], off th:TH_STORE_NT
	global_store_b128 v[62:63], v[12:15], off offset:512 th:TH_STORE_NT
	v_add_nc_u64_e32 v[58:59], v[58:59], v[82:83]
	v_add_nc_u64_e32 v[60:61], v[60:61], v[82:83]
	v_cmp_gt_i32_e32 vcc_lo, 1, v43
	s_wait_xcnt 0x0
	v_add_nc_u64_e32 v[62:63], v[62:63], v[82:83]
	s_or_b32 s15, vcc_lo, s15
	s_delay_alu instid0(SALU_CYCLE_1)
	s_and_not1_b32 exec_lo, exec_lo, s15
	s_cbranch_execz .LBB4_1348
.LBB4_356:                              ;   Parent Loop BB4_47 Depth=1
                                        ;     Parent Loop BB4_271 Depth=2
                                        ;       Parent Loop BB4_274 Depth=3
                                        ; =>      This Inner Loop Header: Depth=4
	s_clause 0x1
	global_load_b128 v[20:23], v[58:59], off th:TH_LOAD_NT
	global_load_b128 v[12:15], v[58:59], off offset:512 th:TH_LOAD_NT
	s_clause 0x1
	global_load_b128 v[16:19], v[60:61], off th:TH_LOAD_NT
	global_load_b128 v[8:11], v[60:61], off offset:512 th:TH_LOAD_NT
	v_dual_mov_b32 v2, 0 :: v_dual_mov_b32 v26, 0
	s_mov_b32 s13, exec_lo
	s_wait_loadcnt 0x3
	v_and_b32_e32 v24, 0xff, v20
	s_wait_xcnt 0x0
	s_delay_alu instid0(VALU_DEP_1)
	v_cmpx_ne_u16_e32 0, v24
	s_cbranch_execz .LBB4_362
; %bb.357:                              ;   in Loop: Header=BB4_356 Depth=4
	v_bfrev_b32_e32 v26, 1
	s_mov_b32 s73, exec_lo
	v_cmpx_ne_u16_e32 0x80, v24
	s_cbranch_execz .LBB4_361
; %bb.358:                              ;   in Loop: Header=BB4_356 Depth=4
	v_and_b32_e32 v24, 0x7f, v20
	v_mov_b32_e32 v26, 0x7f800001
	s_mov_b32 s74, exec_lo
	s_delay_alu instid0(VALU_DEP_2)
	v_cmpx_ne_u32_e32 0x7f, v24
	s_cbranch_execz .LBB4_360
; %bb.359:                              ;   in Loop: Header=BB4_356 Depth=4
	v_cmp_gt_u32_e32 vcc_lo, 8, v24
	v_and_b32_e32 v25, 7, v20
	s_delay_alu instid0(VALU_DEP_1) | instskip(NEXT) | instid1(VALU_DEP_1)
	v_clz_i32_u32_e32 v25, v25
	v_min_u32_e32 v25, 32, v25
	v_lshrrev_b32_e32 v26, 3, v24
	s_delay_alu instid0(VALU_DEP_2) | instskip(NEXT) | instid1(VALU_DEP_1)
	v_subrev_nc_u32_e32 v27, 28, v25
	v_dual_cndmask_b32 v24, 0, v27 :: v_dual_sub_nc_u32 v25, 29, v25
	s_delay_alu instid0(VALU_DEP_1) | instskip(NEXT) | instid1(VALU_DEP_2)
	v_cndmask_b32_e32 v26, v26, v25, vcc_lo
	v_lshlrev_b64_e32 v[24:25], v24, v[20:21]
	v_lshlrev_b32_e32 v25, 24, v20
	s_delay_alu instid0(VALU_DEP_3) | instskip(NEXT) | instid1(VALU_DEP_2)
	v_lshl_add_u32 v26, v26, 23, 0x3c000000
	v_and_b32_e32 v25, 0x80000000, v25
	s_delay_alu instid0(VALU_DEP_4) | instskip(NEXT) | instid1(VALU_DEP_1)
	v_lshlrev_b32_e32 v24, 20, v24
	v_and_b32_e32 v24, 0x700000, v24
	s_delay_alu instid0(VALU_DEP_1)
	v_or3_b32 v26, v24, v25, v26
.LBB4_360:                              ;   in Loop: Header=BB4_356 Depth=4
	s_or_b32 exec_lo, exec_lo, s74
.LBB4_361:                              ;   in Loop: Header=BB4_356 Depth=4
	s_delay_alu instid0(SALU_CYCLE_1)
	s_or_b32 exec_lo, exec_lo, s73
.LBB4_362:                              ;   in Loop: Header=BB4_356 Depth=4
	s_delay_alu instid0(SALU_CYCLE_1) | instskip(SKIP_3) | instid1(VALU_DEP_1)
	s_or_b32 exec_lo, exec_lo, s13
	s_wait_loadcnt 0x1
	v_and_b32_e32 v24, 0xff, v16
	s_mov_b32 s13, exec_lo
	v_cmpx_ne_u16_e32 0, v24
	s_cbranch_execz .LBB4_368
; %bb.363:                              ;   in Loop: Header=BB4_356 Depth=4
	v_bfrev_b32_e32 v2, 1
	s_mov_b32 s73, exec_lo
	v_cmpx_ne_u16_e32 0x80, v24
	s_cbranch_execz .LBB4_367
; %bb.364:                              ;   in Loop: Header=BB4_356 Depth=4
	v_and_b32_e32 v24, 0x7f, v16
	v_mov_b32_e32 v2, 0x7f800001
	s_mov_b32 s74, exec_lo
	s_delay_alu instid0(VALU_DEP_2)
	v_cmpx_ne_u32_e32 0x7f, v24
	s_cbranch_execz .LBB4_366
; %bb.365:                              ;   in Loop: Header=BB4_356 Depth=4
	v_cmp_gt_u32_e32 vcc_lo, 8, v24
	v_and_b32_e32 v2, 7, v16
	s_delay_alu instid0(VALU_DEP_1) | instskip(NEXT) | instid1(VALU_DEP_1)
	v_clz_i32_u32_e32 v2, v2
	v_min_u32_e32 v2, 32, v2
	v_lshrrev_b32_e32 v25, 3, v24
	s_delay_alu instid0(VALU_DEP_2) | instskip(NEXT) | instid1(VALU_DEP_1)
	v_subrev_nc_u32_e32 v27, 28, v2
	v_dual_sub_nc_u32 v2, 29, v2 :: v_dual_cndmask_b32 v24, 0, v27, vcc_lo
	s_delay_alu instid0(VALU_DEP_1) | instskip(NEXT) | instid1(VALU_DEP_2)
	v_cndmask_b32_e32 v2, v25, v2, vcc_lo
	v_lshlrev_b64_e32 v[24:25], v24, v[16:17]
	v_lshlrev_b32_e32 v25, 24, v16
	s_delay_alu instid0(VALU_DEP_3) | instskip(NEXT) | instid1(VALU_DEP_2)
	v_lshl_add_u32 v2, v2, 23, 0x3c000000
	v_and_b32_e32 v25, 0x80000000, v25
	s_delay_alu instid0(VALU_DEP_4) | instskip(NEXT) | instid1(VALU_DEP_1)
	v_lshlrev_b32_e32 v24, 20, v24
	v_and_b32_e32 v24, 0x700000, v24
	s_delay_alu instid0(VALU_DEP_1)
	v_or3_b32 v2, v24, v25, v2
.LBB4_366:                              ;   in Loop: Header=BB4_356 Depth=4
	s_or_b32 exec_lo, exec_lo, s74
.LBB4_367:                              ;   in Loop: Header=BB4_356 Depth=4
	s_delay_alu instid0(SALU_CYCLE_1)
	s_or_b32 exec_lo, exec_lo, s73
.LBB4_368:                              ;   in Loop: Header=BB4_356 Depth=4
	s_delay_alu instid0(SALU_CYCLE_1) | instskip(NEXT) | instid1(VALU_DEP_1)
	s_or_b32 exec_lo, exec_lo, s13
	v_add_f32_e32 v24, v26, v2
                                        ; implicit-def: $vgpr78
	s_mov_b32 s13, exec_lo
	s_delay_alu instid0(VALU_DEP_1) | instskip(SKIP_1) | instid1(VALU_DEP_2)
	v_and_b32_e32 v2, 0x7f800000, v24
	v_lshrrev_b32_e32 v25, 24, v24
	v_cmpx_ne_u64_e32 0x7f800000, v[2:3]
	s_xor_b32 s73, exec_lo, s13
	s_cbranch_execz .LBB4_382
; %bb.369:                              ;   in Loop: Header=BB4_356 Depth=4
	v_and_b32_e32 v2, 0x7fffffff, v24
	v_and_b32_e32 v26, 0x80, v25
                                        ; implicit-def: $vgpr78
	s_mov_b32 s13, exec_lo
	s_delay_alu instid0(VALU_DEP_2)
	v_cmpx_gt_u64_e32 0x43e00001, v[2:3]
	s_xor_b32 s74, exec_lo, s13
	s_cbranch_execz .LBB4_379
; %bb.370:                              ;   in Loop: Header=BB4_356 Depth=4
	v_mov_b32_e32 v78, 0
	s_mov_b32 s75, exec_lo
	v_cmpx_ne_u32_e32 0, v24
	s_cbranch_execz .LBB4_378
; %bb.371:                              ;   in Loop: Header=BB4_356 Depth=4
	v_bfe_u32 v25, v24, 23, 8
	s_mov_b32 s76, exec_lo
	s_delay_alu instid0(VALU_DEP_1) | instskip(SKIP_1) | instid1(VALU_DEP_2)
	v_sub_nc_u32_e32 v2, 0x79, v25
	v_cmp_gt_u32_e32 vcc_lo, 0x7a, v25
	v_cndmask_b32_e32 v2, 0, v2, vcc_lo
	v_cmp_eq_u32_e32 vcc_lo, 0, v25
	s_delay_alu instid0(VALU_DEP_2) | instskip(SKIP_1) | instid1(VALU_DEP_2)
	v_cndmask_b32_e64 v27, v2, 0x78, vcc_lo
	v_and_b32_e32 v2, 0x7fffff, v24
	v_add_nc_u32_e32 v24, 20, v27
	s_delay_alu instid0(VALU_DEP_2) | instskip(NEXT) | instid1(VALU_DEP_2)
	v_or_b32_e32 v68, 0x800000, v2
	v_lshlrev_b64_e64 v[28:29], v24, -1
	s_delay_alu instid0(VALU_DEP_2) | instskip(NEXT) | instid1(VALU_DEP_1)
	v_dual_add_nc_u32 v24, 19, v27 :: v_dual_cndmask_b32 v2, v68, v2, vcc_lo
	v_lshlrev_b64_e64 v[68:69], v24, 1
	s_delay_alu instid0(VALU_DEP_2) | instskip(NEXT) | instid1(VALU_DEP_4)
	v_lshrrev_b64 v[72:73], v27, v[2:3]
	v_bfi_b32 v29, v29, 0, 0
	v_bfi_b32 v28, v28, 0, v2
	s_delay_alu instid0(VALU_DEP_3) | instskip(NEXT) | instid1(VALU_DEP_2)
	v_mov_b64_e32 v[74:75], v[72:73]
	v_cmpx_eq_u64_e64 v[28:29], v[68:69]
; %bb.372:                              ;   in Loop: Header=BB4_356 Depth=4
	v_bfe_u32 v2, v72, 20, 1
	s_delay_alu instid0(VALU_DEP_1) | instskip(NEXT) | instid1(VALU_DEP_1)
	v_add_nc_u64_e32 v[28:29], v[72:73], v[2:3]
	v_add_nc_u64_e32 v[74:75], -1, v[28:29]
; %bb.373:                              ;   in Loop: Header=BB4_356 Depth=4
	s_or_b32 exec_lo, exec_lo, s76
	v_add_nc_u32_e32 v2, 0xffffff81, v25
	v_lshrrev_b32_e32 v24, 23, v72
	s_mov_b32 s13, exec_lo
	s_delay_alu instid0(VALU_DEP_2) | instskip(NEXT) | instid1(VALU_DEP_1)
	v_cndmask_b32_e64 v2, v2, 0xffffff82, vcc_lo
	v_add3_u32 v25, v27, v2, v24
	v_and_b32_e32 v2, 0xfffff, v74
                                        ; implicit-def: $vgpr24
	s_delay_alu instid0(VALU_DEP_1) | instskip(NEXT) | instid1(VALU_DEP_1)
	v_dual_add_nc_u32 v27, 6, v25 :: v_dual_add_nc_u32 v2, v2, v72
                                        ; implicit-def: $vgpr72_vgpr73
	v_cmpx_ne_u32_e32 0, v27
	s_xor_b32 s13, exec_lo, s13
; %bb.374:                              ;   in Loop: Header=BB4_356 Depth=4
	s_delay_alu instid0(VALU_DEP_2) | instskip(SKIP_2) | instid1(VALU_DEP_2)
	v_cmp_lt_u64_e32 vcc_lo, 0xffffff, v[2:3]
	v_add_nc_u32_e32 v24, 7, v25
	v_cndmask_b32_e64 v25, 0, 1, vcc_lo
	v_cndmask_b32_e32 v24, v27, v24, vcc_lo
	s_delay_alu instid0(VALU_DEP_2)
	v_lshrrev_b64 v[72:73], v25, v[2:3]
; %bb.375:                              ;   in Loop: Header=BB4_356 Depth=4
	s_and_not1_saveexec_b32 s13, s13
; %bb.376:                              ;   in Loop: Header=BB4_356 Depth=4
	v_mov_b64_e32 v[72:73], v[2:3]
	v_bfe_u32 v24, v2, 23, 1
; %bb.377:                              ;   in Loop: Header=BB4_356 Depth=4
	s_or_b32 exec_lo, exec_lo, s13
	s_delay_alu instid0(VALU_DEP_2) | instskip(NEXT) | instid1(VALU_DEP_2)
	v_lshrrev_b64 v[28:29], 20, v[72:73]
	v_cmp_gt_i32_e32 vcc_lo, 16, v24
	v_min_i32_e32 v2, 15, v24
	v_cmp_eq_u32_e64 s13, 0, v24
	s_delay_alu instid0(VALU_DEP_2) | instskip(SKIP_1) | instid1(VALU_DEP_2)
	v_dual_cndmask_b32 v29, 0, v29 :: v_dual_lshlrev_b32 v2, 3, v2
	v_cndmask_b32_e32 v28, 7, v28, vcc_lo
	v_and_b32_e32 v2, 0xf8, v2
	s_delay_alu instid0(VALU_DEP_2) | instskip(NEXT) | instid1(VALU_DEP_2)
	v_cmp_eq_u64_e32 vcc_lo, 0, v[28:29]
	v_and_or_b32 v2, v28, 7, v2
	s_and_b32 s13, s13, vcc_lo
	s_delay_alu instid0(VALU_DEP_1) | instid1(SALU_CYCLE_1)
	v_cndmask_b32_e64 v2, v2, 0, s13
	s_delay_alu instid0(VALU_DEP_1)
	v_or_b32_e32 v78, v2, v26
.LBB4_378:                              ;   in Loop: Header=BB4_356 Depth=4
	s_or_b32 exec_lo, exec_lo, s75
                                        ; implicit-def: $vgpr26
.LBB4_379:                              ;   in Loop: Header=BB4_356 Depth=4
	s_and_not1_saveexec_b32 s13, s74
; %bb.380:                              ;   in Loop: Header=BB4_356 Depth=4
	v_or_b32_e32 v78, 0x7e, v26
; %bb.381:                              ;   in Loop: Header=BB4_356 Depth=4
	s_or_b32 exec_lo, exec_lo, s13
                                        ; implicit-def: $vgpr25
.LBB4_382:                              ;   in Loop: Header=BB4_356 Depth=4
	s_and_not1_saveexec_b32 s13, s73
; %bb.383:                              ;   in Loop: Header=BB4_356 Depth=4
	v_or_b32_e32 v78, 0x7f, v25
; %bb.384:                              ;   in Loop: Header=BB4_356 Depth=4
	s_or_b32 exec_lo, exec_lo, s13
	v_lshrrev_b16 v2, 8, v20
	v_dual_mov_b32 v26, 0 :: v_dual_mov_b32 v27, 0
	s_mov_b32 s13, exec_lo
	s_delay_alu instid0(VALU_DEP_2)
	v_cmpx_ne_u16_e32 0, v2
	s_cbranch_execz .LBB4_392
; %bb.385:                              ;   in Loop: Header=BB4_356 Depth=4
	v_bfrev_b32_e32 v27, 1
	s_mov_b32 s73, exec_lo
	v_cmpx_ne_u16_e32 0x80, v2
	s_cbranch_execz .LBB4_391
; %bb.386:                              ;   in Loop: Header=BB4_356 Depth=4
	v_and_b32_e32 v2, 0xffff, v2
	v_mov_b32_e32 v27, 0x7f800001
	s_mov_b32 s74, exec_lo
	s_delay_alu instid0(VALU_DEP_2) | instskip(NEXT) | instid1(VALU_DEP_1)
	v_and_b32_e32 v25, 0x7f, v2
	v_cmpx_ne_u32_e32 0x7f, v25
	s_cbranch_execz .LBB4_390
; %bb.387:                              ;   in Loop: Header=BB4_356 Depth=4
	v_dual_lshrrev_b32 v24, 3, v25 :: v_dual_bitop2_b32 v2, 7, v2 bitop3:0x40
	s_mov_b32 s75, exec_lo
	v_cmpx_gt_u32_e32 8, v25
; %bb.388:                              ;   in Loop: Header=BB4_356 Depth=4
	s_delay_alu instid0(VALU_DEP_2) | instskip(NEXT) | instid1(VALU_DEP_1)
	v_clz_i32_u32_e32 v24, v2
	v_min_u32_e32 v24, 32, v24
	s_delay_alu instid0(VALU_DEP_1) | instskip(SKIP_1) | instid1(VALU_DEP_2)
	v_subrev_nc_u32_e32 v25, 28, v24
	v_sub_nc_u32_e32 v24, 29, v24
	v_lshlrev_b64_e32 v[28:29], v25, v[2:3]
	s_delay_alu instid0(VALU_DEP_1)
	v_and_b32_e32 v2, 7, v28
; %bb.389:                              ;   in Loop: Header=BB4_356 Depth=4
	s_or_b32 exec_lo, exec_lo, s75
	s_delay_alu instid0(VALU_DEP_1) | instskip(SKIP_1) | instid1(VALU_DEP_2)
	v_dual_lshlrev_b32 v25, 16, v20 :: v_dual_lshlrev_b32 v2, 20, v2
	v_lshl_add_u32 v24, v24, 23, 0x3c000000
	v_and_b32_e32 v25, 0x80000000, v25
	s_delay_alu instid0(VALU_DEP_1)
	v_or3_b32 v27, v2, v25, v24
.LBB4_390:                              ;   in Loop: Header=BB4_356 Depth=4
	s_or_b32 exec_lo, exec_lo, s74
.LBB4_391:                              ;   in Loop: Header=BB4_356 Depth=4
	s_delay_alu instid0(SALU_CYCLE_1)
	s_or_b32 exec_lo, exec_lo, s73
.LBB4_392:                              ;   in Loop: Header=BB4_356 Depth=4
	s_delay_alu instid0(SALU_CYCLE_1) | instskip(SKIP_2) | instid1(VALU_DEP_1)
	s_or_b32 exec_lo, exec_lo, s13
	v_lshrrev_b16 v2, 8, v16
	s_mov_b32 s13, exec_lo
	v_cmpx_ne_u16_e32 0, v2
	s_cbranch_execz .LBB4_400
; %bb.393:                              ;   in Loop: Header=BB4_356 Depth=4
	v_bfrev_b32_e32 v26, 1
	s_mov_b32 s73, exec_lo
	v_cmpx_ne_u16_e32 0x80, v2
	s_cbranch_execz .LBB4_399
; %bb.394:                              ;   in Loop: Header=BB4_356 Depth=4
	v_and_b32_e32 v2, 0xffff, v2
	v_mov_b32_e32 v26, 0x7f800001
	s_mov_b32 s74, exec_lo
	s_delay_alu instid0(VALU_DEP_2) | instskip(NEXT) | instid1(VALU_DEP_1)
	v_and_b32_e32 v25, 0x7f, v2
	v_cmpx_ne_u32_e32 0x7f, v25
	s_cbranch_execz .LBB4_398
; %bb.395:                              ;   in Loop: Header=BB4_356 Depth=4
	v_dual_lshrrev_b32 v24, 3, v25 :: v_dual_bitop2_b32 v2, 7, v2 bitop3:0x40
	s_mov_b32 s75, exec_lo
	v_cmpx_gt_u32_e32 8, v25
; %bb.396:                              ;   in Loop: Header=BB4_356 Depth=4
	s_delay_alu instid0(VALU_DEP_2) | instskip(NEXT) | instid1(VALU_DEP_1)
	v_clz_i32_u32_e32 v24, v2
	v_min_u32_e32 v24, 32, v24
	s_delay_alu instid0(VALU_DEP_1) | instskip(SKIP_1) | instid1(VALU_DEP_2)
	v_subrev_nc_u32_e32 v25, 28, v24
	v_sub_nc_u32_e32 v24, 29, v24
	v_lshlrev_b64_e32 v[28:29], v25, v[2:3]
	s_delay_alu instid0(VALU_DEP_1)
	v_and_b32_e32 v2, 7, v28
; %bb.397:                              ;   in Loop: Header=BB4_356 Depth=4
	s_or_b32 exec_lo, exec_lo, s75
	s_delay_alu instid0(VALU_DEP_1) | instskip(SKIP_1) | instid1(VALU_DEP_2)
	v_dual_lshlrev_b32 v25, 16, v16 :: v_dual_lshlrev_b32 v2, 20, v2
	v_lshl_add_u32 v24, v24, 23, 0x3c000000
	v_and_b32_e32 v25, 0x80000000, v25
	s_delay_alu instid0(VALU_DEP_1)
	v_or3_b32 v26, v2, v25, v24
.LBB4_398:                              ;   in Loop: Header=BB4_356 Depth=4
	s_or_b32 exec_lo, exec_lo, s74
.LBB4_399:                              ;   in Loop: Header=BB4_356 Depth=4
	s_delay_alu instid0(SALU_CYCLE_1)
	s_or_b32 exec_lo, exec_lo, s73
.LBB4_400:                              ;   in Loop: Header=BB4_356 Depth=4
	s_delay_alu instid0(SALU_CYCLE_1) | instskip(NEXT) | instid1(VALU_DEP_1)
	s_or_b32 exec_lo, exec_lo, s13
	v_add_f32_e32 v24, v27, v26
                                        ; implicit-def: $vgpr79
	s_mov_b32 s13, exec_lo
	s_delay_alu instid0(VALU_DEP_1) | instskip(SKIP_1) | instid1(VALU_DEP_2)
	v_and_b32_e32 v2, 0x7f800000, v24
	v_lshrrev_b32_e32 v25, 24, v24
	v_cmpx_ne_u64_e32 0x7f800000, v[2:3]
	s_xor_b32 s73, exec_lo, s13
	s_cbranch_execz .LBB4_414
; %bb.401:                              ;   in Loop: Header=BB4_356 Depth=4
	v_and_b32_e32 v2, 0x7fffffff, v24
	v_and_b32_e32 v26, 0x80, v25
                                        ; implicit-def: $vgpr79
	s_mov_b32 s13, exec_lo
	s_delay_alu instid0(VALU_DEP_2)
	v_cmpx_gt_u64_e32 0x43e00001, v[2:3]
	s_xor_b32 s74, exec_lo, s13
	s_cbranch_execz .LBB4_411
; %bb.402:                              ;   in Loop: Header=BB4_356 Depth=4
	v_mov_b32_e32 v79, 0
	s_mov_b32 s75, exec_lo
	v_cmpx_ne_u32_e32 0, v24
	s_cbranch_execz .LBB4_410
; %bb.403:                              ;   in Loop: Header=BB4_356 Depth=4
	v_bfe_u32 v25, v24, 23, 8
	s_mov_b32 s76, exec_lo
	s_delay_alu instid0(VALU_DEP_1) | instskip(SKIP_1) | instid1(VALU_DEP_2)
	v_sub_nc_u32_e32 v2, 0x79, v25
	v_cmp_gt_u32_e32 vcc_lo, 0x7a, v25
	v_cndmask_b32_e32 v2, 0, v2, vcc_lo
	v_cmp_eq_u32_e32 vcc_lo, 0, v25
	s_delay_alu instid0(VALU_DEP_2) | instskip(SKIP_1) | instid1(VALU_DEP_2)
	v_cndmask_b32_e64 v27, v2, 0x78, vcc_lo
	v_and_b32_e32 v2, 0x7fffff, v24
	v_add_nc_u32_e32 v24, 20, v27
	s_delay_alu instid0(VALU_DEP_2) | instskip(NEXT) | instid1(VALU_DEP_2)
	v_or_b32_e32 v68, 0x800000, v2
	v_lshlrev_b64_e64 v[28:29], v24, -1
	s_delay_alu instid0(VALU_DEP_2) | instskip(NEXT) | instid1(VALU_DEP_1)
	v_dual_add_nc_u32 v24, 19, v27 :: v_dual_cndmask_b32 v2, v68, v2, vcc_lo
	v_lshlrev_b64_e64 v[68:69], v24, 1
	s_delay_alu instid0(VALU_DEP_2) | instskip(NEXT) | instid1(VALU_DEP_4)
	v_lshrrev_b64 v[72:73], v27, v[2:3]
	v_bfi_b32 v29, v29, 0, 0
	v_bfi_b32 v28, v28, 0, v2
	s_delay_alu instid0(VALU_DEP_3) | instskip(NEXT) | instid1(VALU_DEP_2)
	v_mov_b64_e32 v[74:75], v[72:73]
	v_cmpx_eq_u64_e64 v[28:29], v[68:69]
; %bb.404:                              ;   in Loop: Header=BB4_356 Depth=4
	v_bfe_u32 v2, v72, 20, 1
	s_delay_alu instid0(VALU_DEP_1) | instskip(NEXT) | instid1(VALU_DEP_1)
	v_add_nc_u64_e32 v[28:29], v[72:73], v[2:3]
	v_add_nc_u64_e32 v[74:75], -1, v[28:29]
; %bb.405:                              ;   in Loop: Header=BB4_356 Depth=4
	s_or_b32 exec_lo, exec_lo, s76
	v_add_nc_u32_e32 v2, 0xffffff81, v25
	v_lshrrev_b32_e32 v24, 23, v72
	s_mov_b32 s13, exec_lo
	s_delay_alu instid0(VALU_DEP_2) | instskip(NEXT) | instid1(VALU_DEP_1)
	v_cndmask_b32_e64 v2, v2, 0xffffff82, vcc_lo
	v_add3_u32 v25, v27, v2, v24
	v_and_b32_e32 v2, 0xfffff, v74
                                        ; implicit-def: $vgpr24
	s_delay_alu instid0(VALU_DEP_1) | instskip(NEXT) | instid1(VALU_DEP_1)
	v_dual_add_nc_u32 v27, 6, v25 :: v_dual_add_nc_u32 v2, v2, v72
                                        ; implicit-def: $vgpr72_vgpr73
	v_cmpx_ne_u32_e32 0, v27
	s_xor_b32 s13, exec_lo, s13
; %bb.406:                              ;   in Loop: Header=BB4_356 Depth=4
	s_delay_alu instid0(VALU_DEP_2) | instskip(SKIP_2) | instid1(VALU_DEP_2)
	v_cmp_lt_u64_e32 vcc_lo, 0xffffff, v[2:3]
	v_add_nc_u32_e32 v24, 7, v25
	v_cndmask_b32_e64 v25, 0, 1, vcc_lo
	v_cndmask_b32_e32 v24, v27, v24, vcc_lo
	s_delay_alu instid0(VALU_DEP_2)
	v_lshrrev_b64 v[72:73], v25, v[2:3]
; %bb.407:                              ;   in Loop: Header=BB4_356 Depth=4
	s_and_not1_saveexec_b32 s13, s13
; %bb.408:                              ;   in Loop: Header=BB4_356 Depth=4
	v_mov_b64_e32 v[72:73], v[2:3]
	v_bfe_u32 v24, v2, 23, 1
; %bb.409:                              ;   in Loop: Header=BB4_356 Depth=4
	s_or_b32 exec_lo, exec_lo, s13
	s_delay_alu instid0(VALU_DEP_2) | instskip(NEXT) | instid1(VALU_DEP_2)
	v_lshrrev_b64 v[28:29], 20, v[72:73]
	v_cmp_gt_i32_e32 vcc_lo, 16, v24
	v_min_i32_e32 v2, 15, v24
	v_cmp_eq_u32_e64 s13, 0, v24
	s_delay_alu instid0(VALU_DEP_2) | instskip(SKIP_1) | instid1(VALU_DEP_2)
	v_dual_cndmask_b32 v29, 0, v29 :: v_dual_lshlrev_b32 v2, 3, v2
	v_cndmask_b32_e32 v28, 7, v28, vcc_lo
	v_and_b32_e32 v2, 0xf8, v2
	s_delay_alu instid0(VALU_DEP_2) | instskip(NEXT) | instid1(VALU_DEP_2)
	v_cmp_eq_u64_e32 vcc_lo, 0, v[28:29]
	v_and_or_b32 v2, v28, 7, v2
	s_and_b32 s13, s13, vcc_lo
	s_delay_alu instid0(VALU_DEP_1) | instid1(SALU_CYCLE_1)
	v_cndmask_b32_e64 v2, v2, 0, s13
	s_delay_alu instid0(VALU_DEP_1)
	v_or_b32_e32 v79, v2, v26
.LBB4_410:                              ;   in Loop: Header=BB4_356 Depth=4
	s_or_b32 exec_lo, exec_lo, s75
                                        ; implicit-def: $vgpr26
.LBB4_411:                              ;   in Loop: Header=BB4_356 Depth=4
	s_and_not1_saveexec_b32 s13, s74
; %bb.412:                              ;   in Loop: Header=BB4_356 Depth=4
	v_or_b32_e32 v79, 0x7e, v26
; %bb.413:                              ;   in Loop: Header=BB4_356 Depth=4
	s_or_b32 exec_lo, exec_lo, s13
                                        ; implicit-def: $vgpr25
.LBB4_414:                              ;   in Loop: Header=BB4_356 Depth=4
	s_and_not1_saveexec_b32 s13, s73
; %bb.415:                              ;   in Loop: Header=BB4_356 Depth=4
	v_or_b32_e32 v79, 0x7f, v25
; %bb.416:                              ;   in Loop: Header=BB4_356 Depth=4
	s_or_b32 exec_lo, exec_lo, s13
	v_dual_lshrrev_b32 v24, 16, v20 :: v_dual_mov_b32 v26, 0
	v_mov_b32_e32 v27, 0
	s_mov_b32 s13, exec_lo
	s_delay_alu instid0(VALU_DEP_2) | instskip(NEXT) | instid1(VALU_DEP_1)
	v_and_b32_e32 v2, 0xff, v24
	v_cmpx_ne_u16_e32 0, v2
	s_cbranch_execz .LBB4_424
; %bb.417:                              ;   in Loop: Header=BB4_356 Depth=4
	v_bfrev_b32_e32 v27, 1
	s_mov_b32 s73, exec_lo
	v_cmpx_ne_u16_e32 0x80, v2
	s_cbranch_execz .LBB4_423
; %bb.418:                              ;   in Loop: Header=BB4_356 Depth=4
	v_bfe_u32 v28, v20, 16, 7
	v_mov_b32_e32 v27, 0x7f800001
	s_mov_b32 s74, exec_lo
	s_delay_alu instid0(VALU_DEP_2)
	v_cmpx_ne_u32_e32 0x7f, v28
	s_cbranch_execz .LBB4_422
; %bb.419:                              ;   in Loop: Header=BB4_356 Depth=4
	v_and_b32_e32 v2, 7, v24
	v_lshrrev_b32_e32 v25, 3, v28
	s_mov_b32 s75, exec_lo
	v_cmpx_gt_u32_e32 8, v28
; %bb.420:                              ;   in Loop: Header=BB4_356 Depth=4
	s_delay_alu instid0(VALU_DEP_3) | instskip(NEXT) | instid1(VALU_DEP_1)
	v_clz_i32_u32_e32 v25, v2
	v_min_u32_e32 v25, 32, v25
	s_delay_alu instid0(VALU_DEP_1) | instskip(NEXT) | instid1(VALU_DEP_1)
	v_subrev_nc_u32_e32 v27, 28, v25
	v_lshlrev_b64_e32 v[28:29], v27, v[2:3]
	s_delay_alu instid0(VALU_DEP_1)
	v_dual_sub_nc_u32 v25, 29, v25 :: v_dual_bitop2_b32 v2, 7, v28 bitop3:0x40
; %bb.421:                              ;   in Loop: Header=BB4_356 Depth=4
	s_or_b32 exec_lo, exec_lo, s75
	s_delay_alu instid0(VALU_DEP_1) | instskip(NEXT) | instid1(VALU_DEP_2)
	v_dual_lshlrev_b32 v24, 24, v24 :: v_dual_lshlrev_b32 v2, 20, v2
	v_lshl_add_u32 v25, v25, 23, 0x3c000000
	s_delay_alu instid0(VALU_DEP_2) | instskip(NEXT) | instid1(VALU_DEP_1)
	v_and_b32_e32 v24, 0x80000000, v24
	v_or3_b32 v27, v2, v24, v25
.LBB4_422:                              ;   in Loop: Header=BB4_356 Depth=4
	s_or_b32 exec_lo, exec_lo, s74
.LBB4_423:                              ;   in Loop: Header=BB4_356 Depth=4
	s_delay_alu instid0(SALU_CYCLE_1)
	s_or_b32 exec_lo, exec_lo, s73
.LBB4_424:                              ;   in Loop: Header=BB4_356 Depth=4
	s_delay_alu instid0(SALU_CYCLE_1) | instskip(SKIP_2) | instid1(VALU_DEP_1)
	s_or_b32 exec_lo, exec_lo, s13
	v_lshrrev_b32_e32 v2, 16, v16
	s_mov_b32 s13, exec_lo
	v_and_b32_e32 v24, 0xff, v2
	s_delay_alu instid0(VALU_DEP_1)
	v_cmpx_ne_u16_e32 0, v24
	s_cbranch_execz .LBB4_432
; %bb.425:                              ;   in Loop: Header=BB4_356 Depth=4
	v_bfrev_b32_e32 v26, 1
	s_mov_b32 s73, exec_lo
	v_cmpx_ne_u16_e32 0x80, v24
	s_cbranch_execz .LBB4_431
; %bb.426:                              ;   in Loop: Header=BB4_356 Depth=4
	v_bfe_u32 v25, v16, 16, 7
	v_mov_b32_e32 v26, 0x7f800001
	s_mov_b32 s74, exec_lo
	s_delay_alu instid0(VALU_DEP_2)
	v_cmpx_ne_u32_e32 0x7f, v25
	s_cbranch_execz .LBB4_430
; %bb.427:                              ;   in Loop: Header=BB4_356 Depth=4
	v_dual_lshrrev_b32 v24, 3, v25 :: v_dual_bitop2_b32 v2, 7, v2 bitop3:0x40
	s_mov_b32 s75, exec_lo
	v_cmpx_gt_u32_e32 8, v25
; %bb.428:                              ;   in Loop: Header=BB4_356 Depth=4
	s_delay_alu instid0(VALU_DEP_2) | instskip(NEXT) | instid1(VALU_DEP_1)
	v_clz_i32_u32_e32 v24, v2
	v_min_u32_e32 v24, 32, v24
	s_delay_alu instid0(VALU_DEP_1) | instskip(SKIP_1) | instid1(VALU_DEP_2)
	v_subrev_nc_u32_e32 v25, 28, v24
	v_sub_nc_u32_e32 v24, 29, v24
	v_lshlrev_b64_e32 v[28:29], v25, v[2:3]
	s_delay_alu instid0(VALU_DEP_1)
	v_and_b32_e32 v2, 7, v28
; %bb.429:                              ;   in Loop: Header=BB4_356 Depth=4
	s_or_b32 exec_lo, exec_lo, s75
	s_delay_alu instid0(VALU_DEP_1) | instskip(SKIP_1) | instid1(VALU_DEP_2)
	v_dual_lshlrev_b32 v25, 8, v16 :: v_dual_lshlrev_b32 v2, 20, v2
	v_lshl_add_u32 v24, v24, 23, 0x3c000000
	v_and_b32_e32 v25, 0x80000000, v25
	s_delay_alu instid0(VALU_DEP_1)
	v_or3_b32 v26, v2, v25, v24
.LBB4_430:                              ;   in Loop: Header=BB4_356 Depth=4
	s_or_b32 exec_lo, exec_lo, s74
.LBB4_431:                              ;   in Loop: Header=BB4_356 Depth=4
	s_delay_alu instid0(SALU_CYCLE_1)
	s_or_b32 exec_lo, exec_lo, s73
.LBB4_432:                              ;   in Loop: Header=BB4_356 Depth=4
	s_delay_alu instid0(SALU_CYCLE_1) | instskip(NEXT) | instid1(VALU_DEP_1)
	s_or_b32 exec_lo, exec_lo, s13
	v_add_f32_e32 v24, v27, v26
                                        ; implicit-def: $vgpr95
	s_mov_b32 s13, exec_lo
	s_delay_alu instid0(VALU_DEP_1) | instskip(SKIP_1) | instid1(VALU_DEP_2)
	v_and_b32_e32 v2, 0x7f800000, v24
	v_lshrrev_b32_e32 v25, 24, v24
	v_cmpx_ne_u64_e32 0x7f800000, v[2:3]
	s_xor_b32 s73, exec_lo, s13
	s_cbranch_execz .LBB4_446
; %bb.433:                              ;   in Loop: Header=BB4_356 Depth=4
	v_and_b32_e32 v2, 0x7fffffff, v24
	v_and_b32_e32 v26, 0x80, v25
                                        ; implicit-def: $vgpr95
	s_mov_b32 s13, exec_lo
	s_delay_alu instid0(VALU_DEP_2)
	v_cmpx_gt_u64_e32 0x43e00001, v[2:3]
	s_xor_b32 s74, exec_lo, s13
	s_cbranch_execz .LBB4_443
; %bb.434:                              ;   in Loop: Header=BB4_356 Depth=4
	v_mov_b32_e32 v95, 0
	s_mov_b32 s75, exec_lo
	v_cmpx_ne_u32_e32 0, v24
	s_cbranch_execz .LBB4_442
; %bb.435:                              ;   in Loop: Header=BB4_356 Depth=4
	v_bfe_u32 v25, v24, 23, 8
	s_mov_b32 s76, exec_lo
	s_delay_alu instid0(VALU_DEP_1) | instskip(SKIP_1) | instid1(VALU_DEP_2)
	v_sub_nc_u32_e32 v2, 0x79, v25
	v_cmp_gt_u32_e32 vcc_lo, 0x7a, v25
	v_cndmask_b32_e32 v2, 0, v2, vcc_lo
	v_cmp_eq_u32_e32 vcc_lo, 0, v25
	s_delay_alu instid0(VALU_DEP_2) | instskip(SKIP_1) | instid1(VALU_DEP_2)
	v_cndmask_b32_e64 v27, v2, 0x78, vcc_lo
	v_and_b32_e32 v2, 0x7fffff, v24
	v_add_nc_u32_e32 v24, 20, v27
	s_delay_alu instid0(VALU_DEP_2) | instskip(NEXT) | instid1(VALU_DEP_2)
	v_or_b32_e32 v68, 0x800000, v2
	v_lshlrev_b64_e64 v[28:29], v24, -1
	s_delay_alu instid0(VALU_DEP_2) | instskip(NEXT) | instid1(VALU_DEP_1)
	v_dual_add_nc_u32 v24, 19, v27 :: v_dual_cndmask_b32 v2, v68, v2, vcc_lo
	v_lshlrev_b64_e64 v[68:69], v24, 1
	s_delay_alu instid0(VALU_DEP_2) | instskip(NEXT) | instid1(VALU_DEP_4)
	v_lshrrev_b64 v[72:73], v27, v[2:3]
	v_bfi_b32 v29, v29, 0, 0
	v_bfi_b32 v28, v28, 0, v2
	s_delay_alu instid0(VALU_DEP_3) | instskip(NEXT) | instid1(VALU_DEP_2)
	v_mov_b64_e32 v[74:75], v[72:73]
	v_cmpx_eq_u64_e64 v[28:29], v[68:69]
; %bb.436:                              ;   in Loop: Header=BB4_356 Depth=4
	v_bfe_u32 v2, v72, 20, 1
	s_delay_alu instid0(VALU_DEP_1) | instskip(NEXT) | instid1(VALU_DEP_1)
	v_add_nc_u64_e32 v[28:29], v[72:73], v[2:3]
	v_add_nc_u64_e32 v[74:75], -1, v[28:29]
; %bb.437:                              ;   in Loop: Header=BB4_356 Depth=4
	s_or_b32 exec_lo, exec_lo, s76
	v_add_nc_u32_e32 v2, 0xffffff81, v25
	v_lshrrev_b32_e32 v24, 23, v72
	s_mov_b32 s13, exec_lo
	s_delay_alu instid0(VALU_DEP_2) | instskip(NEXT) | instid1(VALU_DEP_1)
	v_cndmask_b32_e64 v2, v2, 0xffffff82, vcc_lo
	v_add3_u32 v25, v27, v2, v24
	v_and_b32_e32 v2, 0xfffff, v74
                                        ; implicit-def: $vgpr24
	s_delay_alu instid0(VALU_DEP_1) | instskip(NEXT) | instid1(VALU_DEP_1)
	v_dual_add_nc_u32 v27, 6, v25 :: v_dual_add_nc_u32 v2, v2, v72
                                        ; implicit-def: $vgpr72_vgpr73
	v_cmpx_ne_u32_e32 0, v27
	s_xor_b32 s13, exec_lo, s13
; %bb.438:                              ;   in Loop: Header=BB4_356 Depth=4
	s_delay_alu instid0(VALU_DEP_2) | instskip(SKIP_2) | instid1(VALU_DEP_2)
	v_cmp_lt_u64_e32 vcc_lo, 0xffffff, v[2:3]
	v_add_nc_u32_e32 v24, 7, v25
	v_cndmask_b32_e64 v25, 0, 1, vcc_lo
	v_cndmask_b32_e32 v24, v27, v24, vcc_lo
	s_delay_alu instid0(VALU_DEP_2)
	v_lshrrev_b64 v[72:73], v25, v[2:3]
; %bb.439:                              ;   in Loop: Header=BB4_356 Depth=4
	s_and_not1_saveexec_b32 s13, s13
; %bb.440:                              ;   in Loop: Header=BB4_356 Depth=4
	v_mov_b64_e32 v[72:73], v[2:3]
	v_bfe_u32 v24, v2, 23, 1
; %bb.441:                              ;   in Loop: Header=BB4_356 Depth=4
	s_or_b32 exec_lo, exec_lo, s13
	s_delay_alu instid0(VALU_DEP_2) | instskip(NEXT) | instid1(VALU_DEP_2)
	v_lshrrev_b64 v[28:29], 20, v[72:73]
	v_cmp_gt_i32_e32 vcc_lo, 16, v24
	v_min_i32_e32 v2, 15, v24
	v_cmp_eq_u32_e64 s13, 0, v24
	s_delay_alu instid0(VALU_DEP_2) | instskip(SKIP_1) | instid1(VALU_DEP_2)
	v_dual_cndmask_b32 v29, 0, v29 :: v_dual_lshlrev_b32 v2, 3, v2
	v_cndmask_b32_e32 v28, 7, v28, vcc_lo
	v_and_b32_e32 v2, 0xf8, v2
	s_delay_alu instid0(VALU_DEP_2) | instskip(NEXT) | instid1(VALU_DEP_2)
	v_cmp_eq_u64_e32 vcc_lo, 0, v[28:29]
	v_and_or_b32 v2, v28, 7, v2
	s_and_b32 s13, s13, vcc_lo
	s_delay_alu instid0(VALU_DEP_1) | instid1(SALU_CYCLE_1)
	v_cndmask_b32_e64 v2, v2, 0, s13
	s_delay_alu instid0(VALU_DEP_1)
	v_or_b32_e32 v95, v2, v26
.LBB4_442:                              ;   in Loop: Header=BB4_356 Depth=4
	s_or_b32 exec_lo, exec_lo, s75
                                        ; implicit-def: $vgpr26
.LBB4_443:                              ;   in Loop: Header=BB4_356 Depth=4
	s_and_not1_saveexec_b32 s13, s74
; %bb.444:                              ;   in Loop: Header=BB4_356 Depth=4
	v_or_b32_e32 v95, 0x7e, v26
; %bb.445:                              ;   in Loop: Header=BB4_356 Depth=4
	s_or_b32 exec_lo, exec_lo, s13
                                        ; implicit-def: $vgpr25
.LBB4_446:                              ;   in Loop: Header=BB4_356 Depth=4
	s_and_not1_saveexec_b32 s13, s73
; %bb.447:                              ;   in Loop: Header=BB4_356 Depth=4
	v_or_b32_e32 v95, 0x7f, v25
; %bb.448:                              ;   in Loop: Header=BB4_356 Depth=4
	s_or_b32 exec_lo, exec_lo, s13
	v_dual_mov_b32 v26, 0 :: v_dual_mov_b32 v27, 0
	s_mov_b32 s13, exec_lo
	v_cmpx_lt_u32_e32 0xffffff, v20
	s_cbranch_execz .LBB4_456
; %bb.449:                              ;   in Loop: Header=BB4_356 Depth=4
	v_lshrrev_b32_e32 v24, 24, v20
	v_bfrev_b32_e32 v27, 1
	s_mov_b32 s73, exec_lo
	s_delay_alu instid0(VALU_DEP_2)
	v_cmpx_ne_u32_e32 0x80, v24
	s_cbranch_execz .LBB4_455
; %bb.450:                              ;   in Loop: Header=BB4_356 Depth=4
	v_bfe_u32 v28, v20, 24, 7
	v_mov_b32_e32 v27, 0x7f800001
	s_mov_b32 s74, exec_lo
	s_delay_alu instid0(VALU_DEP_2)
	v_cmpx_ne_u32_e32 0x7f, v28
	s_cbranch_execz .LBB4_454
; %bb.451:                              ;   in Loop: Header=BB4_356 Depth=4
	v_and_b32_e32 v2, 7, v24
	v_lshrrev_b32_e32 v25, 3, v28
	s_mov_b32 s75, exec_lo
	v_cmpx_gt_u32_e32 8, v28
; %bb.452:                              ;   in Loop: Header=BB4_356 Depth=4
	s_delay_alu instid0(VALU_DEP_3) | instskip(NEXT) | instid1(VALU_DEP_1)
	v_clz_i32_u32_e32 v25, v2
	v_min_u32_e32 v25, 32, v25
	s_delay_alu instid0(VALU_DEP_1) | instskip(NEXT) | instid1(VALU_DEP_1)
	v_subrev_nc_u32_e32 v27, 28, v25
	v_lshlrev_b64_e32 v[28:29], v27, v[2:3]
	s_delay_alu instid0(VALU_DEP_1)
	v_dual_sub_nc_u32 v25, 29, v25 :: v_dual_bitop2_b32 v2, 7, v28 bitop3:0x40
; %bb.453:                              ;   in Loop: Header=BB4_356 Depth=4
	s_or_b32 exec_lo, exec_lo, s75
	s_delay_alu instid0(VALU_DEP_1) | instskip(NEXT) | instid1(VALU_DEP_2)
	v_dual_lshlrev_b32 v24, 24, v24 :: v_dual_lshlrev_b32 v2, 20, v2
	v_lshl_add_u32 v25, v25, 23, 0x3c000000
	s_delay_alu instid0(VALU_DEP_2) | instskip(NEXT) | instid1(VALU_DEP_1)
	v_and_b32_e32 v24, 0x80000000, v24
	v_or3_b32 v27, v2, v24, v25
.LBB4_454:                              ;   in Loop: Header=BB4_356 Depth=4
	s_or_b32 exec_lo, exec_lo, s74
.LBB4_455:                              ;   in Loop: Header=BB4_356 Depth=4
	s_delay_alu instid0(SALU_CYCLE_1)
	s_or_b32 exec_lo, exec_lo, s73
.LBB4_456:                              ;   in Loop: Header=BB4_356 Depth=4
	s_delay_alu instid0(SALU_CYCLE_1) | instskip(NEXT) | instid1(SALU_CYCLE_1)
	s_or_b32 exec_lo, exec_lo, s13
	s_mov_b32 s13, exec_lo
	v_cmpx_lt_u32_e32 0xffffff, v16
	s_cbranch_execz .LBB4_464
; %bb.457:                              ;   in Loop: Header=BB4_356 Depth=4
	v_lshrrev_b32_e32 v24, 24, v16
	v_bfrev_b32_e32 v26, 1
	s_mov_b32 s73, exec_lo
	s_delay_alu instid0(VALU_DEP_2)
	v_cmpx_ne_u32_e32 0x80, v24
	s_cbranch_execz .LBB4_463
; %bb.458:                              ;   in Loop: Header=BB4_356 Depth=4
	v_bfe_u32 v28, v16, 24, 7
	v_mov_b32_e32 v26, 0x7f800001
	s_mov_b32 s74, exec_lo
	s_delay_alu instid0(VALU_DEP_2)
	v_cmpx_ne_u32_e32 0x7f, v28
	s_cbranch_execz .LBB4_462
; %bb.459:                              ;   in Loop: Header=BB4_356 Depth=4
	v_and_b32_e32 v2, 7, v24
	v_lshrrev_b32_e32 v25, 3, v28
	s_mov_b32 s75, exec_lo
	v_cmpx_gt_u32_e32 8, v28
; %bb.460:                              ;   in Loop: Header=BB4_356 Depth=4
	s_delay_alu instid0(VALU_DEP_3) | instskip(NEXT) | instid1(VALU_DEP_1)
	v_clz_i32_u32_e32 v25, v2
	v_min_u32_e32 v25, 32, v25
	s_delay_alu instid0(VALU_DEP_1) | instskip(NEXT) | instid1(VALU_DEP_1)
	v_subrev_nc_u32_e32 v26, 28, v25
	v_lshlrev_b64_e32 v[28:29], v26, v[2:3]
	s_delay_alu instid0(VALU_DEP_1)
	v_dual_sub_nc_u32 v25, 29, v25 :: v_dual_bitop2_b32 v2, 7, v28 bitop3:0x40
; %bb.461:                              ;   in Loop: Header=BB4_356 Depth=4
	s_or_b32 exec_lo, exec_lo, s75
	s_delay_alu instid0(VALU_DEP_1) | instskip(NEXT) | instid1(VALU_DEP_2)
	v_dual_lshlrev_b32 v24, 24, v24 :: v_dual_lshlrev_b32 v2, 20, v2
	v_lshl_add_u32 v25, v25, 23, 0x3c000000
	s_delay_alu instid0(VALU_DEP_2) | instskip(NEXT) | instid1(VALU_DEP_1)
	v_and_b32_e32 v24, 0x80000000, v24
	v_or3_b32 v26, v2, v24, v25
.LBB4_462:                              ;   in Loop: Header=BB4_356 Depth=4
	s_or_b32 exec_lo, exec_lo, s74
.LBB4_463:                              ;   in Loop: Header=BB4_356 Depth=4
	s_delay_alu instid0(SALU_CYCLE_1)
	s_or_b32 exec_lo, exec_lo, s73
.LBB4_464:                              ;   in Loop: Header=BB4_356 Depth=4
	s_delay_alu instid0(SALU_CYCLE_1) | instskip(NEXT) | instid1(VALU_DEP_1)
	s_or_b32 exec_lo, exec_lo, s13
	v_add_f32_e32 v24, v27, v26
                                        ; implicit-def: $vgpr104
	s_mov_b32 s13, exec_lo
	s_delay_alu instid0(VALU_DEP_1) | instskip(SKIP_1) | instid1(VALU_DEP_2)
	v_and_b32_e32 v2, 0x7f800000, v24
	v_lshrrev_b32_e32 v25, 24, v24
	v_cmpx_ne_u64_e32 0x7f800000, v[2:3]
	s_xor_b32 s73, exec_lo, s13
	s_cbranch_execz .LBB4_478
; %bb.465:                              ;   in Loop: Header=BB4_356 Depth=4
	v_and_b32_e32 v2, 0x7fffffff, v24
	v_and_b32_e32 v26, 0x80, v25
                                        ; implicit-def: $vgpr104
	s_mov_b32 s13, exec_lo
	s_delay_alu instid0(VALU_DEP_2)
	v_cmpx_gt_u64_e32 0x43e00001, v[2:3]
	s_xor_b32 s74, exec_lo, s13
	s_cbranch_execz .LBB4_475
; %bb.466:                              ;   in Loop: Header=BB4_356 Depth=4
	v_mov_b32_e32 v104, 0
	s_mov_b32 s75, exec_lo
	v_cmpx_ne_u32_e32 0, v24
	s_cbranch_execz .LBB4_474
; %bb.467:                              ;   in Loop: Header=BB4_356 Depth=4
	v_bfe_u32 v25, v24, 23, 8
	s_mov_b32 s76, exec_lo
	s_delay_alu instid0(VALU_DEP_1) | instskip(SKIP_1) | instid1(VALU_DEP_2)
	v_sub_nc_u32_e32 v2, 0x79, v25
	v_cmp_gt_u32_e32 vcc_lo, 0x7a, v25
	v_cndmask_b32_e32 v2, 0, v2, vcc_lo
	v_cmp_eq_u32_e32 vcc_lo, 0, v25
	s_delay_alu instid0(VALU_DEP_2) | instskip(SKIP_1) | instid1(VALU_DEP_2)
	v_cndmask_b32_e64 v27, v2, 0x78, vcc_lo
	v_and_b32_e32 v2, 0x7fffff, v24
	v_add_nc_u32_e32 v24, 20, v27
	s_delay_alu instid0(VALU_DEP_2) | instskip(NEXT) | instid1(VALU_DEP_2)
	v_or_b32_e32 v68, 0x800000, v2
	v_lshlrev_b64_e64 v[28:29], v24, -1
	s_delay_alu instid0(VALU_DEP_2) | instskip(NEXT) | instid1(VALU_DEP_1)
	v_dual_add_nc_u32 v24, 19, v27 :: v_dual_cndmask_b32 v2, v68, v2, vcc_lo
	v_lshlrev_b64_e64 v[68:69], v24, 1
	s_delay_alu instid0(VALU_DEP_2) | instskip(NEXT) | instid1(VALU_DEP_4)
	v_lshrrev_b64 v[72:73], v27, v[2:3]
	v_bfi_b32 v29, v29, 0, 0
	v_bfi_b32 v28, v28, 0, v2
	s_delay_alu instid0(VALU_DEP_3) | instskip(NEXT) | instid1(VALU_DEP_2)
	v_mov_b64_e32 v[74:75], v[72:73]
	v_cmpx_eq_u64_e64 v[28:29], v[68:69]
; %bb.468:                              ;   in Loop: Header=BB4_356 Depth=4
	v_bfe_u32 v2, v72, 20, 1
	s_delay_alu instid0(VALU_DEP_1) | instskip(NEXT) | instid1(VALU_DEP_1)
	v_add_nc_u64_e32 v[28:29], v[72:73], v[2:3]
	v_add_nc_u64_e32 v[74:75], -1, v[28:29]
; %bb.469:                              ;   in Loop: Header=BB4_356 Depth=4
	s_or_b32 exec_lo, exec_lo, s76
	v_add_nc_u32_e32 v2, 0xffffff81, v25
	v_lshrrev_b32_e32 v24, 23, v72
	s_mov_b32 s13, exec_lo
	s_delay_alu instid0(VALU_DEP_2) | instskip(NEXT) | instid1(VALU_DEP_1)
	v_cndmask_b32_e64 v2, v2, 0xffffff82, vcc_lo
	v_add3_u32 v25, v27, v2, v24
	v_and_b32_e32 v2, 0xfffff, v74
                                        ; implicit-def: $vgpr24
	s_delay_alu instid0(VALU_DEP_1) | instskip(NEXT) | instid1(VALU_DEP_1)
	v_dual_add_nc_u32 v27, 6, v25 :: v_dual_add_nc_u32 v2, v2, v72
                                        ; implicit-def: $vgpr72_vgpr73
	v_cmpx_ne_u32_e32 0, v27
	s_xor_b32 s13, exec_lo, s13
; %bb.470:                              ;   in Loop: Header=BB4_356 Depth=4
	s_delay_alu instid0(VALU_DEP_2) | instskip(SKIP_2) | instid1(VALU_DEP_2)
	v_cmp_lt_u64_e32 vcc_lo, 0xffffff, v[2:3]
	v_add_nc_u32_e32 v24, 7, v25
	v_cndmask_b32_e64 v25, 0, 1, vcc_lo
	v_cndmask_b32_e32 v24, v27, v24, vcc_lo
	s_delay_alu instid0(VALU_DEP_2)
	v_lshrrev_b64 v[72:73], v25, v[2:3]
; %bb.471:                              ;   in Loop: Header=BB4_356 Depth=4
	s_and_not1_saveexec_b32 s13, s13
; %bb.472:                              ;   in Loop: Header=BB4_356 Depth=4
	v_mov_b64_e32 v[72:73], v[2:3]
	v_bfe_u32 v24, v2, 23, 1
; %bb.473:                              ;   in Loop: Header=BB4_356 Depth=4
	s_or_b32 exec_lo, exec_lo, s13
	s_delay_alu instid0(VALU_DEP_2) | instskip(NEXT) | instid1(VALU_DEP_2)
	v_lshrrev_b64 v[28:29], 20, v[72:73]
	v_cmp_gt_i32_e32 vcc_lo, 16, v24
	v_min_i32_e32 v2, 15, v24
	v_cmp_eq_u32_e64 s13, 0, v24
	s_delay_alu instid0(VALU_DEP_2) | instskip(SKIP_1) | instid1(VALU_DEP_2)
	v_dual_cndmask_b32 v29, 0, v29 :: v_dual_lshlrev_b32 v2, 3, v2
	v_cndmask_b32_e32 v28, 7, v28, vcc_lo
	v_and_b32_e32 v2, 0xf8, v2
	s_delay_alu instid0(VALU_DEP_2) | instskip(NEXT) | instid1(VALU_DEP_2)
	v_cmp_eq_u64_e32 vcc_lo, 0, v[28:29]
	v_and_or_b32 v2, v28, 7, v2
	s_and_b32 s13, s13, vcc_lo
	s_delay_alu instid0(VALU_DEP_1) | instid1(SALU_CYCLE_1)
	v_cndmask_b32_e64 v2, v2, 0, s13
	s_delay_alu instid0(VALU_DEP_1)
	v_or_b32_e32 v104, v2, v26
.LBB4_474:                              ;   in Loop: Header=BB4_356 Depth=4
	s_or_b32 exec_lo, exec_lo, s75
                                        ; implicit-def: $vgpr26
.LBB4_475:                              ;   in Loop: Header=BB4_356 Depth=4
	s_and_not1_saveexec_b32 s13, s74
; %bb.476:                              ;   in Loop: Header=BB4_356 Depth=4
	v_or_b32_e32 v104, 0x7e, v26
; %bb.477:                              ;   in Loop: Header=BB4_356 Depth=4
	s_or_b32 exec_lo, exec_lo, s13
                                        ; implicit-def: $vgpr25
.LBB4_478:                              ;   in Loop: Header=BB4_356 Depth=4
	s_and_not1_saveexec_b32 s13, s73
; %bb.479:                              ;   in Loop: Header=BB4_356 Depth=4
	v_or_b32_e32 v104, 0x7f, v25
; %bb.480:                              ;   in Loop: Header=BB4_356 Depth=4
	s_or_b32 exec_lo, exec_lo, s13
	v_and_b32_e32 v24, 0xff, v21
	v_dual_mov_b32 v2, v21 :: v_dual_mov_b32 v27, 0
	v_mov_b32_e32 v26, 0
	s_mov_b32 s13, exec_lo
	s_delay_alu instid0(VALU_DEP_3)
	v_cmpx_ne_u16_e32 0, v24
	s_cbranch_execz .LBB4_486
; %bb.481:                              ;   in Loop: Header=BB4_356 Depth=4
	v_bfrev_b32_e32 v26, 1
	s_mov_b32 s73, exec_lo
	v_cmpx_ne_u16_e32 0x80, v24
	s_cbranch_execz .LBB4_485
; %bb.482:                              ;   in Loop: Header=BB4_356 Depth=4
	v_and_b32_e32 v24, 0x7f, v21
	v_mov_b32_e32 v26, 0x7f800001
	s_mov_b32 s74, exec_lo
	s_delay_alu instid0(VALU_DEP_2)
	v_cmpx_ne_u32_e32 0x7f, v24
	s_cbranch_execz .LBB4_484
; %bb.483:                              ;   in Loop: Header=BB4_356 Depth=4
	v_dual_lshrrev_b32 v26, 3, v24 :: v_dual_bitop2_b32 v25, 7, v21 bitop3:0x40
	v_cmp_gt_u32_e32 vcc_lo, 8, v24
	s_delay_alu instid0(VALU_DEP_2) | instskip(NEXT) | instid1(VALU_DEP_1)
	v_clz_i32_u32_e32 v25, v25
	v_min_u32_e32 v25, 32, v25
	s_delay_alu instid0(VALU_DEP_1) | instskip(NEXT) | instid1(VALU_DEP_1)
	v_subrev_nc_u32_e32 v28, 28, v25
	v_dual_cndmask_b32 v24, 0, v28 :: v_dual_sub_nc_u32 v25, 29, v25
	s_delay_alu instid0(VALU_DEP_1) | instskip(NEXT) | instid1(VALU_DEP_2)
	v_cndmask_b32_e32 v26, v26, v25, vcc_lo
	v_lshlrev_b64_e32 v[24:25], v24, v[2:3]
	v_lshlrev_b32_e32 v25, 24, v2
	s_delay_alu instid0(VALU_DEP_3) | instskip(NEXT) | instid1(VALU_DEP_2)
	v_lshl_add_u32 v26, v26, 23, 0x3c000000
	v_and_b32_e32 v25, 0x80000000, v25
	s_delay_alu instid0(VALU_DEP_4) | instskip(NEXT) | instid1(VALU_DEP_1)
	v_lshlrev_b32_e32 v24, 20, v24
	v_and_b32_e32 v24, 0x700000, v24
	s_delay_alu instid0(VALU_DEP_1)
	v_or3_b32 v26, v24, v25, v26
.LBB4_484:                              ;   in Loop: Header=BB4_356 Depth=4
	s_or_b32 exec_lo, exec_lo, s74
.LBB4_485:                              ;   in Loop: Header=BB4_356 Depth=4
	s_delay_alu instid0(SALU_CYCLE_1)
	s_or_b32 exec_lo, exec_lo, s73
.LBB4_486:                              ;   in Loop: Header=BB4_356 Depth=4
	s_delay_alu instid0(SALU_CYCLE_1) | instskip(SKIP_2) | instid1(VALU_DEP_1)
	s_or_b32 exec_lo, exec_lo, s13
	v_and_b32_e32 v24, 0xff, v17
	s_mov_b32 s13, exec_lo
	v_cmpx_ne_u16_e32 0, v24
	s_cbranch_execz .LBB4_492
; %bb.487:                              ;   in Loop: Header=BB4_356 Depth=4
	v_bfrev_b32_e32 v27, 1
	s_mov_b32 s73, exec_lo
	v_cmpx_ne_u16_e32 0x80, v24
	s_cbranch_execz .LBB4_491
; %bb.488:                              ;   in Loop: Header=BB4_356 Depth=4
	v_and_b32_e32 v24, 0x7f, v17
	v_mov_b32_e32 v27, 0x7f800001
	s_mov_b32 s74, exec_lo
	s_delay_alu instid0(VALU_DEP_2)
	v_cmpx_ne_u32_e32 0x7f, v24
	s_cbranch_execz .LBB4_490
; %bb.489:                              ;   in Loop: Header=BB4_356 Depth=4
	v_dual_lshrrev_b32 v27, 3, v24 :: v_dual_bitop2_b32 v25, 7, v17 bitop3:0x40
	v_cmp_gt_u32_e32 vcc_lo, 8, v24
	v_mov_b32_e32 v24, v17
	s_delay_alu instid0(VALU_DEP_3) | instskip(NEXT) | instid1(VALU_DEP_1)
	v_clz_i32_u32_e32 v25, v25
	v_min_u32_e32 v25, 32, v25
	s_delay_alu instid0(VALU_DEP_1) | instskip(SKIP_2) | instid1(VALU_DEP_2)
	v_sub_nc_u32_e32 v28, 29, v25
	v_subrev_nc_u32_e32 v29, 28, v25
	v_mov_b32_e32 v25, v3
	v_dual_cndmask_b32 v27, v27, v28 :: v_dual_cndmask_b32 v28, 0, v29
	s_delay_alu instid0(VALU_DEP_1) | instskip(SKIP_1) | instid1(VALU_DEP_1)
	v_lshlrev_b64_e32 v[28:29], v28, v[24:25]
	v_lshlrev_b32_e32 v24, 24, v24
	v_and_b32_e32 v24, 0x80000000, v24
	s_delay_alu instid0(VALU_DEP_3) | instskip(SKIP_1) | instid1(VALU_DEP_2)
	v_lshlrev_b32_e32 v25, 20, v28
	v_lshl_add_u32 v27, v27, 23, 0x3c000000
	v_and_b32_e32 v25, 0x700000, v25
	s_delay_alu instid0(VALU_DEP_1)
	v_or3_b32 v27, v25, v24, v27
.LBB4_490:                              ;   in Loop: Header=BB4_356 Depth=4
	s_or_b32 exec_lo, exec_lo, s74
.LBB4_491:                              ;   in Loop: Header=BB4_356 Depth=4
	s_delay_alu instid0(SALU_CYCLE_1)
	s_or_b32 exec_lo, exec_lo, s73
.LBB4_492:                              ;   in Loop: Header=BB4_356 Depth=4
	s_delay_alu instid0(SALU_CYCLE_1) | instskip(NEXT) | instid1(VALU_DEP_1)
	s_or_b32 exec_lo, exec_lo, s13
	v_dual_add_f32 v24, v26, v27 :: v_dual_mov_b32 v27, v3
                                        ; implicit-def: $vgpr105
	s_mov_b32 s13, exec_lo
	s_delay_alu instid0(VALU_DEP_1) | instskip(SKIP_1) | instid1(VALU_DEP_2)
	v_and_b32_e32 v26, 0x7f800000, v24
	v_lshrrev_b32_e32 v25, 24, v24
	v_cmpx_ne_u64_e32 0x7f800000, v[26:27]
	s_xor_b32 s73, exec_lo, s13
	s_cbranch_execz .LBB4_506
; %bb.493:                              ;   in Loop: Header=BB4_356 Depth=4
	v_and_b32_e32 v26, 0x7fffffff, v24
	v_mov_b32_e32 v27, v3
                                        ; implicit-def: $vgpr105
	s_delay_alu instid0(VALU_DEP_1) | instskip(SKIP_2) | instid1(SALU_CYCLE_1)
	v_cmp_gt_u64_e32 vcc_lo, 0x43e00001, v[26:27]
	v_and_b32_e32 v26, 0x80, v25
	s_and_saveexec_b32 s13, vcc_lo
	s_xor_b32 s74, exec_lo, s13
	s_cbranch_execz .LBB4_503
; %bb.494:                              ;   in Loop: Header=BB4_356 Depth=4
	v_mov_b32_e32 v105, 0
	s_mov_b32 s75, exec_lo
	v_cmpx_ne_u32_e32 0, v24
	s_cbranch_execz .LBB4_502
; %bb.495:                              ;   in Loop: Header=BB4_356 Depth=4
	v_bfe_u32 v25, v24, 23, 8
	v_and_b32_e32 v24, 0x7fffff, v24
	v_mov_b32_e32 v69, v3
	s_delay_alu instid0(VALU_DEP_3) | instskip(NEXT) | instid1(VALU_DEP_3)
	v_cmp_gt_u32_e32 vcc_lo, 0x7a, v25
	v_or_b32_e32 v68, 0x800000, v24
	v_sub_nc_u32_e32 v27, 0x79, v25
	s_delay_alu instid0(VALU_DEP_1) | instskip(SKIP_1) | instid1(VALU_DEP_2)
	v_cndmask_b32_e32 v27, 0, v27, vcc_lo
	v_cmp_eq_u32_e32 vcc_lo, 0, v25
	v_cndmask_b32_e64 v27, v27, 0x78, vcc_lo
	s_delay_alu instid0(VALU_DEP_1) | instskip(SKIP_1) | instid1(VALU_DEP_2)
	v_dual_cndmask_b32 v68, v68, v24, vcc_lo :: v_dual_add_nc_u32 v28, 20, v27
	v_add_nc_u32_e32 v72, 19, v27
	v_lshlrev_b64_e64 v[28:29], v28, -1
	s_delay_alu instid0(VALU_DEP_2) | instskip(NEXT) | instid1(VALU_DEP_4)
	v_lshlrev_b64_e64 v[74:75], v72, 1
	v_lshrrev_b64 v[72:73], v27, v[68:69]
	s_delay_alu instid0(VALU_DEP_3) | instskip(NEXT) | instid1(VALU_DEP_4)
	v_bfi_b32 v29, v29, 0, 0
	v_bfi_b32 v28, v28, 0, v68
	s_delay_alu instid0(VALU_DEP_1) | instskip(NEXT) | instid1(VALU_DEP_4)
	v_cmp_eq_u64_e64 s13, v[28:29], v[74:75]
	v_mov_b64_e32 v[74:75], v[72:73]
	s_and_saveexec_b32 s76, s13
; %bb.496:                              ;   in Loop: Header=BB4_356 Depth=4
	v_bfe_u32 v28, v72, 20, 1
	v_mov_b32_e32 v29, v3
	s_delay_alu instid0(VALU_DEP_1) | instskip(NEXT) | instid1(VALU_DEP_1)
	v_add_nc_u64_e32 v[28:29], v[72:73], v[28:29]
	v_add_nc_u64_e32 v[74:75], -1, v[28:29]
; %bb.497:                              ;   in Loop: Header=BB4_356 Depth=4
	s_or_b32 exec_lo, exec_lo, s76
	v_dual_mov_b32 v73, v3 :: v_dual_add_nc_u32 v24, 0xffffff81, v25
	v_lshrrev_b32_e32 v25, 23, v72
	s_mov_b32 s13, exec_lo
	s_delay_alu instid0(VALU_DEP_2) | instskip(NEXT) | instid1(VALU_DEP_1)
	v_cndmask_b32_e64 v24, v24, 0xffffff82, vcc_lo
	v_add3_u32 v25, v27, v24, v25
	v_and_b32_e32 v24, 0xfffff, v74
	s_delay_alu instid0(VALU_DEP_1) | instskip(NEXT) | instid1(VALU_DEP_1)
	v_dual_add_nc_u32 v27, 6, v25 :: v_dual_add_nc_u32 v72, v24, v72
                                        ; implicit-def: $vgpr24
	v_cmpx_ne_u32_e32 0, v27
	s_xor_b32 s13, exec_lo, s13
; %bb.498:                              ;   in Loop: Header=BB4_356 Depth=4
	s_delay_alu instid0(VALU_DEP_2) | instskip(SKIP_2) | instid1(VALU_DEP_2)
	v_cmp_lt_u64_e32 vcc_lo, 0xffffff, v[72:73]
	v_add_nc_u32_e32 v24, 7, v25
	v_cndmask_b32_e64 v25, 0, 1, vcc_lo
	v_cndmask_b32_e32 v24, v27, v24, vcc_lo
	s_delay_alu instid0(VALU_DEP_2)
	v_lshrrev_b64 v[72:73], v25, v[72:73]
; %bb.499:                              ;   in Loop: Header=BB4_356 Depth=4
	s_and_not1_saveexec_b32 s13, s13
; %bb.500:                              ;   in Loop: Header=BB4_356 Depth=4
	s_delay_alu instid0(VALU_DEP_1)
	v_bfe_u32 v24, v72, 23, 1
; %bb.501:                              ;   in Loop: Header=BB4_356 Depth=4
	s_or_b32 exec_lo, exec_lo, s13
	s_delay_alu instid0(VALU_DEP_2) | instskip(NEXT) | instid1(VALU_DEP_2)
	v_lshrrev_b64 v[28:29], 20, v[72:73]
	v_cmp_gt_i32_e32 vcc_lo, 16, v24
	v_min_i32_e32 v25, 15, v24
	v_cmp_eq_u32_e64 s13, 0, v24
	s_delay_alu instid0(VALU_DEP_4) | instskip(NEXT) | instid1(VALU_DEP_3)
	v_cndmask_b32_e32 v29, 0, v29, vcc_lo
	v_dual_cndmask_b32 v28, 7, v28 :: v_dual_lshlrev_b32 v25, 3, v25
	s_delay_alu instid0(VALU_DEP_1) | instskip(NEXT) | instid1(VALU_DEP_2)
	v_and_b32_e32 v25, 0xf8, v25
	v_cmp_eq_u64_e32 vcc_lo, 0, v[28:29]
	s_delay_alu instid0(VALU_DEP_2)
	v_and_or_b32 v24, v28, 7, v25
	s_and_b32 s13, s13, vcc_lo
	s_delay_alu instid0(VALU_DEP_1) | instid1(SALU_CYCLE_1)
	v_cndmask_b32_e64 v24, v24, 0, s13
	s_delay_alu instid0(VALU_DEP_1)
	v_or_b32_e32 v105, v24, v26
.LBB4_502:                              ;   in Loop: Header=BB4_356 Depth=4
	s_or_b32 exec_lo, exec_lo, s75
                                        ; implicit-def: $vgpr26
.LBB4_503:                              ;   in Loop: Header=BB4_356 Depth=4
	s_and_not1_saveexec_b32 s13, s74
; %bb.504:                              ;   in Loop: Header=BB4_356 Depth=4
	v_or_b32_e32 v105, 0x7e, v26
; %bb.505:                              ;   in Loop: Header=BB4_356 Depth=4
	s_or_b32 exec_lo, exec_lo, s13
                                        ; implicit-def: $vgpr25
.LBB4_506:                              ;   in Loop: Header=BB4_356 Depth=4
	s_and_not1_saveexec_b32 s13, s73
; %bb.507:                              ;   in Loop: Header=BB4_356 Depth=4
	v_or_b32_e32 v105, 0x7f, v25
; %bb.508:                              ;   in Loop: Header=BB4_356 Depth=4
	s_or_b32 exec_lo, exec_lo, s13
	v_lshrrev_b16 v24, 8, v2
	v_dual_mov_b32 v26, 0 :: v_dual_mov_b32 v27, 0
	s_mov_b32 s13, exec_lo
	s_delay_alu instid0(VALU_DEP_2)
	v_cmpx_ne_u16_e32 0, v24
	s_cbranch_execz .LBB4_516
; %bb.509:                              ;   in Loop: Header=BB4_356 Depth=4
	v_bfrev_b32_e32 v27, 1
	s_mov_b32 s73, exec_lo
	v_cmpx_ne_u16_e32 0x80, v24
	s_cbranch_execz .LBB4_515
; %bb.510:                              ;   in Loop: Header=BB4_356 Depth=4
	v_and_b32_e32 v24, 0xffff, v24
	v_mov_b32_e32 v27, 0x7f800001
	s_mov_b32 s74, exec_lo
	s_delay_alu instid0(VALU_DEP_2) | instskip(NEXT) | instid1(VALU_DEP_1)
	v_and_b32_e32 v25, 0x7f, v24
	v_cmpx_ne_u32_e32 0x7f, v25
	s_cbranch_execz .LBB4_514
; %bb.511:                              ;   in Loop: Header=BB4_356 Depth=4
	v_dual_mov_b32 v73, v3 :: v_dual_bitop2_b32 v72, 7, v24 bitop3:0x40
	v_lshrrev_b32_e32 v24, 3, v25
	s_mov_b32 s75, exec_lo
	v_cmpx_gt_u32_e32 8, v25
; %bb.512:                              ;   in Loop: Header=BB4_356 Depth=4
	s_delay_alu instid0(VALU_DEP_3) | instskip(NEXT) | instid1(VALU_DEP_1)
	v_clz_i32_u32_e32 v24, v72
	v_min_u32_e32 v24, 32, v24
	s_delay_alu instid0(VALU_DEP_1) | instskip(SKIP_1) | instid1(VALU_DEP_2)
	v_subrev_nc_u32_e32 v25, 28, v24
	v_sub_nc_u32_e32 v24, 29, v24
	v_lshlrev_b64_e32 v[28:29], v25, v[72:73]
	s_delay_alu instid0(VALU_DEP_1)
	v_and_b32_e32 v72, 7, v28
; %bb.513:                              ;   in Loop: Header=BB4_356 Depth=4
	s_or_b32 exec_lo, exec_lo, s75
	s_delay_alu instid0(VALU_DEP_1) | instskip(SKIP_1) | instid1(VALU_DEP_2)
	v_dual_lshlrev_b32 v2, 16, v2 :: v_dual_lshlrev_b32 v25, 20, v72
	v_lshl_add_u32 v24, v24, 23, 0x3c000000
	v_and_b32_e32 v2, 0x80000000, v2
	s_delay_alu instid0(VALU_DEP_1)
	v_or3_b32 v27, v25, v2, v24
.LBB4_514:                              ;   in Loop: Header=BB4_356 Depth=4
	s_or_b32 exec_lo, exec_lo, s74
.LBB4_515:                              ;   in Loop: Header=BB4_356 Depth=4
	s_delay_alu instid0(SALU_CYCLE_1)
	s_or_b32 exec_lo, exec_lo, s73
.LBB4_516:                              ;   in Loop: Header=BB4_356 Depth=4
	s_delay_alu instid0(SALU_CYCLE_1) | instskip(SKIP_2) | instid1(VALU_DEP_1)
	s_or_b32 exec_lo, exec_lo, s13
	v_lshrrev_b16 v2, 8, v17
	s_mov_b32 s13, exec_lo
	v_cmpx_ne_u16_e32 0, v2
	s_cbranch_execz .LBB4_524
; %bb.517:                              ;   in Loop: Header=BB4_356 Depth=4
	v_bfrev_b32_e32 v26, 1
	s_mov_b32 s73, exec_lo
	v_cmpx_ne_u16_e32 0x80, v2
	s_cbranch_execz .LBB4_523
; %bb.518:                              ;   in Loop: Header=BB4_356 Depth=4
	v_and_b32_e32 v2, 0xffff, v2
	v_mov_b32_e32 v26, 0x7f800001
	s_mov_b32 s74, exec_lo
	s_delay_alu instid0(VALU_DEP_2) | instskip(NEXT) | instid1(VALU_DEP_1)
	v_and_b32_e32 v25, 0x7f, v2
	v_cmpx_ne_u32_e32 0x7f, v25
	s_cbranch_execz .LBB4_522
; %bb.519:                              ;   in Loop: Header=BB4_356 Depth=4
	v_dual_lshrrev_b32 v24, 3, v25 :: v_dual_bitop2_b32 v2, 7, v2 bitop3:0x40
	s_mov_b32 s75, exec_lo
	v_cmpx_gt_u32_e32 8, v25
; %bb.520:                              ;   in Loop: Header=BB4_356 Depth=4
	s_delay_alu instid0(VALU_DEP_2) | instskip(NEXT) | instid1(VALU_DEP_1)
	v_clz_i32_u32_e32 v24, v2
	v_min_u32_e32 v24, 32, v24
	s_delay_alu instid0(VALU_DEP_1) | instskip(SKIP_1) | instid1(VALU_DEP_2)
	v_subrev_nc_u32_e32 v25, 28, v24
	v_sub_nc_u32_e32 v24, 29, v24
	v_lshlrev_b64_e32 v[28:29], v25, v[2:3]
	s_delay_alu instid0(VALU_DEP_1)
	v_and_b32_e32 v2, 7, v28
; %bb.521:                              ;   in Loop: Header=BB4_356 Depth=4
	s_or_b32 exec_lo, exec_lo, s75
	s_delay_alu instid0(VALU_DEP_1) | instskip(SKIP_1) | instid1(VALU_DEP_2)
	v_dual_lshlrev_b32 v25, 16, v17 :: v_dual_lshlrev_b32 v2, 20, v2
	v_lshl_add_u32 v24, v24, 23, 0x3c000000
	v_and_b32_e32 v25, 0x80000000, v25
	s_delay_alu instid0(VALU_DEP_1)
	v_or3_b32 v26, v2, v25, v24
.LBB4_522:                              ;   in Loop: Header=BB4_356 Depth=4
	s_or_b32 exec_lo, exec_lo, s74
.LBB4_523:                              ;   in Loop: Header=BB4_356 Depth=4
	s_delay_alu instid0(SALU_CYCLE_1)
	s_or_b32 exec_lo, exec_lo, s73
.LBB4_524:                              ;   in Loop: Header=BB4_356 Depth=4
	s_delay_alu instid0(SALU_CYCLE_1) | instskip(NEXT) | instid1(VALU_DEP_1)
	s_or_b32 exec_lo, exec_lo, s13
	v_add_f32_e32 v24, v27, v26
                                        ; implicit-def: $vgpr106
	s_mov_b32 s13, exec_lo
	s_delay_alu instid0(VALU_DEP_1) | instskip(SKIP_1) | instid1(VALU_DEP_2)
	v_and_b32_e32 v2, 0x7f800000, v24
	v_lshrrev_b32_e32 v25, 24, v24
	v_cmpx_ne_u64_e32 0x7f800000, v[2:3]
	s_xor_b32 s73, exec_lo, s13
	s_cbranch_execz .LBB4_538
; %bb.525:                              ;   in Loop: Header=BB4_356 Depth=4
	v_and_b32_e32 v2, 0x7fffffff, v24
	v_and_b32_e32 v26, 0x80, v25
                                        ; implicit-def: $vgpr106
	s_mov_b32 s13, exec_lo
	s_delay_alu instid0(VALU_DEP_2)
	v_cmpx_gt_u64_e32 0x43e00001, v[2:3]
	s_xor_b32 s74, exec_lo, s13
	s_cbranch_execz .LBB4_535
; %bb.526:                              ;   in Loop: Header=BB4_356 Depth=4
	v_mov_b32_e32 v106, 0
	s_mov_b32 s75, exec_lo
	v_cmpx_ne_u32_e32 0, v24
	s_cbranch_execz .LBB4_534
; %bb.527:                              ;   in Loop: Header=BB4_356 Depth=4
	v_bfe_u32 v25, v24, 23, 8
	s_mov_b32 s76, exec_lo
	s_delay_alu instid0(VALU_DEP_1) | instskip(SKIP_1) | instid1(VALU_DEP_2)
	v_sub_nc_u32_e32 v2, 0x79, v25
	v_cmp_gt_u32_e32 vcc_lo, 0x7a, v25
	v_cndmask_b32_e32 v2, 0, v2, vcc_lo
	v_cmp_eq_u32_e32 vcc_lo, 0, v25
	s_delay_alu instid0(VALU_DEP_2) | instskip(SKIP_1) | instid1(VALU_DEP_2)
	v_cndmask_b32_e64 v27, v2, 0x78, vcc_lo
	v_and_b32_e32 v2, 0x7fffff, v24
	v_add_nc_u32_e32 v24, 20, v27
	s_delay_alu instid0(VALU_DEP_2) | instskip(NEXT) | instid1(VALU_DEP_2)
	v_or_b32_e32 v68, 0x800000, v2
	v_lshlrev_b64_e64 v[28:29], v24, -1
	s_delay_alu instid0(VALU_DEP_2) | instskip(NEXT) | instid1(VALU_DEP_1)
	v_dual_add_nc_u32 v24, 19, v27 :: v_dual_cndmask_b32 v2, v68, v2, vcc_lo
	v_lshlrev_b64_e64 v[68:69], v24, 1
	s_delay_alu instid0(VALU_DEP_2) | instskip(NEXT) | instid1(VALU_DEP_4)
	v_lshrrev_b64 v[72:73], v27, v[2:3]
	v_bfi_b32 v29, v29, 0, 0
	v_bfi_b32 v28, v28, 0, v2
	s_delay_alu instid0(VALU_DEP_3) | instskip(NEXT) | instid1(VALU_DEP_2)
	v_mov_b64_e32 v[74:75], v[72:73]
	v_cmpx_eq_u64_e64 v[28:29], v[68:69]
; %bb.528:                              ;   in Loop: Header=BB4_356 Depth=4
	v_bfe_u32 v2, v72, 20, 1
	s_delay_alu instid0(VALU_DEP_1) | instskip(NEXT) | instid1(VALU_DEP_1)
	v_add_nc_u64_e32 v[28:29], v[72:73], v[2:3]
	v_add_nc_u64_e32 v[74:75], -1, v[28:29]
; %bb.529:                              ;   in Loop: Header=BB4_356 Depth=4
	s_or_b32 exec_lo, exec_lo, s76
	v_add_nc_u32_e32 v2, 0xffffff81, v25
	v_lshrrev_b32_e32 v24, 23, v72
	s_mov_b32 s13, exec_lo
	s_delay_alu instid0(VALU_DEP_2) | instskip(NEXT) | instid1(VALU_DEP_1)
	v_cndmask_b32_e64 v2, v2, 0xffffff82, vcc_lo
	v_add3_u32 v25, v27, v2, v24
	v_and_b32_e32 v2, 0xfffff, v74
                                        ; implicit-def: $vgpr24
	s_delay_alu instid0(VALU_DEP_1) | instskip(NEXT) | instid1(VALU_DEP_1)
	v_dual_add_nc_u32 v27, 6, v25 :: v_dual_add_nc_u32 v2, v2, v72
                                        ; implicit-def: $vgpr72_vgpr73
	v_cmpx_ne_u32_e32 0, v27
	s_xor_b32 s13, exec_lo, s13
; %bb.530:                              ;   in Loop: Header=BB4_356 Depth=4
	s_delay_alu instid0(VALU_DEP_2) | instskip(SKIP_2) | instid1(VALU_DEP_2)
	v_cmp_lt_u64_e32 vcc_lo, 0xffffff, v[2:3]
	v_add_nc_u32_e32 v24, 7, v25
	v_cndmask_b32_e64 v25, 0, 1, vcc_lo
	v_cndmask_b32_e32 v24, v27, v24, vcc_lo
	s_delay_alu instid0(VALU_DEP_2)
	v_lshrrev_b64 v[72:73], v25, v[2:3]
; %bb.531:                              ;   in Loop: Header=BB4_356 Depth=4
	s_and_not1_saveexec_b32 s13, s13
; %bb.532:                              ;   in Loop: Header=BB4_356 Depth=4
	v_mov_b64_e32 v[72:73], v[2:3]
	v_bfe_u32 v24, v2, 23, 1
; %bb.533:                              ;   in Loop: Header=BB4_356 Depth=4
	s_or_b32 exec_lo, exec_lo, s13
	s_delay_alu instid0(VALU_DEP_2) | instskip(NEXT) | instid1(VALU_DEP_2)
	v_lshrrev_b64 v[28:29], 20, v[72:73]
	v_cmp_gt_i32_e32 vcc_lo, 16, v24
	v_min_i32_e32 v2, 15, v24
	v_cmp_eq_u32_e64 s13, 0, v24
	s_delay_alu instid0(VALU_DEP_2) | instskip(SKIP_1) | instid1(VALU_DEP_2)
	v_dual_cndmask_b32 v29, 0, v29 :: v_dual_lshlrev_b32 v2, 3, v2
	v_cndmask_b32_e32 v28, 7, v28, vcc_lo
	v_and_b32_e32 v2, 0xf8, v2
	s_delay_alu instid0(VALU_DEP_2) | instskip(NEXT) | instid1(VALU_DEP_2)
	v_cmp_eq_u64_e32 vcc_lo, 0, v[28:29]
	v_and_or_b32 v2, v28, 7, v2
	s_and_b32 s13, s13, vcc_lo
	s_delay_alu instid0(VALU_DEP_1) | instid1(SALU_CYCLE_1)
	v_cndmask_b32_e64 v2, v2, 0, s13
	s_delay_alu instid0(VALU_DEP_1)
	v_or_b32_e32 v106, v2, v26
.LBB4_534:                              ;   in Loop: Header=BB4_356 Depth=4
	s_or_b32 exec_lo, exec_lo, s75
                                        ; implicit-def: $vgpr26
.LBB4_535:                              ;   in Loop: Header=BB4_356 Depth=4
	s_and_not1_saveexec_b32 s13, s74
; %bb.536:                              ;   in Loop: Header=BB4_356 Depth=4
	v_or_b32_e32 v106, 0x7e, v26
; %bb.537:                              ;   in Loop: Header=BB4_356 Depth=4
	s_or_b32 exec_lo, exec_lo, s13
                                        ; implicit-def: $vgpr25
.LBB4_538:                              ;   in Loop: Header=BB4_356 Depth=4
	s_and_not1_saveexec_b32 s13, s73
; %bb.539:                              ;   in Loop: Header=BB4_356 Depth=4
	v_or_b32_e32 v106, 0x7f, v25
; %bb.540:                              ;   in Loop: Header=BB4_356 Depth=4
	s_or_b32 exec_lo, exec_lo, s13
	v_dual_lshrrev_b32 v24, 16, v21 :: v_dual_mov_b32 v26, 0
	v_mov_b32_e32 v27, 0
	s_mov_b32 s13, exec_lo
	s_delay_alu instid0(VALU_DEP_2) | instskip(NEXT) | instid1(VALU_DEP_1)
	v_and_b32_e32 v2, 0xff, v24
	v_cmpx_ne_u16_e32 0, v2
	s_cbranch_execz .LBB4_548
; %bb.541:                              ;   in Loop: Header=BB4_356 Depth=4
	v_bfrev_b32_e32 v27, 1
	s_mov_b32 s73, exec_lo
	v_cmpx_ne_u16_e32 0x80, v2
	s_cbranch_execz .LBB4_547
; %bb.542:                              ;   in Loop: Header=BB4_356 Depth=4
	v_bfe_u32 v28, v21, 16, 7
	v_mov_b32_e32 v27, 0x7f800001
	s_mov_b32 s74, exec_lo
	s_delay_alu instid0(VALU_DEP_2)
	v_cmpx_ne_u32_e32 0x7f, v28
	s_cbranch_execz .LBB4_546
; %bb.543:                              ;   in Loop: Header=BB4_356 Depth=4
	v_and_b32_e32 v2, 7, v24
	v_lshrrev_b32_e32 v25, 3, v28
	s_mov_b32 s75, exec_lo
	v_cmpx_gt_u32_e32 8, v28
; %bb.544:                              ;   in Loop: Header=BB4_356 Depth=4
	s_delay_alu instid0(VALU_DEP_3) | instskip(NEXT) | instid1(VALU_DEP_1)
	v_clz_i32_u32_e32 v25, v2
	v_min_u32_e32 v25, 32, v25
	s_delay_alu instid0(VALU_DEP_1) | instskip(NEXT) | instid1(VALU_DEP_1)
	v_subrev_nc_u32_e32 v27, 28, v25
	v_lshlrev_b64_e32 v[28:29], v27, v[2:3]
	s_delay_alu instid0(VALU_DEP_1)
	v_dual_sub_nc_u32 v25, 29, v25 :: v_dual_bitop2_b32 v2, 7, v28 bitop3:0x40
; %bb.545:                              ;   in Loop: Header=BB4_356 Depth=4
	s_or_b32 exec_lo, exec_lo, s75
	s_delay_alu instid0(VALU_DEP_1) | instskip(NEXT) | instid1(VALU_DEP_2)
	v_dual_lshlrev_b32 v24, 24, v24 :: v_dual_lshlrev_b32 v2, 20, v2
	v_lshl_add_u32 v25, v25, 23, 0x3c000000
	s_delay_alu instid0(VALU_DEP_2) | instskip(NEXT) | instid1(VALU_DEP_1)
	v_and_b32_e32 v24, 0x80000000, v24
	v_or3_b32 v27, v2, v24, v25
.LBB4_546:                              ;   in Loop: Header=BB4_356 Depth=4
	s_or_b32 exec_lo, exec_lo, s74
.LBB4_547:                              ;   in Loop: Header=BB4_356 Depth=4
	s_delay_alu instid0(SALU_CYCLE_1)
	s_or_b32 exec_lo, exec_lo, s73
.LBB4_548:                              ;   in Loop: Header=BB4_356 Depth=4
	s_delay_alu instid0(SALU_CYCLE_1) | instskip(SKIP_2) | instid1(VALU_DEP_1)
	s_or_b32 exec_lo, exec_lo, s13
	v_lshrrev_b32_e32 v2, 16, v17
	s_mov_b32 s13, exec_lo
	v_and_b32_e32 v24, 0xff, v2
	s_delay_alu instid0(VALU_DEP_1)
	v_cmpx_ne_u16_e32 0, v24
	s_cbranch_execz .LBB4_556
; %bb.549:                              ;   in Loop: Header=BB4_356 Depth=4
	v_bfrev_b32_e32 v26, 1
	s_mov_b32 s73, exec_lo
	v_cmpx_ne_u16_e32 0x80, v24
	s_cbranch_execz .LBB4_555
; %bb.550:                              ;   in Loop: Header=BB4_356 Depth=4
	v_bfe_u32 v25, v17, 16, 7
	v_mov_b32_e32 v26, 0x7f800001
	s_mov_b32 s74, exec_lo
	s_delay_alu instid0(VALU_DEP_2)
	v_cmpx_ne_u32_e32 0x7f, v25
	s_cbranch_execz .LBB4_554
; %bb.551:                              ;   in Loop: Header=BB4_356 Depth=4
	v_dual_lshrrev_b32 v24, 3, v25 :: v_dual_bitop2_b32 v2, 7, v2 bitop3:0x40
	s_mov_b32 s75, exec_lo
	v_cmpx_gt_u32_e32 8, v25
; %bb.552:                              ;   in Loop: Header=BB4_356 Depth=4
	s_delay_alu instid0(VALU_DEP_2) | instskip(NEXT) | instid1(VALU_DEP_1)
	v_clz_i32_u32_e32 v24, v2
	v_min_u32_e32 v24, 32, v24
	s_delay_alu instid0(VALU_DEP_1) | instskip(SKIP_1) | instid1(VALU_DEP_2)
	v_subrev_nc_u32_e32 v25, 28, v24
	v_sub_nc_u32_e32 v24, 29, v24
	v_lshlrev_b64_e32 v[28:29], v25, v[2:3]
	s_delay_alu instid0(VALU_DEP_1)
	v_and_b32_e32 v2, 7, v28
; %bb.553:                              ;   in Loop: Header=BB4_356 Depth=4
	s_or_b32 exec_lo, exec_lo, s75
	s_delay_alu instid0(VALU_DEP_1) | instskip(SKIP_1) | instid1(VALU_DEP_2)
	v_dual_lshlrev_b32 v25, 8, v17 :: v_dual_lshlrev_b32 v2, 20, v2
	v_lshl_add_u32 v24, v24, 23, 0x3c000000
	v_and_b32_e32 v25, 0x80000000, v25
	s_delay_alu instid0(VALU_DEP_1)
	v_or3_b32 v26, v2, v25, v24
.LBB4_554:                              ;   in Loop: Header=BB4_356 Depth=4
	s_or_b32 exec_lo, exec_lo, s74
.LBB4_555:                              ;   in Loop: Header=BB4_356 Depth=4
	s_delay_alu instid0(SALU_CYCLE_1)
	s_or_b32 exec_lo, exec_lo, s73
.LBB4_556:                              ;   in Loop: Header=BB4_356 Depth=4
	s_delay_alu instid0(SALU_CYCLE_1) | instskip(NEXT) | instid1(VALU_DEP_1)
	s_or_b32 exec_lo, exec_lo, s13
	v_add_f32_e32 v24, v27, v26
                                        ; implicit-def: $vgpr72
	s_mov_b32 s13, exec_lo
	s_delay_alu instid0(VALU_DEP_1) | instskip(SKIP_1) | instid1(VALU_DEP_2)
	v_and_b32_e32 v2, 0x7f800000, v24
	v_lshrrev_b32_e32 v25, 24, v24
	v_cmpx_ne_u64_e32 0x7f800000, v[2:3]
	s_xor_b32 s73, exec_lo, s13
	s_cbranch_execz .LBB4_570
; %bb.557:                              ;   in Loop: Header=BB4_356 Depth=4
	v_and_b32_e32 v2, 0x7fffffff, v24
	v_and_b32_e32 v26, 0x80, v25
                                        ; implicit-def: $vgpr72
	s_mov_b32 s13, exec_lo
	s_delay_alu instid0(VALU_DEP_2)
	v_cmpx_gt_u64_e32 0x43e00001, v[2:3]
	s_xor_b32 s74, exec_lo, s13
	s_cbranch_execz .LBB4_567
; %bb.558:                              ;   in Loop: Header=BB4_356 Depth=4
	v_mov_b32_e32 v72, 0
	s_mov_b32 s75, exec_lo
	v_cmpx_ne_u32_e32 0, v24
	s_cbranch_execz .LBB4_566
; %bb.559:                              ;   in Loop: Header=BB4_356 Depth=4
	v_bfe_u32 v25, v24, 23, 8
	s_mov_b32 s76, exec_lo
	s_delay_alu instid0(VALU_DEP_1) | instskip(SKIP_1) | instid1(VALU_DEP_2)
	v_sub_nc_u32_e32 v2, 0x79, v25
	v_cmp_gt_u32_e32 vcc_lo, 0x7a, v25
	v_cndmask_b32_e32 v2, 0, v2, vcc_lo
	v_cmp_eq_u32_e32 vcc_lo, 0, v25
	s_delay_alu instid0(VALU_DEP_2) | instskip(SKIP_1) | instid1(VALU_DEP_2)
	v_cndmask_b32_e64 v27, v2, 0x78, vcc_lo
	v_and_b32_e32 v2, 0x7fffff, v24
	v_add_nc_u32_e32 v24, 20, v27
	s_delay_alu instid0(VALU_DEP_2) | instskip(NEXT) | instid1(VALU_DEP_2)
	v_or_b32_e32 v68, 0x800000, v2
	v_lshlrev_b64_e64 v[28:29], v24, -1
	s_delay_alu instid0(VALU_DEP_2) | instskip(NEXT) | instid1(VALU_DEP_1)
	v_dual_add_nc_u32 v24, 19, v27 :: v_dual_cndmask_b32 v2, v68, v2, vcc_lo
	v_lshlrev_b64_e64 v[68:69], v24, 1
	s_delay_alu instid0(VALU_DEP_2) | instskip(NEXT) | instid1(VALU_DEP_4)
	v_lshrrev_b64 v[72:73], v27, v[2:3]
	v_bfi_b32 v29, v29, 0, 0
	v_bfi_b32 v28, v28, 0, v2
	s_delay_alu instid0(VALU_DEP_3) | instskip(NEXT) | instid1(VALU_DEP_2)
	v_mov_b64_e32 v[74:75], v[72:73]
	v_cmpx_eq_u64_e64 v[28:29], v[68:69]
; %bb.560:                              ;   in Loop: Header=BB4_356 Depth=4
	v_bfe_u32 v2, v72, 20, 1
	s_delay_alu instid0(VALU_DEP_1) | instskip(NEXT) | instid1(VALU_DEP_1)
	v_add_nc_u64_e32 v[28:29], v[72:73], v[2:3]
	v_add_nc_u64_e32 v[74:75], -1, v[28:29]
; %bb.561:                              ;   in Loop: Header=BB4_356 Depth=4
	s_or_b32 exec_lo, exec_lo, s76
	v_add_nc_u32_e32 v2, 0xffffff81, v25
	v_lshrrev_b32_e32 v24, 23, v72
	s_mov_b32 s13, exec_lo
	s_delay_alu instid0(VALU_DEP_2) | instskip(NEXT) | instid1(VALU_DEP_1)
	v_cndmask_b32_e64 v2, v2, 0xffffff82, vcc_lo
	v_add3_u32 v25, v27, v2, v24
	v_and_b32_e32 v2, 0xfffff, v74
                                        ; implicit-def: $vgpr24
	s_delay_alu instid0(VALU_DEP_1) | instskip(NEXT) | instid1(VALU_DEP_1)
	v_dual_add_nc_u32 v27, 6, v25 :: v_dual_add_nc_u32 v2, v2, v72
                                        ; implicit-def: $vgpr72_vgpr73
	v_cmpx_ne_u32_e32 0, v27
	s_xor_b32 s13, exec_lo, s13
; %bb.562:                              ;   in Loop: Header=BB4_356 Depth=4
	s_delay_alu instid0(VALU_DEP_2) | instskip(SKIP_2) | instid1(VALU_DEP_2)
	v_cmp_lt_u64_e32 vcc_lo, 0xffffff, v[2:3]
	v_add_nc_u32_e32 v24, 7, v25
	v_cndmask_b32_e64 v25, 0, 1, vcc_lo
	v_cndmask_b32_e32 v24, v27, v24, vcc_lo
	s_delay_alu instid0(VALU_DEP_2)
	v_lshrrev_b64 v[72:73], v25, v[2:3]
; %bb.563:                              ;   in Loop: Header=BB4_356 Depth=4
	s_and_not1_saveexec_b32 s13, s13
; %bb.564:                              ;   in Loop: Header=BB4_356 Depth=4
	v_mov_b64_e32 v[72:73], v[2:3]
	v_bfe_u32 v24, v2, 23, 1
; %bb.565:                              ;   in Loop: Header=BB4_356 Depth=4
	s_or_b32 exec_lo, exec_lo, s13
	s_delay_alu instid0(VALU_DEP_2) | instskip(NEXT) | instid1(VALU_DEP_2)
	v_lshrrev_b64 v[28:29], 20, v[72:73]
	v_cmp_gt_i32_e32 vcc_lo, 16, v24
	v_min_i32_e32 v2, 15, v24
	v_cmp_eq_u32_e64 s13, 0, v24
	s_delay_alu instid0(VALU_DEP_2) | instskip(SKIP_1) | instid1(VALU_DEP_2)
	v_dual_cndmask_b32 v29, 0, v29 :: v_dual_lshlrev_b32 v2, 3, v2
	v_cndmask_b32_e32 v28, 7, v28, vcc_lo
	v_and_b32_e32 v2, 0xf8, v2
	s_delay_alu instid0(VALU_DEP_2) | instskip(NEXT) | instid1(VALU_DEP_2)
	v_cmp_eq_u64_e32 vcc_lo, 0, v[28:29]
	v_and_or_b32 v2, v28, 7, v2
	s_and_b32 s13, s13, vcc_lo
	s_delay_alu instid0(VALU_DEP_1) | instid1(SALU_CYCLE_1)
	v_cndmask_b32_e64 v2, v2, 0, s13
	s_delay_alu instid0(VALU_DEP_1)
	v_or_b32_e32 v72, v2, v26
.LBB4_566:                              ;   in Loop: Header=BB4_356 Depth=4
	s_or_b32 exec_lo, exec_lo, s75
                                        ; implicit-def: $vgpr26
.LBB4_567:                              ;   in Loop: Header=BB4_356 Depth=4
	s_and_not1_saveexec_b32 s13, s74
; %bb.568:                              ;   in Loop: Header=BB4_356 Depth=4
	v_or_b32_e32 v72, 0x7e, v26
; %bb.569:                              ;   in Loop: Header=BB4_356 Depth=4
	s_or_b32 exec_lo, exec_lo, s13
                                        ; implicit-def: $vgpr25
.LBB4_570:                              ;   in Loop: Header=BB4_356 Depth=4
	s_and_not1_saveexec_b32 s13, s73
; %bb.571:                              ;   in Loop: Header=BB4_356 Depth=4
	v_or_b32_e32 v72, 0x7f, v25
; %bb.572:                              ;   in Loop: Header=BB4_356 Depth=4
	s_or_b32 exec_lo, exec_lo, s13
	v_cmp_lt_u64_e32 vcc_lo, s[22:23], v[20:21]
	v_dual_mov_b32 v20, 0 :: v_dual_mov_b32 v26, 0
	s_and_saveexec_b32 s13, vcc_lo
	s_cbranch_execz .LBB4_580
; %bb.573:                              ;   in Loop: Header=BB4_356 Depth=4
	v_lshrrev_b32_e32 v24, 24, v21
	v_bfrev_b32_e32 v26, 1
	s_mov_b32 s73, exec_lo
	s_delay_alu instid0(VALU_DEP_2)
	v_cmpx_ne_u32_e32 0x80, v24
	s_cbranch_execz .LBB4_579
; %bb.574:                              ;   in Loop: Header=BB4_356 Depth=4
	v_bfe_u32 v25, v21, 24, 7
	v_mov_b32_e32 v26, 0x7f800001
	s_mov_b32 s74, exec_lo
	s_delay_alu instid0(VALU_DEP_2)
	v_cmpx_ne_u32_e32 0x7f, v25
	s_cbranch_execz .LBB4_578
; %bb.575:                              ;   in Loop: Header=BB4_356 Depth=4
	v_dual_lshrrev_b32 v21, 3, v25 :: v_dual_bitop2_b32 v2, 7, v24 bitop3:0x40
	s_mov_b32 s75, exec_lo
	v_cmpx_gt_u32_e32 8, v25
; %bb.576:                              ;   in Loop: Header=BB4_356 Depth=4
	s_delay_alu instid0(VALU_DEP_2) | instskip(NEXT) | instid1(VALU_DEP_1)
	v_clz_i32_u32_e32 v21, v2
	v_min_u32_e32 v21, 32, v21
	s_delay_alu instid0(VALU_DEP_1) | instskip(NEXT) | instid1(VALU_DEP_1)
	v_subrev_nc_u32_e32 v25, 28, v21
	v_lshlrev_b64_e32 v[26:27], v25, v[2:3]
	s_delay_alu instid0(VALU_DEP_1)
	v_dual_sub_nc_u32 v21, 29, v21 :: v_dual_bitop2_b32 v2, 7, v26 bitop3:0x40
; %bb.577:                              ;   in Loop: Header=BB4_356 Depth=4
	s_or_b32 exec_lo, exec_lo, s75
	s_delay_alu instid0(VALU_DEP_1) | instskip(NEXT) | instid1(VALU_DEP_2)
	v_dual_lshlrev_b32 v24, 24, v24 :: v_dual_lshlrev_b32 v2, 20, v2
	v_lshl_add_u32 v21, v21, 23, 0x3c000000
	s_delay_alu instid0(VALU_DEP_2) | instskip(NEXT) | instid1(VALU_DEP_1)
	v_and_b32_e32 v24, 0x80000000, v24
	v_or3_b32 v26, v2, v24, v21
.LBB4_578:                              ;   in Loop: Header=BB4_356 Depth=4
	s_or_b32 exec_lo, exec_lo, s74
.LBB4_579:                              ;   in Loop: Header=BB4_356 Depth=4
	s_delay_alu instid0(SALU_CYCLE_1)
	s_or_b32 exec_lo, exec_lo, s73
.LBB4_580:                              ;   in Loop: Header=BB4_356 Depth=4
	s_delay_alu instid0(SALU_CYCLE_1) | instskip(NEXT) | instid1(SALU_CYCLE_1)
	s_or_b32 exec_lo, exec_lo, s13
	s_mov_b32 s13, exec_lo
	v_cmpx_lt_u64_e64 s[22:23], v[16:17]
	s_cbranch_execz .LBB4_588
; %bb.581:                              ;   in Loop: Header=BB4_356 Depth=4
	v_lshrrev_b32_e32 v16, 24, v17
	v_bfrev_b32_e32 v20, 1
	s_mov_b32 s73, exec_lo
	s_delay_alu instid0(VALU_DEP_2)
	v_cmpx_ne_u32_e32 0x80, v16
	s_cbranch_execz .LBB4_587
; %bb.582:                              ;   in Loop: Header=BB4_356 Depth=4
	v_bfe_u32 v21, v17, 24, 7
	v_mov_b32_e32 v20, 0x7f800001
	s_mov_b32 s74, exec_lo
	s_delay_alu instid0(VALU_DEP_2)
	v_cmpx_ne_u32_e32 0x7f, v21
	s_cbranch_execz .LBB4_586
; %bb.583:                              ;   in Loop: Header=BB4_356 Depth=4
	v_dual_lshrrev_b32 v17, 3, v21 :: v_dual_bitop2_b32 v2, 7, v16 bitop3:0x40
	s_mov_b32 s75, exec_lo
	v_cmpx_gt_u32_e32 8, v21
; %bb.584:                              ;   in Loop: Header=BB4_356 Depth=4
	s_delay_alu instid0(VALU_DEP_2) | instskip(NEXT) | instid1(VALU_DEP_1)
	v_clz_i32_u32_e32 v17, v2
	v_min_u32_e32 v17, 32, v17
	s_delay_alu instid0(VALU_DEP_1) | instskip(NEXT) | instid1(VALU_DEP_1)
	v_subrev_nc_u32_e32 v20, 28, v17
	v_lshlrev_b64_e32 v[20:21], v20, v[2:3]
	s_delay_alu instid0(VALU_DEP_1)
	v_dual_sub_nc_u32 v17, 29, v17 :: v_dual_bitop2_b32 v2, 7, v20 bitop3:0x40
; %bb.585:                              ;   in Loop: Header=BB4_356 Depth=4
	s_or_b32 exec_lo, exec_lo, s75
	s_delay_alu instid0(VALU_DEP_1) | instskip(NEXT) | instid1(VALU_DEP_2)
	v_dual_lshlrev_b32 v16, 24, v16 :: v_dual_lshlrev_b32 v2, 20, v2
	v_lshl_add_u32 v17, v17, 23, 0x3c000000
	s_delay_alu instid0(VALU_DEP_2) | instskip(NEXT) | instid1(VALU_DEP_1)
	v_and_b32_e32 v16, 0x80000000, v16
	v_or3_b32 v20, v2, v16, v17
.LBB4_586:                              ;   in Loop: Header=BB4_356 Depth=4
	s_or_b32 exec_lo, exec_lo, s74
.LBB4_587:                              ;   in Loop: Header=BB4_356 Depth=4
	s_delay_alu instid0(SALU_CYCLE_1)
	s_or_b32 exec_lo, exec_lo, s73
.LBB4_588:                              ;   in Loop: Header=BB4_356 Depth=4
	s_delay_alu instid0(SALU_CYCLE_1) | instskip(NEXT) | instid1(VALU_DEP_1)
	s_or_b32 exec_lo, exec_lo, s13
	v_add_f32_e32 v16, v26, v20
                                        ; implicit-def: $vgpr73
	s_mov_b32 s13, exec_lo
	s_delay_alu instid0(VALU_DEP_1) | instskip(SKIP_1) | instid1(VALU_DEP_2)
	v_and_b32_e32 v2, 0x7f800000, v16
	v_lshrrev_b32_e32 v17, 24, v16
	v_cmpx_ne_u64_e32 0x7f800000, v[2:3]
	s_xor_b32 s73, exec_lo, s13
	s_cbranch_execz .LBB4_602
; %bb.589:                              ;   in Loop: Header=BB4_356 Depth=4
	v_and_b32_e32 v2, 0x7fffffff, v16
	v_and_b32_e32 v26, 0x80, v17
                                        ; implicit-def: $vgpr73
	s_mov_b32 s13, exec_lo
	s_delay_alu instid0(VALU_DEP_2)
	v_cmpx_gt_u64_e32 0x43e00001, v[2:3]
	s_xor_b32 s74, exec_lo, s13
	s_cbranch_execz .LBB4_599
; %bb.590:                              ;   in Loop: Header=BB4_356 Depth=4
	v_mov_b32_e32 v73, 0
	s_mov_b32 s75, exec_lo
	v_cmpx_ne_u32_e32 0, v16
	s_cbranch_execz .LBB4_598
; %bb.591:                              ;   in Loop: Header=BB4_356 Depth=4
	v_bfe_u32 v24, v16, 23, 8
	s_delay_alu instid0(VALU_DEP_1) | instskip(SKIP_1) | instid1(VALU_DEP_2)
	v_sub_nc_u32_e32 v2, 0x79, v24
	v_cmp_gt_u32_e32 vcc_lo, 0x7a, v24
	v_cndmask_b32_e32 v2, 0, v2, vcc_lo
	v_cmp_eq_u32_e32 vcc_lo, 0, v24
	s_delay_alu instid0(VALU_DEP_2) | instskip(SKIP_1) | instid1(VALU_DEP_2)
	v_cndmask_b32_e64 v25, v2, 0x78, vcc_lo
	v_and_b32_e32 v2, 0x7fffff, v16
	v_add_nc_u32_e32 v16, 20, v25
	s_delay_alu instid0(VALU_DEP_2) | instskip(SKIP_1) | instid1(VALU_DEP_3)
	v_or_b32_e32 v20, 0x800000, v2
	v_add_nc_u32_e32 v21, 19, v25
	v_lshlrev_b64_e64 v[16:17], v16, -1
	s_delay_alu instid0(VALU_DEP_3) | instskip(NEXT) | instid1(VALU_DEP_3)
	v_cndmask_b32_e32 v2, v20, v2, vcc_lo
	v_lshlrev_b64_e64 v[20:21], v21, 1
	s_delay_alu instid0(VALU_DEP_3) | instskip(NEXT) | instid1(VALU_DEP_3)
	v_bfi_b32 v29, v17, 0, 0
	v_bfi_b32 v28, v16, 0, v2
	v_lshrrev_b64 v[16:17], v25, v[2:3]
	s_delay_alu instid0(VALU_DEP_2) | instskip(NEXT) | instid1(VALU_DEP_2)
	v_cmp_eq_u64_e64 s13, v[28:29], v[20:21]
	v_mov_b64_e32 v[20:21], v[16:17]
	s_and_saveexec_b32 s76, s13
; %bb.592:                              ;   in Loop: Header=BB4_356 Depth=4
	v_bfe_u32 v2, v16, 20, 1
	s_delay_alu instid0(VALU_DEP_1) | instskip(NEXT) | instid1(VALU_DEP_1)
	v_add_nc_u64_e32 v[20:21], v[16:17], v[2:3]
	v_add_nc_u64_e32 v[20:21], -1, v[20:21]
; %bb.593:                              ;   in Loop: Header=BB4_356 Depth=4
	s_or_b32 exec_lo, exec_lo, s76
	v_add_nc_u32_e32 v2, 0xffffff81, v24
	v_lshrrev_b32_e32 v17, 23, v16
	s_mov_b32 s13, exec_lo
	s_delay_alu instid0(VALU_DEP_2) | instskip(NEXT) | instid1(VALU_DEP_1)
	v_cndmask_b32_e64 v2, v2, 0xffffff82, vcc_lo
	v_add3_u32 v21, v25, v2, v17
	v_and_b32_e32 v2, 0xfffff, v20
                                        ; implicit-def: $vgpr20
	s_delay_alu instid0(VALU_DEP_1) | instskip(NEXT) | instid1(VALU_DEP_1)
	v_dual_add_nc_u32 v24, 6, v21 :: v_dual_add_nc_u32 v2, v2, v16
                                        ; implicit-def: $vgpr16_vgpr17
	v_cmpx_ne_u32_e32 0, v24
	s_xor_b32 s13, exec_lo, s13
; %bb.594:                              ;   in Loop: Header=BB4_356 Depth=4
	s_delay_alu instid0(VALU_DEP_2) | instskip(SKIP_1) | instid1(VALU_DEP_1)
	v_cmp_lt_u64_e32 vcc_lo, 0xffffff, v[2:3]
	v_add_nc_u32_e32 v16, 7, v21
	v_cndmask_b32_e32 v20, v24, v16, vcc_lo
	v_cndmask_b32_e64 v16, 0, 1, vcc_lo
	s_delay_alu instid0(VALU_DEP_1)
	v_lshrrev_b64 v[16:17], v16, v[2:3]
; %bb.595:                              ;   in Loop: Header=BB4_356 Depth=4
	s_and_not1_saveexec_b32 s13, s13
; %bb.596:                              ;   in Loop: Header=BB4_356 Depth=4
	v_mov_b64_e32 v[16:17], v[2:3]
	v_bfe_u32 v20, v2, 23, 1
; %bb.597:                              ;   in Loop: Header=BB4_356 Depth=4
	s_or_b32 exec_lo, exec_lo, s13
	s_delay_alu instid0(VALU_DEP_2) | instskip(NEXT) | instid1(VALU_DEP_2)
	v_lshrrev_b64 v[16:17], 20, v[16:17]
	v_cmp_gt_i32_e32 vcc_lo, 16, v20
	v_min_i32_e32 v2, 15, v20
	v_cmp_eq_u32_e64 s13, 0, v20
	s_delay_alu instid0(VALU_DEP_2) | instskip(SKIP_1) | instid1(VALU_DEP_2)
	v_dual_cndmask_b32 v17, 0, v17 :: v_dual_lshlrev_b32 v2, 3, v2
	v_cndmask_b32_e32 v16, 7, v16, vcc_lo
	v_and_b32_e32 v2, 0xf8, v2
	s_delay_alu instid0(VALU_DEP_2) | instskip(NEXT) | instid1(VALU_DEP_2)
	v_cmp_eq_u64_e32 vcc_lo, 0, v[16:17]
	v_and_or_b32 v2, v16, 7, v2
	s_and_b32 s13, s13, vcc_lo
	s_delay_alu instid0(VALU_DEP_1) | instid1(SALU_CYCLE_1)
	v_cndmask_b32_e64 v2, v2, 0, s13
	s_delay_alu instid0(VALU_DEP_1)
	v_or_b32_e32 v73, v2, v26
.LBB4_598:                              ;   in Loop: Header=BB4_356 Depth=4
	s_or_b32 exec_lo, exec_lo, s75
                                        ; implicit-def: $vgpr26
.LBB4_599:                              ;   in Loop: Header=BB4_356 Depth=4
	s_and_not1_saveexec_b32 s13, s74
; %bb.600:                              ;   in Loop: Header=BB4_356 Depth=4
	v_or_b32_e32 v73, 0x7e, v26
; %bb.601:                              ;   in Loop: Header=BB4_356 Depth=4
	s_or_b32 exec_lo, exec_lo, s13
                                        ; implicit-def: $vgpr17
.LBB4_602:                              ;   in Loop: Header=BB4_356 Depth=4
	s_and_not1_saveexec_b32 s13, s73
; %bb.603:                              ;   in Loop: Header=BB4_356 Depth=4
	v_or_b32_e32 v73, 0x7f, v17
; %bb.604:                              ;   in Loop: Header=BB4_356 Depth=4
	s_or_b32 exec_lo, exec_lo, s13
	v_and_b32_e32 v17, 0xff, v22
	v_dual_mov_b32 v2, 0 :: v_dual_mov_b32 v16, 0
	s_mov_b32 s13, exec_lo
	s_delay_alu instid0(VALU_DEP_2)
	v_cmpx_ne_u16_e32 0, v17
	s_cbranch_execz .LBB4_610
; %bb.605:                              ;   in Loop: Header=BB4_356 Depth=4
	v_bfrev_b32_e32 v16, 1
	s_mov_b32 s73, exec_lo
	v_cmpx_ne_u16_e32 0x80, v17
	s_cbranch_execz .LBB4_609
; %bb.606:                              ;   in Loop: Header=BB4_356 Depth=4
	v_and_b32_e32 v17, 0x7f, v22
	v_mov_b32_e32 v16, 0x7f800001
	s_mov_b32 s74, exec_lo
	s_delay_alu instid0(VALU_DEP_2)
	v_cmpx_ne_u32_e32 0x7f, v17
	s_cbranch_execz .LBB4_608
; %bb.607:                              ;   in Loop: Header=BB4_356 Depth=4
	v_dual_lshrrev_b32 v20, 3, v17 :: v_dual_bitop2_b32 v16, 7, v22 bitop3:0x40
	v_cmp_gt_u32_e32 vcc_lo, 8, v17
	s_delay_alu instid0(VALU_DEP_2) | instskip(NEXT) | instid1(VALU_DEP_1)
	v_clz_i32_u32_e32 v16, v16
	v_min_u32_e32 v16, 32, v16
	s_delay_alu instid0(VALU_DEP_1) | instskip(SKIP_1) | instid1(VALU_DEP_1)
	v_subrev_nc_u32_e32 v21, 28, v16
	v_sub_nc_u32_e32 v16, 29, v16
	v_dual_cndmask_b32 v20, v20, v16, vcc_lo :: v_dual_cndmask_b32 v16, 0, v21, vcc_lo
	s_delay_alu instid0(VALU_DEP_1) | instskip(NEXT) | instid1(VALU_DEP_2)
	v_lshl_add_u32 v20, v20, 23, 0x3c000000
	v_lshlrev_b64_e32 v[16:17], v16, v[22:23]
	v_lshlrev_b32_e32 v17, 24, v22
	s_delay_alu instid0(VALU_DEP_1) | instskip(NEXT) | instid1(VALU_DEP_3)
	v_and_b32_e32 v17, 0x80000000, v17
	v_lshlrev_b32_e32 v16, 20, v16
	s_delay_alu instid0(VALU_DEP_1) | instskip(NEXT) | instid1(VALU_DEP_1)
	v_and_b32_e32 v16, 0x700000, v16
	v_or3_b32 v16, v16, v17, v20
.LBB4_608:                              ;   in Loop: Header=BB4_356 Depth=4
	s_or_b32 exec_lo, exec_lo, s74
.LBB4_609:                              ;   in Loop: Header=BB4_356 Depth=4
	s_delay_alu instid0(SALU_CYCLE_1)
	s_or_b32 exec_lo, exec_lo, s73
.LBB4_610:                              ;   in Loop: Header=BB4_356 Depth=4
	s_delay_alu instid0(SALU_CYCLE_1) | instskip(SKIP_2) | instid1(VALU_DEP_1)
	s_or_b32 exec_lo, exec_lo, s13
	v_and_b32_e32 v17, 0xff, v18
	s_mov_b32 s13, exec_lo
	v_cmpx_ne_u16_e32 0, v17
	s_cbranch_execz .LBB4_616
; %bb.611:                              ;   in Loop: Header=BB4_356 Depth=4
	v_bfrev_b32_e32 v2, 1
	s_mov_b32 s73, exec_lo
	v_cmpx_ne_u16_e32 0x80, v17
	s_cbranch_execz .LBB4_615
; %bb.612:                              ;   in Loop: Header=BB4_356 Depth=4
	v_and_b32_e32 v17, 0x7f, v18
	v_mov_b32_e32 v2, 0x7f800001
	s_mov_b32 s74, exec_lo
	s_delay_alu instid0(VALU_DEP_2)
	v_cmpx_ne_u32_e32 0x7f, v17
	s_cbranch_execz .LBB4_614
; %bb.613:                              ;   in Loop: Header=BB4_356 Depth=4
	v_dual_lshrrev_b32 v20, 3, v17 :: v_dual_bitop2_b32 v2, 7, v18 bitop3:0x40
	v_cmp_gt_u32_e32 vcc_lo, 8, v17
	s_delay_alu instid0(VALU_DEP_2) | instskip(NEXT) | instid1(VALU_DEP_1)
	v_clz_i32_u32_e32 v2, v2
	v_min_u32_e32 v2, 32, v2
	s_delay_alu instid0(VALU_DEP_1) | instskip(NEXT) | instid1(VALU_DEP_1)
	v_subrev_nc_u32_e32 v21, 28, v2
	v_dual_cndmask_b32 v17, 0, v21 :: v_dual_sub_nc_u32 v2, 29, v2
	s_delay_alu instid0(VALU_DEP_1) | instskip(NEXT) | instid1(VALU_DEP_2)
	v_cndmask_b32_e32 v2, v20, v2, vcc_lo
	v_lshlrev_b64_e32 v[20:21], v17, v[18:19]
	v_lshlrev_b32_e32 v17, 24, v18
	s_delay_alu instid0(VALU_DEP_1) | instskip(NEXT) | instid1(VALU_DEP_3)
	v_and_b32_e32 v17, 0x80000000, v17
	v_lshlrev_b32_e32 v20, 20, v20
	v_lshl_add_u32 v2, v2, 23, 0x3c000000
	s_delay_alu instid0(VALU_DEP_2) | instskip(NEXT) | instid1(VALU_DEP_1)
	v_and_b32_e32 v20, 0x700000, v20
	v_or3_b32 v2, v20, v17, v2
.LBB4_614:                              ;   in Loop: Header=BB4_356 Depth=4
	s_or_b32 exec_lo, exec_lo, s74
.LBB4_615:                              ;   in Loop: Header=BB4_356 Depth=4
	s_delay_alu instid0(SALU_CYCLE_1)
	s_or_b32 exec_lo, exec_lo, s73
.LBB4_616:                              ;   in Loop: Header=BB4_356 Depth=4
	s_delay_alu instid0(SALU_CYCLE_1) | instskip(NEXT) | instid1(VALU_DEP_1)
	s_or_b32 exec_lo, exec_lo, s13
	v_add_f32_e32 v16, v16, v2
                                        ; implicit-def: $vgpr74
	s_mov_b32 s13, exec_lo
	s_delay_alu instid0(VALU_DEP_1) | instskip(SKIP_1) | instid1(VALU_DEP_2)
	v_and_b32_e32 v2, 0x7f800000, v16
	v_lshrrev_b32_e32 v17, 24, v16
	v_cmpx_ne_u64_e32 0x7f800000, v[2:3]
	s_xor_b32 s73, exec_lo, s13
	s_cbranch_execz .LBB4_630
; %bb.617:                              ;   in Loop: Header=BB4_356 Depth=4
	v_and_b32_e32 v2, 0x7fffffff, v16
	v_and_b32_e32 v26, 0x80, v17
                                        ; implicit-def: $vgpr74
	s_mov_b32 s13, exec_lo
	s_delay_alu instid0(VALU_DEP_2)
	v_cmpx_gt_u64_e32 0x43e00001, v[2:3]
	s_xor_b32 s74, exec_lo, s13
	s_cbranch_execz .LBB4_627
; %bb.618:                              ;   in Loop: Header=BB4_356 Depth=4
	v_mov_b32_e32 v74, 0
	s_mov_b32 s75, exec_lo
	v_cmpx_ne_u32_e32 0, v16
	s_cbranch_execz .LBB4_626
; %bb.619:                              ;   in Loop: Header=BB4_356 Depth=4
	v_bfe_u32 v24, v16, 23, 8
	s_delay_alu instid0(VALU_DEP_1) | instskip(SKIP_1) | instid1(VALU_DEP_2)
	v_sub_nc_u32_e32 v2, 0x79, v24
	v_cmp_gt_u32_e32 vcc_lo, 0x7a, v24
	v_cndmask_b32_e32 v2, 0, v2, vcc_lo
	v_cmp_eq_u32_e32 vcc_lo, 0, v24
	s_delay_alu instid0(VALU_DEP_2) | instskip(SKIP_1) | instid1(VALU_DEP_2)
	v_cndmask_b32_e64 v25, v2, 0x78, vcc_lo
	v_and_b32_e32 v2, 0x7fffff, v16
	v_add_nc_u32_e32 v16, 20, v25
	s_delay_alu instid0(VALU_DEP_2) | instskip(SKIP_1) | instid1(VALU_DEP_3)
	v_or_b32_e32 v20, 0x800000, v2
	v_add_nc_u32_e32 v21, 19, v25
	v_lshlrev_b64_e64 v[16:17], v16, -1
	s_delay_alu instid0(VALU_DEP_3) | instskip(NEXT) | instid1(VALU_DEP_3)
	v_cndmask_b32_e32 v2, v20, v2, vcc_lo
	v_lshlrev_b64_e64 v[20:21], v21, 1
	s_delay_alu instid0(VALU_DEP_3) | instskip(NEXT) | instid1(VALU_DEP_3)
	v_bfi_b32 v29, v17, 0, 0
	v_bfi_b32 v28, v16, 0, v2
	v_lshrrev_b64 v[16:17], v25, v[2:3]
	s_delay_alu instid0(VALU_DEP_2) | instskip(NEXT) | instid1(VALU_DEP_2)
	v_cmp_eq_u64_e64 s13, v[28:29], v[20:21]
	v_mov_b64_e32 v[20:21], v[16:17]
	s_and_saveexec_b32 s76, s13
; %bb.620:                              ;   in Loop: Header=BB4_356 Depth=4
	v_bfe_u32 v2, v16, 20, 1
	s_delay_alu instid0(VALU_DEP_1) | instskip(NEXT) | instid1(VALU_DEP_1)
	v_add_nc_u64_e32 v[20:21], v[16:17], v[2:3]
	v_add_nc_u64_e32 v[20:21], -1, v[20:21]
; %bb.621:                              ;   in Loop: Header=BB4_356 Depth=4
	s_or_b32 exec_lo, exec_lo, s76
	v_add_nc_u32_e32 v2, 0xffffff81, v24
	v_lshrrev_b32_e32 v17, 23, v16
	s_mov_b32 s13, exec_lo
	s_delay_alu instid0(VALU_DEP_2) | instskip(NEXT) | instid1(VALU_DEP_1)
	v_cndmask_b32_e64 v2, v2, 0xffffff82, vcc_lo
	v_add3_u32 v21, v25, v2, v17
	v_and_b32_e32 v2, 0xfffff, v20
                                        ; implicit-def: $vgpr20
	s_delay_alu instid0(VALU_DEP_1) | instskip(NEXT) | instid1(VALU_DEP_1)
	v_dual_add_nc_u32 v24, 6, v21 :: v_dual_add_nc_u32 v2, v2, v16
                                        ; implicit-def: $vgpr16_vgpr17
	v_cmpx_ne_u32_e32 0, v24
	s_xor_b32 s13, exec_lo, s13
; %bb.622:                              ;   in Loop: Header=BB4_356 Depth=4
	s_delay_alu instid0(VALU_DEP_2) | instskip(SKIP_1) | instid1(VALU_DEP_1)
	v_cmp_lt_u64_e32 vcc_lo, 0xffffff, v[2:3]
	v_add_nc_u32_e32 v16, 7, v21
	v_cndmask_b32_e32 v20, v24, v16, vcc_lo
	v_cndmask_b32_e64 v16, 0, 1, vcc_lo
	s_delay_alu instid0(VALU_DEP_1)
	v_lshrrev_b64 v[16:17], v16, v[2:3]
; %bb.623:                              ;   in Loop: Header=BB4_356 Depth=4
	s_and_not1_saveexec_b32 s13, s13
; %bb.624:                              ;   in Loop: Header=BB4_356 Depth=4
	v_mov_b64_e32 v[16:17], v[2:3]
	v_bfe_u32 v20, v2, 23, 1
; %bb.625:                              ;   in Loop: Header=BB4_356 Depth=4
	s_or_b32 exec_lo, exec_lo, s13
	s_delay_alu instid0(VALU_DEP_2) | instskip(NEXT) | instid1(VALU_DEP_2)
	v_lshrrev_b64 v[16:17], 20, v[16:17]
	v_cmp_gt_i32_e32 vcc_lo, 16, v20
	v_min_i32_e32 v2, 15, v20
	v_cmp_eq_u32_e64 s13, 0, v20
	s_delay_alu instid0(VALU_DEP_2) | instskip(SKIP_1) | instid1(VALU_DEP_2)
	v_dual_cndmask_b32 v17, 0, v17 :: v_dual_lshlrev_b32 v2, 3, v2
	v_cndmask_b32_e32 v16, 7, v16, vcc_lo
	v_and_b32_e32 v2, 0xf8, v2
	s_delay_alu instid0(VALU_DEP_2) | instskip(NEXT) | instid1(VALU_DEP_2)
	v_cmp_eq_u64_e32 vcc_lo, 0, v[16:17]
	v_and_or_b32 v2, v16, 7, v2
	s_and_b32 s13, s13, vcc_lo
	s_delay_alu instid0(VALU_DEP_1) | instid1(SALU_CYCLE_1)
	v_cndmask_b32_e64 v2, v2, 0, s13
	s_delay_alu instid0(VALU_DEP_1)
	v_or_b32_e32 v74, v2, v26
.LBB4_626:                              ;   in Loop: Header=BB4_356 Depth=4
	s_or_b32 exec_lo, exec_lo, s75
                                        ; implicit-def: $vgpr26
.LBB4_627:                              ;   in Loop: Header=BB4_356 Depth=4
	s_and_not1_saveexec_b32 s13, s74
; %bb.628:                              ;   in Loop: Header=BB4_356 Depth=4
	v_or_b32_e32 v74, 0x7e, v26
; %bb.629:                              ;   in Loop: Header=BB4_356 Depth=4
	s_or_b32 exec_lo, exec_lo, s13
                                        ; implicit-def: $vgpr17
.LBB4_630:                              ;   in Loop: Header=BB4_356 Depth=4
	s_and_not1_saveexec_b32 s13, s73
; %bb.631:                              ;   in Loop: Header=BB4_356 Depth=4
	v_or_b32_e32 v74, 0x7f, v17
; %bb.632:                              ;   in Loop: Header=BB4_356 Depth=4
	s_or_b32 exec_lo, exec_lo, s13
	v_lshrrev_b16 v2, 8, v22
	v_dual_mov_b32 v16, 0 :: v_dual_mov_b32 v17, 0
	s_mov_b32 s13, exec_lo
	s_delay_alu instid0(VALU_DEP_2)
	v_cmpx_ne_u16_e32 0, v2
	s_cbranch_execz .LBB4_640
; %bb.633:                              ;   in Loop: Header=BB4_356 Depth=4
	v_bfrev_b32_e32 v17, 1
	s_mov_b32 s73, exec_lo
	v_cmpx_ne_u16_e32 0x80, v2
	s_cbranch_execz .LBB4_639
; %bb.634:                              ;   in Loop: Header=BB4_356 Depth=4
	v_and_b32_e32 v2, 0xffff, v2
	v_mov_b32_e32 v17, 0x7f800001
	s_mov_b32 s74, exec_lo
	s_delay_alu instid0(VALU_DEP_2) | instskip(NEXT) | instid1(VALU_DEP_1)
	v_and_b32_e32 v20, 0x7f, v2
	v_cmpx_ne_u32_e32 0x7f, v20
	s_cbranch_execz .LBB4_638
; %bb.635:                              ;   in Loop: Header=BB4_356 Depth=4
	v_dual_lshrrev_b32 v17, 3, v20 :: v_dual_bitop2_b32 v2, 7, v2 bitop3:0x40
	s_mov_b32 s75, exec_lo
	v_cmpx_gt_u32_e32 8, v20
; %bb.636:                              ;   in Loop: Header=BB4_356 Depth=4
	s_delay_alu instid0(VALU_DEP_2) | instskip(NEXT) | instid1(VALU_DEP_1)
	v_clz_i32_u32_e32 v17, v2
	v_min_u32_e32 v17, 32, v17
	s_delay_alu instid0(VALU_DEP_1) | instskip(NEXT) | instid1(VALU_DEP_1)
	v_subrev_nc_u32_e32 v20, 28, v17
	v_lshlrev_b64_e32 v[20:21], v20, v[2:3]
	s_delay_alu instid0(VALU_DEP_1)
	v_dual_sub_nc_u32 v17, 29, v17 :: v_dual_bitop2_b32 v2, 7, v20 bitop3:0x40
; %bb.637:                              ;   in Loop: Header=BB4_356 Depth=4
	s_or_b32 exec_lo, exec_lo, s75
	v_lshlrev_b32_e32 v20, 16, v22
	s_delay_alu instid0(VALU_DEP_2) | instskip(NEXT) | instid1(VALU_DEP_3)
	v_lshlrev_b32_e32 v2, 20, v2
	v_lshl_add_u32 v17, v17, 23, 0x3c000000
	s_delay_alu instid0(VALU_DEP_3) | instskip(NEXT) | instid1(VALU_DEP_1)
	v_and_b32_e32 v20, 0x80000000, v20
	v_or3_b32 v17, v2, v20, v17
.LBB4_638:                              ;   in Loop: Header=BB4_356 Depth=4
	s_or_b32 exec_lo, exec_lo, s74
.LBB4_639:                              ;   in Loop: Header=BB4_356 Depth=4
	s_delay_alu instid0(SALU_CYCLE_1)
	s_or_b32 exec_lo, exec_lo, s73
.LBB4_640:                              ;   in Loop: Header=BB4_356 Depth=4
	s_delay_alu instid0(SALU_CYCLE_1) | instskip(SKIP_2) | instid1(VALU_DEP_1)
	s_or_b32 exec_lo, exec_lo, s13
	v_lshrrev_b16 v2, 8, v18
	s_mov_b32 s13, exec_lo
	v_cmpx_ne_u16_e32 0, v2
	s_cbranch_execz .LBB4_648
; %bb.641:                              ;   in Loop: Header=BB4_356 Depth=4
	v_bfrev_b32_e32 v16, 1
	s_mov_b32 s73, exec_lo
	v_cmpx_ne_u16_e32 0x80, v2
	s_cbranch_execz .LBB4_647
; %bb.642:                              ;   in Loop: Header=BB4_356 Depth=4
	v_and_b32_e32 v2, 0xffff, v2
	v_mov_b32_e32 v16, 0x7f800001
	s_mov_b32 s74, exec_lo
	s_delay_alu instid0(VALU_DEP_2) | instskip(NEXT) | instid1(VALU_DEP_1)
	v_and_b32_e32 v20, 0x7f, v2
	v_cmpx_ne_u32_e32 0x7f, v20
	s_cbranch_execz .LBB4_646
; %bb.643:                              ;   in Loop: Header=BB4_356 Depth=4
	v_dual_lshrrev_b32 v16, 3, v20 :: v_dual_bitop2_b32 v2, 7, v2 bitop3:0x40
	s_mov_b32 s75, exec_lo
	v_cmpx_gt_u32_e32 8, v20
; %bb.644:                              ;   in Loop: Header=BB4_356 Depth=4
	s_delay_alu instid0(VALU_DEP_2) | instskip(NEXT) | instid1(VALU_DEP_1)
	v_clz_i32_u32_e32 v16, v2
	v_min_u32_e32 v16, 32, v16
	s_delay_alu instid0(VALU_DEP_1) | instskip(SKIP_1) | instid1(VALU_DEP_2)
	v_subrev_nc_u32_e32 v20, 28, v16
	v_sub_nc_u32_e32 v16, 29, v16
	v_lshlrev_b64_e32 v[20:21], v20, v[2:3]
	s_delay_alu instid0(VALU_DEP_1)
	v_and_b32_e32 v2, 7, v20
; %bb.645:                              ;   in Loop: Header=BB4_356 Depth=4
	s_or_b32 exec_lo, exec_lo, s75
	v_lshlrev_b32_e32 v20, 16, v18
	s_delay_alu instid0(VALU_DEP_2) | instskip(SKIP_1) | instid1(VALU_DEP_3)
	v_lshlrev_b32_e32 v2, 20, v2
	v_lshl_add_u32 v16, v16, 23, 0x3c000000
	v_and_b32_e32 v20, 0x80000000, v20
	s_delay_alu instid0(VALU_DEP_1)
	v_or3_b32 v16, v2, v20, v16
.LBB4_646:                              ;   in Loop: Header=BB4_356 Depth=4
	s_or_b32 exec_lo, exec_lo, s74
.LBB4_647:                              ;   in Loop: Header=BB4_356 Depth=4
	s_delay_alu instid0(SALU_CYCLE_1)
	s_or_b32 exec_lo, exec_lo, s73
.LBB4_648:                              ;   in Loop: Header=BB4_356 Depth=4
	s_delay_alu instid0(SALU_CYCLE_1) | instskip(NEXT) | instid1(VALU_DEP_1)
	s_or_b32 exec_lo, exec_lo, s13
	v_add_f32_e32 v16, v17, v16
                                        ; implicit-def: $vgpr75
	s_mov_b32 s13, exec_lo
	s_delay_alu instid0(VALU_DEP_1) | instskip(SKIP_1) | instid1(VALU_DEP_2)
	v_and_b32_e32 v2, 0x7f800000, v16
	v_lshrrev_b32_e32 v17, 24, v16
	v_cmpx_ne_u64_e32 0x7f800000, v[2:3]
	s_xor_b32 s73, exec_lo, s13
	s_cbranch_execz .LBB4_662
; %bb.649:                              ;   in Loop: Header=BB4_356 Depth=4
	v_and_b32_e32 v2, 0x7fffffff, v16
	v_and_b32_e32 v26, 0x80, v17
                                        ; implicit-def: $vgpr75
	s_mov_b32 s13, exec_lo
	s_delay_alu instid0(VALU_DEP_2)
	v_cmpx_gt_u64_e32 0x43e00001, v[2:3]
	s_xor_b32 s74, exec_lo, s13
	s_cbranch_execz .LBB4_659
; %bb.650:                              ;   in Loop: Header=BB4_356 Depth=4
	v_mov_b32_e32 v75, 0
	s_mov_b32 s75, exec_lo
	v_cmpx_ne_u32_e32 0, v16
	s_cbranch_execz .LBB4_658
; %bb.651:                              ;   in Loop: Header=BB4_356 Depth=4
	v_bfe_u32 v24, v16, 23, 8
	s_delay_alu instid0(VALU_DEP_1) | instskip(SKIP_1) | instid1(VALU_DEP_2)
	v_sub_nc_u32_e32 v2, 0x79, v24
	v_cmp_gt_u32_e32 vcc_lo, 0x7a, v24
	v_cndmask_b32_e32 v2, 0, v2, vcc_lo
	v_cmp_eq_u32_e32 vcc_lo, 0, v24
	s_delay_alu instid0(VALU_DEP_2) | instskip(SKIP_1) | instid1(VALU_DEP_2)
	v_cndmask_b32_e64 v25, v2, 0x78, vcc_lo
	v_and_b32_e32 v2, 0x7fffff, v16
	v_add_nc_u32_e32 v16, 20, v25
	s_delay_alu instid0(VALU_DEP_2) | instskip(SKIP_1) | instid1(VALU_DEP_3)
	v_or_b32_e32 v20, 0x800000, v2
	v_add_nc_u32_e32 v21, 19, v25
	v_lshlrev_b64_e64 v[16:17], v16, -1
	s_delay_alu instid0(VALU_DEP_3) | instskip(NEXT) | instid1(VALU_DEP_3)
	v_cndmask_b32_e32 v2, v20, v2, vcc_lo
	v_lshlrev_b64_e64 v[20:21], v21, 1
	s_delay_alu instid0(VALU_DEP_3) | instskip(NEXT) | instid1(VALU_DEP_3)
	v_bfi_b32 v29, v17, 0, 0
	v_bfi_b32 v28, v16, 0, v2
	v_lshrrev_b64 v[16:17], v25, v[2:3]
	s_delay_alu instid0(VALU_DEP_2) | instskip(NEXT) | instid1(VALU_DEP_2)
	v_cmp_eq_u64_e64 s13, v[28:29], v[20:21]
	v_mov_b64_e32 v[20:21], v[16:17]
	s_and_saveexec_b32 s76, s13
; %bb.652:                              ;   in Loop: Header=BB4_356 Depth=4
	v_bfe_u32 v2, v16, 20, 1
	s_delay_alu instid0(VALU_DEP_1) | instskip(NEXT) | instid1(VALU_DEP_1)
	v_add_nc_u64_e32 v[20:21], v[16:17], v[2:3]
	v_add_nc_u64_e32 v[20:21], -1, v[20:21]
; %bb.653:                              ;   in Loop: Header=BB4_356 Depth=4
	s_or_b32 exec_lo, exec_lo, s76
	v_add_nc_u32_e32 v2, 0xffffff81, v24
	v_lshrrev_b32_e32 v17, 23, v16
	s_mov_b32 s13, exec_lo
	s_delay_alu instid0(VALU_DEP_2) | instskip(NEXT) | instid1(VALU_DEP_1)
	v_cndmask_b32_e64 v2, v2, 0xffffff82, vcc_lo
	v_add3_u32 v21, v25, v2, v17
	v_and_b32_e32 v2, 0xfffff, v20
                                        ; implicit-def: $vgpr20
	s_delay_alu instid0(VALU_DEP_1) | instskip(NEXT) | instid1(VALU_DEP_1)
	v_dual_add_nc_u32 v24, 6, v21 :: v_dual_add_nc_u32 v2, v2, v16
                                        ; implicit-def: $vgpr16_vgpr17
	v_cmpx_ne_u32_e32 0, v24
	s_xor_b32 s13, exec_lo, s13
; %bb.654:                              ;   in Loop: Header=BB4_356 Depth=4
	s_delay_alu instid0(VALU_DEP_2) | instskip(SKIP_1) | instid1(VALU_DEP_1)
	v_cmp_lt_u64_e32 vcc_lo, 0xffffff, v[2:3]
	v_add_nc_u32_e32 v16, 7, v21
	v_cndmask_b32_e32 v20, v24, v16, vcc_lo
	v_cndmask_b32_e64 v16, 0, 1, vcc_lo
	s_delay_alu instid0(VALU_DEP_1)
	v_lshrrev_b64 v[16:17], v16, v[2:3]
; %bb.655:                              ;   in Loop: Header=BB4_356 Depth=4
	s_and_not1_saveexec_b32 s13, s13
; %bb.656:                              ;   in Loop: Header=BB4_356 Depth=4
	v_mov_b64_e32 v[16:17], v[2:3]
	v_bfe_u32 v20, v2, 23, 1
; %bb.657:                              ;   in Loop: Header=BB4_356 Depth=4
	s_or_b32 exec_lo, exec_lo, s13
	s_delay_alu instid0(VALU_DEP_2) | instskip(NEXT) | instid1(VALU_DEP_2)
	v_lshrrev_b64 v[16:17], 20, v[16:17]
	v_cmp_gt_i32_e32 vcc_lo, 16, v20
	v_min_i32_e32 v2, 15, v20
	v_cmp_eq_u32_e64 s13, 0, v20
	s_delay_alu instid0(VALU_DEP_2) | instskip(SKIP_1) | instid1(VALU_DEP_2)
	v_dual_cndmask_b32 v17, 0, v17 :: v_dual_lshlrev_b32 v2, 3, v2
	v_cndmask_b32_e32 v16, 7, v16, vcc_lo
	v_and_b32_e32 v2, 0xf8, v2
	s_delay_alu instid0(VALU_DEP_2) | instskip(NEXT) | instid1(VALU_DEP_2)
	v_cmp_eq_u64_e32 vcc_lo, 0, v[16:17]
	v_and_or_b32 v2, v16, 7, v2
	s_and_b32 s13, s13, vcc_lo
	s_delay_alu instid0(VALU_DEP_1) | instid1(SALU_CYCLE_1)
	v_cndmask_b32_e64 v2, v2, 0, s13
	s_delay_alu instid0(VALU_DEP_1)
	v_or_b32_e32 v75, v2, v26
.LBB4_658:                              ;   in Loop: Header=BB4_356 Depth=4
	s_or_b32 exec_lo, exec_lo, s75
                                        ; implicit-def: $vgpr26
.LBB4_659:                              ;   in Loop: Header=BB4_356 Depth=4
	s_and_not1_saveexec_b32 s13, s74
; %bb.660:                              ;   in Loop: Header=BB4_356 Depth=4
	v_or_b32_e32 v75, 0x7e, v26
; %bb.661:                              ;   in Loop: Header=BB4_356 Depth=4
	s_or_b32 exec_lo, exec_lo, s13
                                        ; implicit-def: $vgpr17
.LBB4_662:                              ;   in Loop: Header=BB4_356 Depth=4
	s_and_not1_saveexec_b32 s13, s73
; %bb.663:                              ;   in Loop: Header=BB4_356 Depth=4
	v_or_b32_e32 v75, 0x7f, v17
; %bb.664:                              ;   in Loop: Header=BB4_356 Depth=4
	s_or_b32 exec_lo, exec_lo, s13
	v_dual_lshrrev_b32 v20, 16, v22 :: v_dual_mov_b32 v16, 0
	v_mov_b32_e32 v17, 0
	s_mov_b32 s13, exec_lo
	s_delay_alu instid0(VALU_DEP_2) | instskip(NEXT) | instid1(VALU_DEP_1)
	v_and_b32_e32 v2, 0xff, v20
	v_cmpx_ne_u16_e32 0, v2
	s_cbranch_execz .LBB4_672
; %bb.665:                              ;   in Loop: Header=BB4_356 Depth=4
	v_bfrev_b32_e32 v17, 1
	s_mov_b32 s73, exec_lo
	v_cmpx_ne_u16_e32 0x80, v2
	s_cbranch_execz .LBB4_671
; %bb.666:                              ;   in Loop: Header=BB4_356 Depth=4
	v_bfe_u32 v21, v22, 16, 7
	v_mov_b32_e32 v17, 0x7f800001
	s_mov_b32 s74, exec_lo
	s_delay_alu instid0(VALU_DEP_2)
	v_cmpx_ne_u32_e32 0x7f, v21
	s_cbranch_execz .LBB4_670
; %bb.667:                              ;   in Loop: Header=BB4_356 Depth=4
	v_dual_lshrrev_b32 v17, 3, v21 :: v_dual_bitop2_b32 v2, 7, v20 bitop3:0x40
	s_mov_b32 s75, exec_lo
	v_cmpx_gt_u32_e32 8, v21
; %bb.668:                              ;   in Loop: Header=BB4_356 Depth=4
	s_delay_alu instid0(VALU_DEP_2) | instskip(NEXT) | instid1(VALU_DEP_1)
	v_clz_i32_u32_e32 v17, v2
	v_min_u32_e32 v17, 32, v17
	s_delay_alu instid0(VALU_DEP_1) | instskip(NEXT) | instid1(VALU_DEP_1)
	v_subrev_nc_u32_e32 v21, 28, v17
	v_lshlrev_b64_e32 v[24:25], v21, v[2:3]
	s_delay_alu instid0(VALU_DEP_1)
	v_dual_sub_nc_u32 v17, 29, v17 :: v_dual_bitop2_b32 v2, 7, v24 bitop3:0x40
; %bb.669:                              ;   in Loop: Header=BB4_356 Depth=4
	s_or_b32 exec_lo, exec_lo, s75
	s_delay_alu instid0(VALU_DEP_1) | instskip(NEXT) | instid1(VALU_DEP_2)
	v_dual_lshlrev_b32 v20, 24, v20 :: v_dual_lshlrev_b32 v2, 20, v2
	v_lshl_add_u32 v17, v17, 23, 0x3c000000
	s_delay_alu instid0(VALU_DEP_2) | instskip(NEXT) | instid1(VALU_DEP_1)
	v_and_b32_e32 v20, 0x80000000, v20
	v_or3_b32 v17, v2, v20, v17
.LBB4_670:                              ;   in Loop: Header=BB4_356 Depth=4
	s_or_b32 exec_lo, exec_lo, s74
.LBB4_671:                              ;   in Loop: Header=BB4_356 Depth=4
	s_delay_alu instid0(SALU_CYCLE_1)
	s_or_b32 exec_lo, exec_lo, s73
.LBB4_672:                              ;   in Loop: Header=BB4_356 Depth=4
	s_delay_alu instid0(SALU_CYCLE_1) | instskip(SKIP_2) | instid1(VALU_DEP_1)
	s_or_b32 exec_lo, exec_lo, s13
	v_lshrrev_b32_e32 v2, 16, v18
	s_mov_b32 s13, exec_lo
	v_and_b32_e32 v20, 0xff, v2
	s_delay_alu instid0(VALU_DEP_1)
	v_cmpx_ne_u16_e32 0, v20
	s_cbranch_execz .LBB4_680
; %bb.673:                              ;   in Loop: Header=BB4_356 Depth=4
	v_bfrev_b32_e32 v16, 1
	s_mov_b32 s73, exec_lo
	v_cmpx_ne_u16_e32 0x80, v20
	s_cbranch_execz .LBB4_679
; %bb.674:                              ;   in Loop: Header=BB4_356 Depth=4
	v_bfe_u32 v20, v18, 16, 7
	v_mov_b32_e32 v16, 0x7f800001
	s_mov_b32 s74, exec_lo
	s_delay_alu instid0(VALU_DEP_2)
	v_cmpx_ne_u32_e32 0x7f, v20
	s_cbranch_execz .LBB4_678
; %bb.675:                              ;   in Loop: Header=BB4_356 Depth=4
	v_dual_lshrrev_b32 v16, 3, v20 :: v_dual_bitop2_b32 v2, 7, v2 bitop3:0x40
	s_mov_b32 s75, exec_lo
	v_cmpx_gt_u32_e32 8, v20
; %bb.676:                              ;   in Loop: Header=BB4_356 Depth=4
	s_delay_alu instid0(VALU_DEP_2) | instskip(NEXT) | instid1(VALU_DEP_1)
	v_clz_i32_u32_e32 v16, v2
	v_min_u32_e32 v16, 32, v16
	s_delay_alu instid0(VALU_DEP_1) | instskip(SKIP_1) | instid1(VALU_DEP_2)
	v_subrev_nc_u32_e32 v20, 28, v16
	v_sub_nc_u32_e32 v16, 29, v16
	v_lshlrev_b64_e32 v[20:21], v20, v[2:3]
	s_delay_alu instid0(VALU_DEP_1)
	v_and_b32_e32 v2, 7, v20
; %bb.677:                              ;   in Loop: Header=BB4_356 Depth=4
	s_or_b32 exec_lo, exec_lo, s75
	v_lshlrev_b32_e32 v20, 8, v18
	s_delay_alu instid0(VALU_DEP_2) | instskip(SKIP_1) | instid1(VALU_DEP_3)
	v_lshlrev_b32_e32 v2, 20, v2
	v_lshl_add_u32 v16, v16, 23, 0x3c000000
	v_and_b32_e32 v20, 0x80000000, v20
	s_delay_alu instid0(VALU_DEP_1)
	v_or3_b32 v16, v2, v20, v16
.LBB4_678:                              ;   in Loop: Header=BB4_356 Depth=4
	s_or_b32 exec_lo, exec_lo, s74
.LBB4_679:                              ;   in Loop: Header=BB4_356 Depth=4
	s_delay_alu instid0(SALU_CYCLE_1)
	s_or_b32 exec_lo, exec_lo, s73
.LBB4_680:                              ;   in Loop: Header=BB4_356 Depth=4
	s_delay_alu instid0(SALU_CYCLE_1) | instskip(NEXT) | instid1(VALU_DEP_1)
	s_or_b32 exec_lo, exec_lo, s13
	v_add_f32_e32 v16, v17, v16
                                        ; implicit-def: $vgpr107
	s_mov_b32 s13, exec_lo
	s_delay_alu instid0(VALU_DEP_1) | instskip(SKIP_1) | instid1(VALU_DEP_2)
	v_and_b32_e32 v2, 0x7f800000, v16
	v_lshrrev_b32_e32 v17, 24, v16
	v_cmpx_ne_u64_e32 0x7f800000, v[2:3]
	s_xor_b32 s73, exec_lo, s13
	s_cbranch_execz .LBB4_694
; %bb.681:                              ;   in Loop: Header=BB4_356 Depth=4
	v_and_b32_e32 v2, 0x7fffffff, v16
	v_and_b32_e32 v26, 0x80, v17
                                        ; implicit-def: $vgpr107
	s_mov_b32 s13, exec_lo
	s_delay_alu instid0(VALU_DEP_2)
	v_cmpx_gt_u64_e32 0x43e00001, v[2:3]
	s_xor_b32 s74, exec_lo, s13
	s_cbranch_execz .LBB4_691
; %bb.682:                              ;   in Loop: Header=BB4_356 Depth=4
	v_mov_b32_e32 v107, 0
	s_mov_b32 s75, exec_lo
	v_cmpx_ne_u32_e32 0, v16
	s_cbranch_execz .LBB4_690
; %bb.683:                              ;   in Loop: Header=BB4_356 Depth=4
	v_bfe_u32 v24, v16, 23, 8
	s_delay_alu instid0(VALU_DEP_1) | instskip(SKIP_1) | instid1(VALU_DEP_2)
	v_sub_nc_u32_e32 v2, 0x79, v24
	v_cmp_gt_u32_e32 vcc_lo, 0x7a, v24
	v_cndmask_b32_e32 v2, 0, v2, vcc_lo
	v_cmp_eq_u32_e32 vcc_lo, 0, v24
	s_delay_alu instid0(VALU_DEP_2) | instskip(SKIP_1) | instid1(VALU_DEP_2)
	v_cndmask_b32_e64 v25, v2, 0x78, vcc_lo
	v_and_b32_e32 v2, 0x7fffff, v16
	v_add_nc_u32_e32 v16, 20, v25
	s_delay_alu instid0(VALU_DEP_2) | instskip(SKIP_1) | instid1(VALU_DEP_3)
	v_or_b32_e32 v20, 0x800000, v2
	v_add_nc_u32_e32 v21, 19, v25
	v_lshlrev_b64_e64 v[16:17], v16, -1
	s_delay_alu instid0(VALU_DEP_3) | instskip(NEXT) | instid1(VALU_DEP_3)
	v_cndmask_b32_e32 v2, v20, v2, vcc_lo
	v_lshlrev_b64_e64 v[20:21], v21, 1
	s_delay_alu instid0(VALU_DEP_3) | instskip(NEXT) | instid1(VALU_DEP_3)
	v_bfi_b32 v29, v17, 0, 0
	v_bfi_b32 v28, v16, 0, v2
	v_lshrrev_b64 v[16:17], v25, v[2:3]
	s_delay_alu instid0(VALU_DEP_2) | instskip(NEXT) | instid1(VALU_DEP_2)
	v_cmp_eq_u64_e64 s13, v[28:29], v[20:21]
	v_mov_b64_e32 v[20:21], v[16:17]
	s_and_saveexec_b32 s76, s13
; %bb.684:                              ;   in Loop: Header=BB4_356 Depth=4
	v_bfe_u32 v2, v16, 20, 1
	s_delay_alu instid0(VALU_DEP_1) | instskip(NEXT) | instid1(VALU_DEP_1)
	v_add_nc_u64_e32 v[20:21], v[16:17], v[2:3]
	v_add_nc_u64_e32 v[20:21], -1, v[20:21]
; %bb.685:                              ;   in Loop: Header=BB4_356 Depth=4
	s_or_b32 exec_lo, exec_lo, s76
	v_add_nc_u32_e32 v2, 0xffffff81, v24
	v_lshrrev_b32_e32 v17, 23, v16
	s_mov_b32 s13, exec_lo
	s_delay_alu instid0(VALU_DEP_2) | instskip(NEXT) | instid1(VALU_DEP_1)
	v_cndmask_b32_e64 v2, v2, 0xffffff82, vcc_lo
	v_add3_u32 v21, v25, v2, v17
	v_and_b32_e32 v2, 0xfffff, v20
                                        ; implicit-def: $vgpr20
	s_delay_alu instid0(VALU_DEP_1) | instskip(NEXT) | instid1(VALU_DEP_1)
	v_dual_add_nc_u32 v24, 6, v21 :: v_dual_add_nc_u32 v2, v2, v16
                                        ; implicit-def: $vgpr16_vgpr17
	v_cmpx_ne_u32_e32 0, v24
	s_xor_b32 s13, exec_lo, s13
; %bb.686:                              ;   in Loop: Header=BB4_356 Depth=4
	s_delay_alu instid0(VALU_DEP_2) | instskip(SKIP_1) | instid1(VALU_DEP_1)
	v_cmp_lt_u64_e32 vcc_lo, 0xffffff, v[2:3]
	v_add_nc_u32_e32 v16, 7, v21
	v_cndmask_b32_e32 v20, v24, v16, vcc_lo
	v_cndmask_b32_e64 v16, 0, 1, vcc_lo
	s_delay_alu instid0(VALU_DEP_1)
	v_lshrrev_b64 v[16:17], v16, v[2:3]
; %bb.687:                              ;   in Loop: Header=BB4_356 Depth=4
	s_and_not1_saveexec_b32 s13, s13
; %bb.688:                              ;   in Loop: Header=BB4_356 Depth=4
	v_mov_b64_e32 v[16:17], v[2:3]
	v_bfe_u32 v20, v2, 23, 1
; %bb.689:                              ;   in Loop: Header=BB4_356 Depth=4
	s_or_b32 exec_lo, exec_lo, s13
	s_delay_alu instid0(VALU_DEP_2) | instskip(NEXT) | instid1(VALU_DEP_2)
	v_lshrrev_b64 v[16:17], 20, v[16:17]
	v_cmp_gt_i32_e32 vcc_lo, 16, v20
	v_min_i32_e32 v2, 15, v20
	v_cmp_eq_u32_e64 s13, 0, v20
	s_delay_alu instid0(VALU_DEP_2) | instskip(SKIP_1) | instid1(VALU_DEP_2)
	v_dual_cndmask_b32 v17, 0, v17 :: v_dual_lshlrev_b32 v2, 3, v2
	v_cndmask_b32_e32 v16, 7, v16, vcc_lo
	v_and_b32_e32 v2, 0xf8, v2
	s_delay_alu instid0(VALU_DEP_2) | instskip(NEXT) | instid1(VALU_DEP_2)
	v_cmp_eq_u64_e32 vcc_lo, 0, v[16:17]
	v_and_or_b32 v2, v16, 7, v2
	s_and_b32 s13, s13, vcc_lo
	s_delay_alu instid0(VALU_DEP_1) | instid1(SALU_CYCLE_1)
	v_cndmask_b32_e64 v2, v2, 0, s13
	s_delay_alu instid0(VALU_DEP_1)
	v_or_b32_e32 v107, v2, v26
.LBB4_690:                              ;   in Loop: Header=BB4_356 Depth=4
	s_or_b32 exec_lo, exec_lo, s75
                                        ; implicit-def: $vgpr26
.LBB4_691:                              ;   in Loop: Header=BB4_356 Depth=4
	s_and_not1_saveexec_b32 s13, s74
; %bb.692:                              ;   in Loop: Header=BB4_356 Depth=4
	v_or_b32_e32 v107, 0x7e, v26
; %bb.693:                              ;   in Loop: Header=BB4_356 Depth=4
	s_or_b32 exec_lo, exec_lo, s13
                                        ; implicit-def: $vgpr17
.LBB4_694:                              ;   in Loop: Header=BB4_356 Depth=4
	s_and_not1_saveexec_b32 s13, s73
; %bb.695:                              ;   in Loop: Header=BB4_356 Depth=4
	v_or_b32_e32 v107, 0x7f, v17
; %bb.696:                              ;   in Loop: Header=BB4_356 Depth=4
	s_or_b32 exec_lo, exec_lo, s13
	v_dual_mov_b32 v16, 0 :: v_dual_mov_b32 v17, 0
	s_mov_b32 s13, exec_lo
	v_cmpx_lt_u32_e32 0xffffff, v22
	s_cbranch_execz .LBB4_704
; %bb.697:                              ;   in Loop: Header=BB4_356 Depth=4
	v_lshrrev_b32_e32 v20, 24, v22
	v_bfrev_b32_e32 v17, 1
	s_mov_b32 s73, exec_lo
	s_delay_alu instid0(VALU_DEP_2)
	v_cmpx_ne_u32_e32 0x80, v20
	s_cbranch_execz .LBB4_703
; %bb.698:                              ;   in Loop: Header=BB4_356 Depth=4
	v_bfe_u32 v21, v22, 24, 7
	v_mov_b32_e32 v17, 0x7f800001
	s_mov_b32 s74, exec_lo
	s_delay_alu instid0(VALU_DEP_2)
	v_cmpx_ne_u32_e32 0x7f, v21
	s_cbranch_execz .LBB4_702
; %bb.699:                              ;   in Loop: Header=BB4_356 Depth=4
	v_dual_lshrrev_b32 v17, 3, v21 :: v_dual_bitop2_b32 v2, 7, v20 bitop3:0x40
	s_mov_b32 s75, exec_lo
	v_cmpx_gt_u32_e32 8, v21
; %bb.700:                              ;   in Loop: Header=BB4_356 Depth=4
	s_delay_alu instid0(VALU_DEP_2) | instskip(NEXT) | instid1(VALU_DEP_1)
	v_clz_i32_u32_e32 v17, v2
	v_min_u32_e32 v17, 32, v17
	s_delay_alu instid0(VALU_DEP_1) | instskip(NEXT) | instid1(VALU_DEP_1)
	v_subrev_nc_u32_e32 v21, 28, v17
	v_lshlrev_b64_e32 v[24:25], v21, v[2:3]
	s_delay_alu instid0(VALU_DEP_1)
	v_dual_sub_nc_u32 v17, 29, v17 :: v_dual_bitop2_b32 v2, 7, v24 bitop3:0x40
; %bb.701:                              ;   in Loop: Header=BB4_356 Depth=4
	s_or_b32 exec_lo, exec_lo, s75
	s_delay_alu instid0(VALU_DEP_1) | instskip(NEXT) | instid1(VALU_DEP_2)
	v_dual_lshlrev_b32 v20, 24, v20 :: v_dual_lshlrev_b32 v2, 20, v2
	v_lshl_add_u32 v17, v17, 23, 0x3c000000
	s_delay_alu instid0(VALU_DEP_2) | instskip(NEXT) | instid1(VALU_DEP_1)
	v_and_b32_e32 v20, 0x80000000, v20
	v_or3_b32 v17, v2, v20, v17
.LBB4_702:                              ;   in Loop: Header=BB4_356 Depth=4
	s_or_b32 exec_lo, exec_lo, s74
.LBB4_703:                              ;   in Loop: Header=BB4_356 Depth=4
	s_delay_alu instid0(SALU_CYCLE_1)
	s_or_b32 exec_lo, exec_lo, s73
.LBB4_704:                              ;   in Loop: Header=BB4_356 Depth=4
	s_delay_alu instid0(SALU_CYCLE_1) | instskip(NEXT) | instid1(SALU_CYCLE_1)
	s_or_b32 exec_lo, exec_lo, s13
	s_mov_b32 s13, exec_lo
	v_cmpx_lt_u32_e32 0xffffff, v18
	s_cbranch_execz .LBB4_712
; %bb.705:                              ;   in Loop: Header=BB4_356 Depth=4
	v_lshrrev_b32_e32 v20, 24, v18
	v_bfrev_b32_e32 v16, 1
	s_mov_b32 s73, exec_lo
	s_delay_alu instid0(VALU_DEP_2)
	v_cmpx_ne_u32_e32 0x80, v20
	s_cbranch_execz .LBB4_711
; %bb.706:                              ;   in Loop: Header=BB4_356 Depth=4
	v_bfe_u32 v21, v18, 24, 7
	v_mov_b32_e32 v16, 0x7f800001
	s_mov_b32 s74, exec_lo
	s_delay_alu instid0(VALU_DEP_2)
	v_cmpx_ne_u32_e32 0x7f, v21
	s_cbranch_execz .LBB4_710
; %bb.707:                              ;   in Loop: Header=BB4_356 Depth=4
	v_dual_lshrrev_b32 v16, 3, v21 :: v_dual_bitop2_b32 v2, 7, v20 bitop3:0x40
	s_mov_b32 s75, exec_lo
	v_cmpx_gt_u32_e32 8, v21
; %bb.708:                              ;   in Loop: Header=BB4_356 Depth=4
	s_delay_alu instid0(VALU_DEP_2) | instskip(NEXT) | instid1(VALU_DEP_1)
	v_clz_i32_u32_e32 v16, v2
	v_min_u32_e32 v16, 32, v16
	s_delay_alu instid0(VALU_DEP_1) | instskip(SKIP_1) | instid1(VALU_DEP_2)
	v_subrev_nc_u32_e32 v21, 28, v16
	v_sub_nc_u32_e32 v16, 29, v16
	v_lshlrev_b64_e32 v[24:25], v21, v[2:3]
	s_delay_alu instid0(VALU_DEP_1)
	v_and_b32_e32 v2, 7, v24
; %bb.709:                              ;   in Loop: Header=BB4_356 Depth=4
	s_or_b32 exec_lo, exec_lo, s75
	s_delay_alu instid0(VALU_DEP_1) | instskip(SKIP_1) | instid1(VALU_DEP_2)
	v_dual_lshlrev_b32 v20, 24, v20 :: v_dual_lshlrev_b32 v2, 20, v2
	v_lshl_add_u32 v16, v16, 23, 0x3c000000
	v_and_b32_e32 v20, 0x80000000, v20
	s_delay_alu instid0(VALU_DEP_1)
	v_or3_b32 v16, v2, v20, v16
.LBB4_710:                              ;   in Loop: Header=BB4_356 Depth=4
	s_or_b32 exec_lo, exec_lo, s74
.LBB4_711:                              ;   in Loop: Header=BB4_356 Depth=4
	s_delay_alu instid0(SALU_CYCLE_1)
	s_or_b32 exec_lo, exec_lo, s73
.LBB4_712:                              ;   in Loop: Header=BB4_356 Depth=4
	s_delay_alu instid0(SALU_CYCLE_1) | instskip(NEXT) | instid1(VALU_DEP_1)
	s_or_b32 exec_lo, exec_lo, s13
	v_add_f32_e32 v16, v17, v16
                                        ; implicit-def: $vgpr108
	s_mov_b32 s13, exec_lo
	s_delay_alu instid0(VALU_DEP_1) | instskip(SKIP_1) | instid1(VALU_DEP_2)
	v_and_b32_e32 v2, 0x7f800000, v16
	v_lshrrev_b32_e32 v17, 24, v16
	v_cmpx_ne_u64_e32 0x7f800000, v[2:3]
	s_xor_b32 s73, exec_lo, s13
	s_cbranch_execz .LBB4_726
; %bb.713:                              ;   in Loop: Header=BB4_356 Depth=4
	v_and_b32_e32 v2, 0x7fffffff, v16
	v_and_b32_e32 v26, 0x80, v17
                                        ; implicit-def: $vgpr108
	s_mov_b32 s13, exec_lo
	s_delay_alu instid0(VALU_DEP_2)
	v_cmpx_gt_u64_e32 0x43e00001, v[2:3]
	s_xor_b32 s74, exec_lo, s13
	s_cbranch_execz .LBB4_723
; %bb.714:                              ;   in Loop: Header=BB4_356 Depth=4
	v_mov_b32_e32 v108, 0
	s_mov_b32 s75, exec_lo
	v_cmpx_ne_u32_e32 0, v16
	s_cbranch_execz .LBB4_722
; %bb.715:                              ;   in Loop: Header=BB4_356 Depth=4
	v_bfe_u32 v24, v16, 23, 8
	s_delay_alu instid0(VALU_DEP_1) | instskip(SKIP_1) | instid1(VALU_DEP_2)
	v_sub_nc_u32_e32 v2, 0x79, v24
	v_cmp_gt_u32_e32 vcc_lo, 0x7a, v24
	v_cndmask_b32_e32 v2, 0, v2, vcc_lo
	v_cmp_eq_u32_e32 vcc_lo, 0, v24
	s_delay_alu instid0(VALU_DEP_2) | instskip(SKIP_1) | instid1(VALU_DEP_2)
	v_cndmask_b32_e64 v25, v2, 0x78, vcc_lo
	v_and_b32_e32 v2, 0x7fffff, v16
	v_add_nc_u32_e32 v16, 20, v25
	s_delay_alu instid0(VALU_DEP_2) | instskip(SKIP_1) | instid1(VALU_DEP_3)
	v_or_b32_e32 v20, 0x800000, v2
	v_add_nc_u32_e32 v21, 19, v25
	v_lshlrev_b64_e64 v[16:17], v16, -1
	s_delay_alu instid0(VALU_DEP_3) | instskip(NEXT) | instid1(VALU_DEP_3)
	v_cndmask_b32_e32 v2, v20, v2, vcc_lo
	v_lshlrev_b64_e64 v[20:21], v21, 1
	s_delay_alu instid0(VALU_DEP_3) | instskip(NEXT) | instid1(VALU_DEP_3)
	v_bfi_b32 v29, v17, 0, 0
	v_bfi_b32 v28, v16, 0, v2
	v_lshrrev_b64 v[16:17], v25, v[2:3]
	s_delay_alu instid0(VALU_DEP_2) | instskip(NEXT) | instid1(VALU_DEP_2)
	v_cmp_eq_u64_e64 s13, v[28:29], v[20:21]
	v_mov_b64_e32 v[20:21], v[16:17]
	s_and_saveexec_b32 s76, s13
; %bb.716:                              ;   in Loop: Header=BB4_356 Depth=4
	v_bfe_u32 v2, v16, 20, 1
	s_delay_alu instid0(VALU_DEP_1) | instskip(NEXT) | instid1(VALU_DEP_1)
	v_add_nc_u64_e32 v[20:21], v[16:17], v[2:3]
	v_add_nc_u64_e32 v[20:21], -1, v[20:21]
; %bb.717:                              ;   in Loop: Header=BB4_356 Depth=4
	s_or_b32 exec_lo, exec_lo, s76
	v_add_nc_u32_e32 v2, 0xffffff81, v24
	v_lshrrev_b32_e32 v17, 23, v16
	s_mov_b32 s13, exec_lo
	s_delay_alu instid0(VALU_DEP_2) | instskip(NEXT) | instid1(VALU_DEP_1)
	v_cndmask_b32_e64 v2, v2, 0xffffff82, vcc_lo
	v_add3_u32 v21, v25, v2, v17
	v_and_b32_e32 v2, 0xfffff, v20
                                        ; implicit-def: $vgpr20
	s_delay_alu instid0(VALU_DEP_1) | instskip(NEXT) | instid1(VALU_DEP_1)
	v_dual_add_nc_u32 v24, 6, v21 :: v_dual_add_nc_u32 v2, v2, v16
                                        ; implicit-def: $vgpr16_vgpr17
	v_cmpx_ne_u32_e32 0, v24
	s_xor_b32 s13, exec_lo, s13
; %bb.718:                              ;   in Loop: Header=BB4_356 Depth=4
	s_delay_alu instid0(VALU_DEP_2) | instskip(SKIP_1) | instid1(VALU_DEP_1)
	v_cmp_lt_u64_e32 vcc_lo, 0xffffff, v[2:3]
	v_add_nc_u32_e32 v16, 7, v21
	v_cndmask_b32_e32 v20, v24, v16, vcc_lo
	v_cndmask_b32_e64 v16, 0, 1, vcc_lo
	s_delay_alu instid0(VALU_DEP_1)
	v_lshrrev_b64 v[16:17], v16, v[2:3]
; %bb.719:                              ;   in Loop: Header=BB4_356 Depth=4
	s_and_not1_saveexec_b32 s13, s13
; %bb.720:                              ;   in Loop: Header=BB4_356 Depth=4
	v_mov_b64_e32 v[16:17], v[2:3]
	v_bfe_u32 v20, v2, 23, 1
; %bb.721:                              ;   in Loop: Header=BB4_356 Depth=4
	s_or_b32 exec_lo, exec_lo, s13
	s_delay_alu instid0(VALU_DEP_2) | instskip(NEXT) | instid1(VALU_DEP_2)
	v_lshrrev_b64 v[16:17], 20, v[16:17]
	v_cmp_gt_i32_e32 vcc_lo, 16, v20
	v_min_i32_e32 v2, 15, v20
	v_cmp_eq_u32_e64 s13, 0, v20
	s_delay_alu instid0(VALU_DEP_2) | instskip(SKIP_1) | instid1(VALU_DEP_2)
	v_dual_cndmask_b32 v17, 0, v17 :: v_dual_lshlrev_b32 v2, 3, v2
	v_cndmask_b32_e32 v16, 7, v16, vcc_lo
	v_and_b32_e32 v2, 0xf8, v2
	s_delay_alu instid0(VALU_DEP_2) | instskip(NEXT) | instid1(VALU_DEP_2)
	v_cmp_eq_u64_e32 vcc_lo, 0, v[16:17]
	v_and_or_b32 v2, v16, 7, v2
	s_and_b32 s13, s13, vcc_lo
	s_delay_alu instid0(VALU_DEP_1) | instid1(SALU_CYCLE_1)
	v_cndmask_b32_e64 v2, v2, 0, s13
	s_delay_alu instid0(VALU_DEP_1)
	v_or_b32_e32 v108, v2, v26
.LBB4_722:                              ;   in Loop: Header=BB4_356 Depth=4
	s_or_b32 exec_lo, exec_lo, s75
                                        ; implicit-def: $vgpr26
.LBB4_723:                              ;   in Loop: Header=BB4_356 Depth=4
	s_and_not1_saveexec_b32 s13, s74
; %bb.724:                              ;   in Loop: Header=BB4_356 Depth=4
	v_or_b32_e32 v108, 0x7e, v26
; %bb.725:                              ;   in Loop: Header=BB4_356 Depth=4
	s_or_b32 exec_lo, exec_lo, s13
                                        ; implicit-def: $vgpr17
.LBB4_726:                              ;   in Loop: Header=BB4_356 Depth=4
	s_and_not1_saveexec_b32 s13, s73
; %bb.727:                              ;   in Loop: Header=BB4_356 Depth=4
	v_or_b32_e32 v108, 0x7f, v17
; %bb.728:                              ;   in Loop: Header=BB4_356 Depth=4
	s_or_b32 exec_lo, exec_lo, s13
	v_and_b32_e32 v20, 0xff, v23
	v_dual_mov_b32 v2, v23 :: v_dual_mov_b32 v17, 0
	v_mov_b32_e32 v16, 0
	s_mov_b32 s13, exec_lo
	s_delay_alu instid0(VALU_DEP_3)
	v_cmpx_ne_u16_e32 0, v20
	s_cbranch_execz .LBB4_734
; %bb.729:                              ;   in Loop: Header=BB4_356 Depth=4
	v_bfrev_b32_e32 v16, 1
	s_mov_b32 s73, exec_lo
	v_cmpx_ne_u16_e32 0x80, v20
	s_cbranch_execz .LBB4_733
; %bb.730:                              ;   in Loop: Header=BB4_356 Depth=4
	v_and_b32_e32 v20, 0x7f, v23
	v_mov_b32_e32 v16, 0x7f800001
	s_mov_b32 s74, exec_lo
	s_delay_alu instid0(VALU_DEP_2)
	v_cmpx_ne_u32_e32 0x7f, v20
	s_cbranch_execz .LBB4_732
; %bb.731:                              ;   in Loop: Header=BB4_356 Depth=4
	v_dual_lshrrev_b32 v21, 3, v20 :: v_dual_bitop2_b32 v16, 7, v23 bitop3:0x40
	v_cmp_gt_u32_e32 vcc_lo, 8, v20
	s_delay_alu instid0(VALU_DEP_2) | instskip(NEXT) | instid1(VALU_DEP_1)
	v_clz_i32_u32_e32 v16, v16
	v_min_u32_e32 v16, 32, v16
	s_delay_alu instid0(VALU_DEP_1) | instskip(SKIP_1) | instid1(VALU_DEP_2)
	v_subrev_nc_u32_e32 v24, 28, v16
	v_sub_nc_u32_e32 v16, 29, v16
	v_cndmask_b32_e32 v20, 0, v24, vcc_lo
	s_delay_alu instid0(VALU_DEP_2) | instskip(NEXT) | instid1(VALU_DEP_2)
	v_cndmask_b32_e32 v16, v21, v16, vcc_lo
	v_lshlrev_b64_e32 v[20:21], v20, v[2:3]
	v_lshlrev_b32_e32 v21, 24, v2
	s_delay_alu instid0(VALU_DEP_3) | instskip(NEXT) | instid1(VALU_DEP_2)
	v_lshl_add_u32 v16, v16, 23, 0x3c000000
	v_and_b32_e32 v21, 0x80000000, v21
	s_delay_alu instid0(VALU_DEP_4) | instskip(NEXT) | instid1(VALU_DEP_1)
	v_lshlrev_b32_e32 v20, 20, v20
	v_and_b32_e32 v20, 0x700000, v20
	s_delay_alu instid0(VALU_DEP_1)
	v_or3_b32 v16, v20, v21, v16
.LBB4_732:                              ;   in Loop: Header=BB4_356 Depth=4
	s_or_b32 exec_lo, exec_lo, s74
.LBB4_733:                              ;   in Loop: Header=BB4_356 Depth=4
	s_delay_alu instid0(SALU_CYCLE_1)
	s_or_b32 exec_lo, exec_lo, s73
.LBB4_734:                              ;   in Loop: Header=BB4_356 Depth=4
	s_delay_alu instid0(SALU_CYCLE_1) | instskip(SKIP_2) | instid1(VALU_DEP_1)
	s_or_b32 exec_lo, exec_lo, s13
	v_and_b32_e32 v20, 0xff, v19
	s_mov_b32 s13, exec_lo
	v_cmpx_ne_u16_e32 0, v20
	s_cbranch_execz .LBB4_740
; %bb.735:                              ;   in Loop: Header=BB4_356 Depth=4
	v_bfrev_b32_e32 v17, 1
	s_mov_b32 s73, exec_lo
	v_cmpx_ne_u16_e32 0x80, v20
	s_cbranch_execz .LBB4_739
; %bb.736:                              ;   in Loop: Header=BB4_356 Depth=4
	v_and_b32_e32 v20, 0x7f, v19
	v_mov_b32_e32 v17, 0x7f800001
	s_mov_b32 s74, exec_lo
	s_delay_alu instid0(VALU_DEP_2)
	v_cmpx_ne_u32_e32 0x7f, v20
	s_cbranch_execz .LBB4_738
; %bb.737:                              ;   in Loop: Header=BB4_356 Depth=4
	v_dual_lshrrev_b32 v24, 3, v20 :: v_dual_bitop2_b32 v17, 7, v19 bitop3:0x40
	v_cmp_gt_u32_e32 vcc_lo, 8, v20
	v_mov_b32_e32 v20, v19
	s_delay_alu instid0(VALU_DEP_3) | instskip(NEXT) | instid1(VALU_DEP_1)
	v_clz_i32_u32_e32 v17, v17
	v_min_u32_e32 v17, 32, v17
	s_delay_alu instid0(VALU_DEP_1) | instskip(SKIP_1) | instid1(VALU_DEP_2)
	v_sub_nc_u32_e32 v25, 29, v17
	v_subrev_nc_u32_e32 v17, 28, v17
	v_dual_mov_b32 v21, v3 :: v_dual_cndmask_b32 v26, v24, v25
	s_delay_alu instid0(VALU_DEP_2) | instskip(NEXT) | instid1(VALU_DEP_1)
	v_cndmask_b32_e32 v17, 0, v17, vcc_lo
	v_lshlrev_b64_e32 v[24:25], v17, v[20:21]
	v_lshlrev_b32_e32 v17, 24, v20
	s_delay_alu instid0(VALU_DEP_4) | instskip(NEXT) | instid1(VALU_DEP_2)
	v_lshl_add_u32 v21, v26, 23, 0x3c000000
	v_and_b32_e32 v17, 0x80000000, v17
	s_delay_alu instid0(VALU_DEP_4) | instskip(NEXT) | instid1(VALU_DEP_1)
	v_lshlrev_b32_e32 v20, 20, v24
	v_and_b32_e32 v20, 0x700000, v20
	s_delay_alu instid0(VALU_DEP_1)
	v_or3_b32 v17, v20, v17, v21
.LBB4_738:                              ;   in Loop: Header=BB4_356 Depth=4
	s_or_b32 exec_lo, exec_lo, s74
.LBB4_739:                              ;   in Loop: Header=BB4_356 Depth=4
	s_delay_alu instid0(SALU_CYCLE_1)
	s_or_b32 exec_lo, exec_lo, s73
.LBB4_740:                              ;   in Loop: Header=BB4_356 Depth=4
	s_delay_alu instid0(SALU_CYCLE_1) | instskip(NEXT) | instid1(VALU_DEP_1)
	s_or_b32 exec_lo, exec_lo, s13
	v_dual_add_f32 v16, v16, v17 :: v_dual_mov_b32 v21, v3
                                        ; implicit-def: $vgpr109
	s_mov_b32 s13, exec_lo
	s_delay_alu instid0(VALU_DEP_1) | instskip(SKIP_1) | instid1(VALU_DEP_2)
	v_and_b32_e32 v20, 0x7f800000, v16
	v_lshrrev_b32_e32 v17, 24, v16
	v_cmpx_ne_u64_e32 0x7f800000, v[20:21]
	s_xor_b32 s73, exec_lo, s13
	s_cbranch_execz .LBB4_754
; %bb.741:                              ;   in Loop: Header=BB4_356 Depth=4
	v_and_b32_e32 v20, 0x7fffffff, v16
	v_mov_b32_e32 v21, v3
	v_and_b32_e32 v26, 0x80, v17
                                        ; implicit-def: $vgpr109
	s_mov_b32 s13, exec_lo
	s_delay_alu instid0(VALU_DEP_2)
	v_cmpx_gt_u64_e32 0x43e00001, v[20:21]
	s_xor_b32 s74, exec_lo, s13
	s_cbranch_execz .LBB4_751
; %bb.742:                              ;   in Loop: Header=BB4_356 Depth=4
	v_mov_b32_e32 v109, 0
	s_mov_b32 s75, exec_lo
	v_cmpx_ne_u32_e32 0, v16
	s_cbranch_execz .LBB4_750
; %bb.743:                              ;   in Loop: Header=BB4_356 Depth=4
	v_bfe_u32 v24, v16, 23, 8
	v_and_b32_e32 v20, 0x7fffff, v16
	s_mov_b32 s76, exec_lo
	s_delay_alu instid0(VALU_DEP_2) | instskip(SKIP_1) | instid1(VALU_DEP_3)
	v_sub_nc_u32_e32 v17, 0x79, v24
	v_cmp_gt_u32_e32 vcc_lo, 0x7a, v24
	v_or_b32_e32 v21, 0x800000, v20
	s_delay_alu instid0(VALU_DEP_3) | instskip(SKIP_1) | instid1(VALU_DEP_3)
	v_cndmask_b32_e32 v17, 0, v17, vcc_lo
	v_cmp_eq_u32_e32 vcc_lo, 0, v24
	v_cndmask_b32_e32 v20, v21, v20, vcc_lo
	s_delay_alu instid0(VALU_DEP_3) | instskip(NEXT) | instid1(VALU_DEP_1)
	v_cndmask_b32_e64 v25, v17, 0x78, vcc_lo
	v_dual_mov_b32 v21, v3 :: v_dual_add_nc_u32 v16, 20, v25
	v_add_nc_u32_e32 v27, 19, v25
	s_delay_alu instid0(VALU_DEP_2) | instskip(NEXT) | instid1(VALU_DEP_2)
	v_lshlrev_b64_e64 v[16:17], v16, -1
	v_lshlrev_b64_e64 v[28:29], v27, 1
	s_delay_alu instid0(VALU_DEP_2) | instskip(NEXT) | instid1(VALU_DEP_3)
	v_bfi_b32 v69, v17, 0, 0
	v_bfi_b32 v68, v16, 0, v20
	v_lshrrev_b64 v[16:17], v25, v[20:21]
	s_delay_alu instid0(VALU_DEP_1) | instskip(NEXT) | instid1(VALU_DEP_3)
	v_mov_b64_e32 v[20:21], v[16:17]
	v_cmpx_eq_u64_e64 v[68:69], v[28:29]
; %bb.744:                              ;   in Loop: Header=BB4_356 Depth=4
	v_bfe_u32 v20, v16, 20, 1
	v_mov_b32_e32 v21, v3
	s_delay_alu instid0(VALU_DEP_1) | instskip(NEXT) | instid1(VALU_DEP_1)
	v_add_nc_u64_e32 v[20:21], v[16:17], v[20:21]
	v_add_nc_u64_e32 v[20:21], -1, v[20:21]
; %bb.745:                              ;   in Loop: Header=BB4_356 Depth=4
	s_or_b32 exec_lo, exec_lo, s76
	v_add_nc_u32_e32 v17, 0xffffff81, v24
	v_lshrrev_b32_e32 v21, 23, v16
	s_mov_b32 s13, exec_lo
	s_delay_alu instid0(VALU_DEP_2) | instskip(NEXT) | instid1(VALU_DEP_1)
	v_cndmask_b32_e64 v17, v17, 0xffffff82, vcc_lo
	v_add3_u32 v21, v25, v17, v21
	v_and_b32_e32 v17, 0xfffff, v20
                                        ; implicit-def: $vgpr20
	s_delay_alu instid0(VALU_DEP_1) | instskip(SKIP_1) | instid1(VALU_DEP_2)
	v_dual_add_nc_u32 v24, 6, v21 :: v_dual_add_nc_u32 v16, v17, v16
	v_mov_b32_e32 v17, v3
	v_cmpx_ne_u32_e32 0, v24
	s_xor_b32 s13, exec_lo, s13
; %bb.746:                              ;   in Loop: Header=BB4_356 Depth=4
	s_delay_alu instid0(VALU_DEP_2) | instskip(SKIP_2) | instid1(VALU_DEP_2)
	v_cmp_lt_u64_e32 vcc_lo, 0xffffff, v[16:17]
	v_add_nc_u32_e32 v20, 7, v21
	v_cndmask_b32_e64 v21, 0, 1, vcc_lo
	v_cndmask_b32_e32 v20, v24, v20, vcc_lo
	s_delay_alu instid0(VALU_DEP_2)
	v_lshrrev_b64 v[16:17], v21, v[16:17]
; %bb.747:                              ;   in Loop: Header=BB4_356 Depth=4
	s_and_not1_saveexec_b32 s13, s13
; %bb.748:                              ;   in Loop: Header=BB4_356 Depth=4
	s_delay_alu instid0(VALU_DEP_1)
	v_bfe_u32 v20, v16, 23, 1
; %bb.749:                              ;   in Loop: Header=BB4_356 Depth=4
	s_or_b32 exec_lo, exec_lo, s13
	s_delay_alu instid0(VALU_DEP_2) | instskip(NEXT) | instid1(VALU_DEP_2)
	v_lshrrev_b64 v[16:17], 20, v[16:17]
	v_cmp_gt_i32_e32 vcc_lo, 16, v20
	v_min_i32_e32 v21, 15, v20
	v_cmp_eq_u32_e64 s13, 0, v20
	s_delay_alu instid0(VALU_DEP_4) | instskip(NEXT) | instid1(VALU_DEP_3)
	v_cndmask_b32_e32 v17, 0, v17, vcc_lo
	v_dual_cndmask_b32 v16, 7, v16 :: v_dual_lshlrev_b32 v21, 3, v21
	s_delay_alu instid0(VALU_DEP_1) | instskip(NEXT) | instid1(VALU_DEP_2)
	v_and_b32_e32 v21, 0xf8, v21
	v_cmp_eq_u64_e32 vcc_lo, 0, v[16:17]
	s_delay_alu instid0(VALU_DEP_2)
	v_and_or_b32 v16, v16, 7, v21
	s_and_b32 s13, s13, vcc_lo
	s_delay_alu instid0(VALU_DEP_1) | instid1(SALU_CYCLE_1)
	v_cndmask_b32_e64 v16, v16, 0, s13
	s_delay_alu instid0(VALU_DEP_1)
	v_or_b32_e32 v109, v16, v26
.LBB4_750:                              ;   in Loop: Header=BB4_356 Depth=4
	s_or_b32 exec_lo, exec_lo, s75
                                        ; implicit-def: $vgpr26
.LBB4_751:                              ;   in Loop: Header=BB4_356 Depth=4
	s_and_not1_saveexec_b32 s13, s74
; %bb.752:                              ;   in Loop: Header=BB4_356 Depth=4
	v_or_b32_e32 v109, 0x7e, v26
; %bb.753:                              ;   in Loop: Header=BB4_356 Depth=4
	s_or_b32 exec_lo, exec_lo, s13
                                        ; implicit-def: $vgpr17
.LBB4_754:                              ;   in Loop: Header=BB4_356 Depth=4
	s_and_not1_saveexec_b32 s13, s73
; %bb.755:                              ;   in Loop: Header=BB4_356 Depth=4
	v_or_b32_e32 v109, 0x7f, v17
; %bb.756:                              ;   in Loop: Header=BB4_356 Depth=4
	s_or_b32 exec_lo, exec_lo, s13
	v_lshrrev_b16 v17, 8, v2
	v_dual_mov_b32 v20, 0 :: v_dual_mov_b32 v16, 0
	s_mov_b32 s13, exec_lo
	s_delay_alu instid0(VALU_DEP_2)
	v_cmpx_ne_u16_e32 0, v17
	s_cbranch_execz .LBB4_764
; %bb.757:                              ;   in Loop: Header=BB4_356 Depth=4
	v_bfrev_b32_e32 v16, 1
	s_mov_b32 s73, exec_lo
	v_cmpx_ne_u16_e32 0x80, v17
	s_cbranch_execz .LBB4_763
; %bb.758:                              ;   in Loop: Header=BB4_356 Depth=4
	v_and_b32_e32 v17, 0xffff, v17
	v_mov_b32_e32 v16, 0x7f800001
	s_mov_b32 s74, exec_lo
	s_delay_alu instid0(VALU_DEP_2) | instskip(NEXT) | instid1(VALU_DEP_1)
	v_and_b32_e32 v24, 0x7f, v17
	v_cmpx_ne_u32_e32 0x7f, v24
	s_cbranch_execz .LBB4_762
; %bb.759:                              ;   in Loop: Header=BB4_356 Depth=4
	v_dual_mov_b32 v17, v3 :: v_dual_bitop2_b32 v16, 7, v17 bitop3:0x40
	v_lshrrev_b32_e32 v21, 3, v24
	s_mov_b32 s75, exec_lo
	v_cmpx_gt_u32_e32 8, v24
; %bb.760:                              ;   in Loop: Header=BB4_356 Depth=4
	s_delay_alu instid0(VALU_DEP_3) | instskip(NEXT) | instid1(VALU_DEP_1)
	v_clz_i32_u32_e32 v21, v16
	v_min_u32_e32 v21, 32, v21
	s_delay_alu instid0(VALU_DEP_1) | instskip(NEXT) | instid1(VALU_DEP_1)
	v_subrev_nc_u32_e32 v24, 28, v21
	v_lshlrev_b64_e32 v[16:17], v24, v[16:17]
	s_delay_alu instid0(VALU_DEP_1)
	v_dual_sub_nc_u32 v21, 29, v21 :: v_dual_bitop2_b32 v16, 7, v16 bitop3:0x40
; %bb.761:                              ;   in Loop: Header=BB4_356 Depth=4
	s_or_b32 exec_lo, exec_lo, s75
	s_delay_alu instid0(VALU_DEP_1) | instskip(NEXT) | instid1(VALU_DEP_2)
	v_dual_lshlrev_b32 v2, 16, v2 :: v_dual_lshlrev_b32 v16, 20, v16
	v_lshl_add_u32 v17, v21, 23, 0x3c000000
	s_delay_alu instid0(VALU_DEP_2) | instskip(NEXT) | instid1(VALU_DEP_1)
	v_and_b32_e32 v2, 0x80000000, v2
	v_or3_b32 v16, v16, v2, v17
.LBB4_762:                              ;   in Loop: Header=BB4_356 Depth=4
	s_or_b32 exec_lo, exec_lo, s74
.LBB4_763:                              ;   in Loop: Header=BB4_356 Depth=4
	s_delay_alu instid0(SALU_CYCLE_1)
	s_or_b32 exec_lo, exec_lo, s73
.LBB4_764:                              ;   in Loop: Header=BB4_356 Depth=4
	s_delay_alu instid0(SALU_CYCLE_1) | instskip(SKIP_2) | instid1(VALU_DEP_1)
	s_or_b32 exec_lo, exec_lo, s13
	v_lshrrev_b16 v2, 8, v19
	s_mov_b32 s13, exec_lo
	v_cmpx_ne_u16_e32 0, v2
	s_cbranch_execz .LBB4_772
; %bb.765:                              ;   in Loop: Header=BB4_356 Depth=4
	v_bfrev_b32_e32 v20, 1
	s_mov_b32 s73, exec_lo
	v_cmpx_ne_u16_e32 0x80, v2
	s_cbranch_execz .LBB4_771
; %bb.766:                              ;   in Loop: Header=BB4_356 Depth=4
	v_and_b32_e32 v2, 0xffff, v2
	v_mov_b32_e32 v20, 0x7f800001
	s_mov_b32 s74, exec_lo
	s_delay_alu instid0(VALU_DEP_2) | instskip(NEXT) | instid1(VALU_DEP_1)
	v_and_b32_e32 v21, 0x7f, v2
	v_cmpx_ne_u32_e32 0x7f, v21
	s_cbranch_execz .LBB4_770
; %bb.767:                              ;   in Loop: Header=BB4_356 Depth=4
	v_dual_lshrrev_b32 v17, 3, v21 :: v_dual_bitop2_b32 v2, 7, v2 bitop3:0x40
	s_mov_b32 s75, exec_lo
	v_cmpx_gt_u32_e32 8, v21
; %bb.768:                              ;   in Loop: Header=BB4_356 Depth=4
	s_delay_alu instid0(VALU_DEP_2) | instskip(NEXT) | instid1(VALU_DEP_1)
	v_clz_i32_u32_e32 v17, v2
	v_min_u32_e32 v17, 32, v17
	s_delay_alu instid0(VALU_DEP_1) | instskip(NEXT) | instid1(VALU_DEP_1)
	v_subrev_nc_u32_e32 v20, 28, v17
	v_lshlrev_b64_e32 v[20:21], v20, v[2:3]
	s_delay_alu instid0(VALU_DEP_1)
	v_dual_sub_nc_u32 v17, 29, v17 :: v_dual_bitop2_b32 v2, 7, v20 bitop3:0x40
; %bb.769:                              ;   in Loop: Header=BB4_356 Depth=4
	s_or_b32 exec_lo, exec_lo, s75
	s_delay_alu instid0(VALU_DEP_1) | instskip(NEXT) | instid1(VALU_DEP_2)
	v_dual_lshlrev_b32 v20, 16, v19 :: v_dual_lshlrev_b32 v2, 20, v2
	v_lshl_add_u32 v17, v17, 23, 0x3c000000
	s_delay_alu instid0(VALU_DEP_2) | instskip(NEXT) | instid1(VALU_DEP_1)
	v_and_b32_e32 v20, 0x80000000, v20
	v_or3_b32 v20, v2, v20, v17
.LBB4_770:                              ;   in Loop: Header=BB4_356 Depth=4
	s_or_b32 exec_lo, exec_lo, s74
.LBB4_771:                              ;   in Loop: Header=BB4_356 Depth=4
	s_delay_alu instid0(SALU_CYCLE_1)
	s_or_b32 exec_lo, exec_lo, s73
.LBB4_772:                              ;   in Loop: Header=BB4_356 Depth=4
	s_delay_alu instid0(SALU_CYCLE_1) | instskip(NEXT) | instid1(VALU_DEP_1)
	s_or_b32 exec_lo, exec_lo, s13
	v_add_f32_e32 v16, v16, v20
                                        ; implicit-def: $vgpr110
	s_mov_b32 s13, exec_lo
	s_delay_alu instid0(VALU_DEP_1) | instskip(SKIP_1) | instid1(VALU_DEP_2)
	v_and_b32_e32 v2, 0x7f800000, v16
	v_lshrrev_b32_e32 v17, 24, v16
	v_cmpx_ne_u64_e32 0x7f800000, v[2:3]
	s_xor_b32 s73, exec_lo, s13
	s_cbranch_execz .LBB4_786
; %bb.773:                              ;   in Loop: Header=BB4_356 Depth=4
	v_and_b32_e32 v2, 0x7fffffff, v16
	v_and_b32_e32 v26, 0x80, v17
                                        ; implicit-def: $vgpr110
	s_mov_b32 s13, exec_lo
	s_delay_alu instid0(VALU_DEP_2)
	v_cmpx_gt_u64_e32 0x43e00001, v[2:3]
	s_xor_b32 s74, exec_lo, s13
	s_cbranch_execz .LBB4_783
; %bb.774:                              ;   in Loop: Header=BB4_356 Depth=4
	v_mov_b32_e32 v110, 0
	s_mov_b32 s75, exec_lo
	v_cmpx_ne_u32_e32 0, v16
	s_cbranch_execz .LBB4_782
; %bb.775:                              ;   in Loop: Header=BB4_356 Depth=4
	v_bfe_u32 v24, v16, 23, 8
	s_delay_alu instid0(VALU_DEP_1) | instskip(SKIP_1) | instid1(VALU_DEP_2)
	v_sub_nc_u32_e32 v2, 0x79, v24
	v_cmp_gt_u32_e32 vcc_lo, 0x7a, v24
	v_cndmask_b32_e32 v2, 0, v2, vcc_lo
	v_cmp_eq_u32_e32 vcc_lo, 0, v24
	s_delay_alu instid0(VALU_DEP_2) | instskip(SKIP_1) | instid1(VALU_DEP_2)
	v_cndmask_b32_e64 v25, v2, 0x78, vcc_lo
	v_and_b32_e32 v2, 0x7fffff, v16
	v_add_nc_u32_e32 v16, 20, v25
	s_delay_alu instid0(VALU_DEP_2) | instskip(SKIP_1) | instid1(VALU_DEP_3)
	v_or_b32_e32 v20, 0x800000, v2
	v_add_nc_u32_e32 v21, 19, v25
	v_lshlrev_b64_e64 v[16:17], v16, -1
	s_delay_alu instid0(VALU_DEP_3) | instskip(NEXT) | instid1(VALU_DEP_3)
	v_cndmask_b32_e32 v2, v20, v2, vcc_lo
	v_lshlrev_b64_e64 v[20:21], v21, 1
	s_delay_alu instid0(VALU_DEP_3) | instskip(NEXT) | instid1(VALU_DEP_3)
	v_bfi_b32 v29, v17, 0, 0
	v_bfi_b32 v28, v16, 0, v2
	v_lshrrev_b64 v[16:17], v25, v[2:3]
	s_delay_alu instid0(VALU_DEP_2) | instskip(NEXT) | instid1(VALU_DEP_2)
	v_cmp_eq_u64_e64 s13, v[28:29], v[20:21]
	v_mov_b64_e32 v[20:21], v[16:17]
	s_and_saveexec_b32 s76, s13
; %bb.776:                              ;   in Loop: Header=BB4_356 Depth=4
	v_bfe_u32 v2, v16, 20, 1
	s_delay_alu instid0(VALU_DEP_1) | instskip(NEXT) | instid1(VALU_DEP_1)
	v_add_nc_u64_e32 v[20:21], v[16:17], v[2:3]
	v_add_nc_u64_e32 v[20:21], -1, v[20:21]
; %bb.777:                              ;   in Loop: Header=BB4_356 Depth=4
	s_or_b32 exec_lo, exec_lo, s76
	v_add_nc_u32_e32 v2, 0xffffff81, v24
	v_lshrrev_b32_e32 v17, 23, v16
	s_mov_b32 s13, exec_lo
	s_delay_alu instid0(VALU_DEP_2) | instskip(NEXT) | instid1(VALU_DEP_1)
	v_cndmask_b32_e64 v2, v2, 0xffffff82, vcc_lo
	v_add3_u32 v21, v25, v2, v17
	v_and_b32_e32 v2, 0xfffff, v20
                                        ; implicit-def: $vgpr20
	s_delay_alu instid0(VALU_DEP_1) | instskip(NEXT) | instid1(VALU_DEP_1)
	v_dual_add_nc_u32 v24, 6, v21 :: v_dual_add_nc_u32 v2, v2, v16
                                        ; implicit-def: $vgpr16_vgpr17
	v_cmpx_ne_u32_e32 0, v24
	s_xor_b32 s13, exec_lo, s13
; %bb.778:                              ;   in Loop: Header=BB4_356 Depth=4
	s_delay_alu instid0(VALU_DEP_2) | instskip(SKIP_1) | instid1(VALU_DEP_1)
	v_cmp_lt_u64_e32 vcc_lo, 0xffffff, v[2:3]
	v_add_nc_u32_e32 v16, 7, v21
	v_cndmask_b32_e32 v20, v24, v16, vcc_lo
	v_cndmask_b32_e64 v16, 0, 1, vcc_lo
	s_delay_alu instid0(VALU_DEP_1)
	v_lshrrev_b64 v[16:17], v16, v[2:3]
; %bb.779:                              ;   in Loop: Header=BB4_356 Depth=4
	s_and_not1_saveexec_b32 s13, s13
; %bb.780:                              ;   in Loop: Header=BB4_356 Depth=4
	v_mov_b64_e32 v[16:17], v[2:3]
	v_bfe_u32 v20, v2, 23, 1
; %bb.781:                              ;   in Loop: Header=BB4_356 Depth=4
	s_or_b32 exec_lo, exec_lo, s13
	s_delay_alu instid0(VALU_DEP_2) | instskip(NEXT) | instid1(VALU_DEP_2)
	v_lshrrev_b64 v[16:17], 20, v[16:17]
	v_cmp_gt_i32_e32 vcc_lo, 16, v20
	v_min_i32_e32 v2, 15, v20
	v_cmp_eq_u32_e64 s13, 0, v20
	s_delay_alu instid0(VALU_DEP_2) | instskip(SKIP_1) | instid1(VALU_DEP_2)
	v_dual_cndmask_b32 v17, 0, v17 :: v_dual_lshlrev_b32 v2, 3, v2
	v_cndmask_b32_e32 v16, 7, v16, vcc_lo
	v_and_b32_e32 v2, 0xf8, v2
	s_delay_alu instid0(VALU_DEP_2) | instskip(NEXT) | instid1(VALU_DEP_2)
	v_cmp_eq_u64_e32 vcc_lo, 0, v[16:17]
	v_and_or_b32 v2, v16, 7, v2
	s_and_b32 s13, s13, vcc_lo
	s_delay_alu instid0(VALU_DEP_1) | instid1(SALU_CYCLE_1)
	v_cndmask_b32_e64 v2, v2, 0, s13
	s_delay_alu instid0(VALU_DEP_1)
	v_or_b32_e32 v110, v2, v26
.LBB4_782:                              ;   in Loop: Header=BB4_356 Depth=4
	s_or_b32 exec_lo, exec_lo, s75
                                        ; implicit-def: $vgpr26
.LBB4_783:                              ;   in Loop: Header=BB4_356 Depth=4
	s_and_not1_saveexec_b32 s13, s74
; %bb.784:                              ;   in Loop: Header=BB4_356 Depth=4
	v_or_b32_e32 v110, 0x7e, v26
; %bb.785:                              ;   in Loop: Header=BB4_356 Depth=4
	s_or_b32 exec_lo, exec_lo, s13
                                        ; implicit-def: $vgpr17
.LBB4_786:                              ;   in Loop: Header=BB4_356 Depth=4
	s_and_not1_saveexec_b32 s13, s73
; %bb.787:                              ;   in Loop: Header=BB4_356 Depth=4
	v_or_b32_e32 v110, 0x7f, v17
; %bb.788:                              ;   in Loop: Header=BB4_356 Depth=4
	s_or_b32 exec_lo, exec_lo, s13
	v_dual_lshrrev_b32 v20, 16, v23 :: v_dual_mov_b32 v16, 0
	v_mov_b32_e32 v17, 0
	s_mov_b32 s13, exec_lo
	s_delay_alu instid0(VALU_DEP_2) | instskip(NEXT) | instid1(VALU_DEP_1)
	v_and_b32_e32 v2, 0xff, v20
	v_cmpx_ne_u16_e32 0, v2
	s_cbranch_execz .LBB4_796
; %bb.789:                              ;   in Loop: Header=BB4_356 Depth=4
	v_bfrev_b32_e32 v17, 1
	s_mov_b32 s73, exec_lo
	v_cmpx_ne_u16_e32 0x80, v2
	s_cbranch_execz .LBB4_795
; %bb.790:                              ;   in Loop: Header=BB4_356 Depth=4
	v_bfe_u32 v21, v23, 16, 7
	v_mov_b32_e32 v17, 0x7f800001
	s_mov_b32 s74, exec_lo
	s_delay_alu instid0(VALU_DEP_2)
	v_cmpx_ne_u32_e32 0x7f, v21
	s_cbranch_execz .LBB4_794
; %bb.791:                              ;   in Loop: Header=BB4_356 Depth=4
	v_dual_lshrrev_b32 v17, 3, v21 :: v_dual_bitop2_b32 v2, 7, v20 bitop3:0x40
	s_mov_b32 s75, exec_lo
	v_cmpx_gt_u32_e32 8, v21
; %bb.792:                              ;   in Loop: Header=BB4_356 Depth=4
	s_delay_alu instid0(VALU_DEP_2) | instskip(NEXT) | instid1(VALU_DEP_1)
	v_clz_i32_u32_e32 v17, v2
	v_min_u32_e32 v17, 32, v17
	s_delay_alu instid0(VALU_DEP_1) | instskip(NEXT) | instid1(VALU_DEP_1)
	v_subrev_nc_u32_e32 v21, 28, v17
	v_lshlrev_b64_e32 v[24:25], v21, v[2:3]
	s_delay_alu instid0(VALU_DEP_1)
	v_dual_sub_nc_u32 v17, 29, v17 :: v_dual_bitop2_b32 v2, 7, v24 bitop3:0x40
; %bb.793:                              ;   in Loop: Header=BB4_356 Depth=4
	s_or_b32 exec_lo, exec_lo, s75
	s_delay_alu instid0(VALU_DEP_1) | instskip(NEXT) | instid1(VALU_DEP_2)
	v_dual_lshlrev_b32 v20, 24, v20 :: v_dual_lshlrev_b32 v2, 20, v2
	v_lshl_add_u32 v17, v17, 23, 0x3c000000
	s_delay_alu instid0(VALU_DEP_2) | instskip(NEXT) | instid1(VALU_DEP_1)
	v_and_b32_e32 v20, 0x80000000, v20
	v_or3_b32 v17, v2, v20, v17
.LBB4_794:                              ;   in Loop: Header=BB4_356 Depth=4
	s_or_b32 exec_lo, exec_lo, s74
.LBB4_795:                              ;   in Loop: Header=BB4_356 Depth=4
	s_delay_alu instid0(SALU_CYCLE_1)
	s_or_b32 exec_lo, exec_lo, s73
.LBB4_796:                              ;   in Loop: Header=BB4_356 Depth=4
	s_delay_alu instid0(SALU_CYCLE_1) | instskip(SKIP_2) | instid1(VALU_DEP_1)
	s_or_b32 exec_lo, exec_lo, s13
	v_lshrrev_b32_e32 v2, 16, v19
	s_mov_b32 s13, exec_lo
	v_and_b32_e32 v20, 0xff, v2
	s_delay_alu instid0(VALU_DEP_1)
	v_cmpx_ne_u16_e32 0, v20
	s_cbranch_execz .LBB4_804
; %bb.797:                              ;   in Loop: Header=BB4_356 Depth=4
	v_bfrev_b32_e32 v16, 1
	s_mov_b32 s73, exec_lo
	v_cmpx_ne_u16_e32 0x80, v20
	s_cbranch_execz .LBB4_803
; %bb.798:                              ;   in Loop: Header=BB4_356 Depth=4
	v_bfe_u32 v20, v19, 16, 7
	v_mov_b32_e32 v16, 0x7f800001
	s_mov_b32 s74, exec_lo
	s_delay_alu instid0(VALU_DEP_2)
	v_cmpx_ne_u32_e32 0x7f, v20
	s_cbranch_execz .LBB4_802
; %bb.799:                              ;   in Loop: Header=BB4_356 Depth=4
	v_dual_lshrrev_b32 v16, 3, v20 :: v_dual_bitop2_b32 v2, 7, v2 bitop3:0x40
	s_mov_b32 s75, exec_lo
	v_cmpx_gt_u32_e32 8, v20
; %bb.800:                              ;   in Loop: Header=BB4_356 Depth=4
	s_delay_alu instid0(VALU_DEP_2) | instskip(NEXT) | instid1(VALU_DEP_1)
	v_clz_i32_u32_e32 v16, v2
	v_min_u32_e32 v16, 32, v16
	s_delay_alu instid0(VALU_DEP_1) | instskip(SKIP_1) | instid1(VALU_DEP_2)
	v_subrev_nc_u32_e32 v20, 28, v16
	v_sub_nc_u32_e32 v16, 29, v16
	v_lshlrev_b64_e32 v[20:21], v20, v[2:3]
	s_delay_alu instid0(VALU_DEP_1)
	v_and_b32_e32 v2, 7, v20
; %bb.801:                              ;   in Loop: Header=BB4_356 Depth=4
	s_or_b32 exec_lo, exec_lo, s75
	s_delay_alu instid0(VALU_DEP_1) | instskip(SKIP_1) | instid1(VALU_DEP_2)
	v_dual_lshlrev_b32 v20, 8, v19 :: v_dual_lshlrev_b32 v2, 20, v2
	v_lshl_add_u32 v16, v16, 23, 0x3c000000
	v_and_b32_e32 v20, 0x80000000, v20
	s_delay_alu instid0(VALU_DEP_1)
	v_or3_b32 v16, v2, v20, v16
.LBB4_802:                              ;   in Loop: Header=BB4_356 Depth=4
	s_or_b32 exec_lo, exec_lo, s74
.LBB4_803:                              ;   in Loop: Header=BB4_356 Depth=4
	s_delay_alu instid0(SALU_CYCLE_1)
	s_or_b32 exec_lo, exec_lo, s73
.LBB4_804:                              ;   in Loop: Header=BB4_356 Depth=4
	s_delay_alu instid0(SALU_CYCLE_1) | instskip(NEXT) | instid1(VALU_DEP_1)
	s_or_b32 exec_lo, exec_lo, s13
	v_add_f32_e32 v16, v17, v16
                                        ; implicit-def: $vgpr20
	s_mov_b32 s13, exec_lo
	s_delay_alu instid0(VALU_DEP_1) | instskip(SKIP_1) | instid1(VALU_DEP_2)
	v_and_b32_e32 v2, 0x7f800000, v16
	v_lshrrev_b32_e32 v17, 24, v16
	v_cmpx_ne_u64_e32 0x7f800000, v[2:3]
	s_xor_b32 s73, exec_lo, s13
	s_cbranch_execz .LBB4_818
; %bb.805:                              ;   in Loop: Header=BB4_356 Depth=4
	v_and_b32_e32 v2, 0x7fffffff, v16
	v_and_b32_e32 v26, 0x80, v17
                                        ; implicit-def: $vgpr20
	s_mov_b32 s13, exec_lo
	s_delay_alu instid0(VALU_DEP_2)
	v_cmpx_gt_u64_e32 0x43e00001, v[2:3]
	s_xor_b32 s74, exec_lo, s13
	s_cbranch_execz .LBB4_815
; %bb.806:                              ;   in Loop: Header=BB4_356 Depth=4
	v_mov_b32_e32 v20, 0
	s_mov_b32 s75, exec_lo
	v_cmpx_ne_u32_e32 0, v16
	s_cbranch_execz .LBB4_814
; %bb.807:                              ;   in Loop: Header=BB4_356 Depth=4
	v_bfe_u32 v24, v16, 23, 8
	s_delay_alu instid0(VALU_DEP_1) | instskip(SKIP_1) | instid1(VALU_DEP_2)
	v_sub_nc_u32_e32 v2, 0x79, v24
	v_cmp_gt_u32_e32 vcc_lo, 0x7a, v24
	v_cndmask_b32_e32 v2, 0, v2, vcc_lo
	v_cmp_eq_u32_e32 vcc_lo, 0, v24
	s_delay_alu instid0(VALU_DEP_2) | instskip(SKIP_1) | instid1(VALU_DEP_2)
	v_cndmask_b32_e64 v25, v2, 0x78, vcc_lo
	v_and_b32_e32 v2, 0x7fffff, v16
	v_add_nc_u32_e32 v16, 20, v25
	s_delay_alu instid0(VALU_DEP_2) | instskip(SKIP_1) | instid1(VALU_DEP_3)
	v_or_b32_e32 v20, 0x800000, v2
	v_add_nc_u32_e32 v21, 19, v25
	v_lshlrev_b64_e64 v[16:17], v16, -1
	s_delay_alu instid0(VALU_DEP_3) | instskip(NEXT) | instid1(VALU_DEP_3)
	v_cndmask_b32_e32 v2, v20, v2, vcc_lo
	v_lshlrev_b64_e64 v[20:21], v21, 1
	s_delay_alu instid0(VALU_DEP_3) | instskip(NEXT) | instid1(VALU_DEP_3)
	v_bfi_b32 v29, v17, 0, 0
	v_bfi_b32 v28, v16, 0, v2
	v_lshrrev_b64 v[16:17], v25, v[2:3]
	s_delay_alu instid0(VALU_DEP_2) | instskip(NEXT) | instid1(VALU_DEP_2)
	v_cmp_eq_u64_e64 s13, v[28:29], v[20:21]
	v_mov_b64_e32 v[20:21], v[16:17]
	s_and_saveexec_b32 s76, s13
; %bb.808:                              ;   in Loop: Header=BB4_356 Depth=4
	v_bfe_u32 v2, v16, 20, 1
	s_delay_alu instid0(VALU_DEP_1) | instskip(NEXT) | instid1(VALU_DEP_1)
	v_add_nc_u64_e32 v[20:21], v[16:17], v[2:3]
	v_add_nc_u64_e32 v[20:21], -1, v[20:21]
; %bb.809:                              ;   in Loop: Header=BB4_356 Depth=4
	s_or_b32 exec_lo, exec_lo, s76
	v_add_nc_u32_e32 v2, 0xffffff81, v24
	v_lshrrev_b32_e32 v17, 23, v16
	s_mov_b32 s13, exec_lo
	s_delay_alu instid0(VALU_DEP_2) | instskip(NEXT) | instid1(VALU_DEP_1)
	v_cndmask_b32_e64 v2, v2, 0xffffff82, vcc_lo
	v_add3_u32 v21, v25, v2, v17
	v_and_b32_e32 v2, 0xfffff, v20
                                        ; implicit-def: $vgpr20
	s_delay_alu instid0(VALU_DEP_1) | instskip(NEXT) | instid1(VALU_DEP_1)
	v_dual_add_nc_u32 v24, 6, v21 :: v_dual_add_nc_u32 v2, v2, v16
                                        ; implicit-def: $vgpr16_vgpr17
	v_cmpx_ne_u32_e32 0, v24
	s_xor_b32 s13, exec_lo, s13
; %bb.810:                              ;   in Loop: Header=BB4_356 Depth=4
	s_delay_alu instid0(VALU_DEP_2) | instskip(SKIP_1) | instid1(VALU_DEP_1)
	v_cmp_lt_u64_e32 vcc_lo, 0xffffff, v[2:3]
	v_add_nc_u32_e32 v16, 7, v21
	v_cndmask_b32_e32 v20, v24, v16, vcc_lo
	v_cndmask_b32_e64 v16, 0, 1, vcc_lo
	s_delay_alu instid0(VALU_DEP_1)
	v_lshrrev_b64 v[16:17], v16, v[2:3]
; %bb.811:                              ;   in Loop: Header=BB4_356 Depth=4
	s_and_not1_saveexec_b32 s13, s13
; %bb.812:                              ;   in Loop: Header=BB4_356 Depth=4
	v_mov_b64_e32 v[16:17], v[2:3]
	v_bfe_u32 v20, v2, 23, 1
; %bb.813:                              ;   in Loop: Header=BB4_356 Depth=4
	s_or_b32 exec_lo, exec_lo, s13
	s_delay_alu instid0(VALU_DEP_2) | instskip(NEXT) | instid1(VALU_DEP_2)
	v_lshrrev_b64 v[16:17], 20, v[16:17]
	v_cmp_gt_i32_e32 vcc_lo, 16, v20
	v_min_i32_e32 v2, 15, v20
	v_cmp_eq_u32_e64 s13, 0, v20
	s_delay_alu instid0(VALU_DEP_2) | instskip(SKIP_1) | instid1(VALU_DEP_2)
	v_dual_cndmask_b32 v17, 0, v17 :: v_dual_lshlrev_b32 v2, 3, v2
	v_cndmask_b32_e32 v16, 7, v16, vcc_lo
	v_and_b32_e32 v2, 0xf8, v2
	s_delay_alu instid0(VALU_DEP_2) | instskip(NEXT) | instid1(VALU_DEP_2)
	v_cmp_eq_u64_e32 vcc_lo, 0, v[16:17]
	v_and_or_b32 v2, v16, 7, v2
	s_and_b32 s13, s13, vcc_lo
	s_delay_alu instid0(VALU_DEP_1) | instid1(SALU_CYCLE_1)
	v_cndmask_b32_e64 v2, v2, 0, s13
	s_delay_alu instid0(VALU_DEP_1)
	v_or_b32_e32 v20, v2, v26
.LBB4_814:                              ;   in Loop: Header=BB4_356 Depth=4
	s_or_b32 exec_lo, exec_lo, s75
                                        ; implicit-def: $vgpr26
.LBB4_815:                              ;   in Loop: Header=BB4_356 Depth=4
	s_and_not1_saveexec_b32 s13, s74
; %bb.816:                              ;   in Loop: Header=BB4_356 Depth=4
	v_or_b32_e32 v20, 0x7e, v26
; %bb.817:                              ;   in Loop: Header=BB4_356 Depth=4
	s_or_b32 exec_lo, exec_lo, s13
                                        ; implicit-def: $vgpr17
.LBB4_818:                              ;   in Loop: Header=BB4_356 Depth=4
	s_and_not1_saveexec_b32 s13, s73
; %bb.819:                              ;   in Loop: Header=BB4_356 Depth=4
	v_or_b32_e32 v20, 0x7f, v17
; %bb.820:                              ;   in Loop: Header=BB4_356 Depth=4
	s_or_b32 exec_lo, exec_lo, s13
	v_dual_mov_b32 v16, 0 :: v_dual_mov_b32 v17, 0
	s_mov_b32 s13, exec_lo
	v_cmpx_lt_u64_e64 s[22:23], v[22:23]
	s_cbranch_execz .LBB4_828
; %bb.821:                              ;   in Loop: Header=BB4_356 Depth=4
	v_lshrrev_b32_e32 v21, 24, v23
	v_bfrev_b32_e32 v17, 1
	s_mov_b32 s73, exec_lo
	s_delay_alu instid0(VALU_DEP_2)
	v_cmpx_ne_u32_e32 0x80, v21
	s_cbranch_execz .LBB4_827
; %bb.822:                              ;   in Loop: Header=BB4_356 Depth=4
	v_bfe_u32 v22, v23, 24, 7
	v_mov_b32_e32 v17, 0x7f800001
	s_mov_b32 s74, exec_lo
	s_delay_alu instid0(VALU_DEP_2)
	v_cmpx_ne_u32_e32 0x7f, v22
	s_cbranch_execz .LBB4_826
; %bb.823:                              ;   in Loop: Header=BB4_356 Depth=4
	v_dual_lshrrev_b32 v17, 3, v22 :: v_dual_bitop2_b32 v2, 7, v21 bitop3:0x40
	s_mov_b32 s75, exec_lo
	v_cmpx_gt_u32_e32 8, v22
; %bb.824:                              ;   in Loop: Header=BB4_356 Depth=4
	s_delay_alu instid0(VALU_DEP_2) | instskip(NEXT) | instid1(VALU_DEP_1)
	v_clz_i32_u32_e32 v17, v2
	v_min_u32_e32 v17, 32, v17
	s_delay_alu instid0(VALU_DEP_1) | instskip(NEXT) | instid1(VALU_DEP_1)
	v_subrev_nc_u32_e32 v22, 28, v17
	v_lshlrev_b64_e32 v[22:23], v22, v[2:3]
	s_delay_alu instid0(VALU_DEP_1)
	v_dual_sub_nc_u32 v17, 29, v17 :: v_dual_bitop2_b32 v2, 7, v22 bitop3:0x40
; %bb.825:                              ;   in Loop: Header=BB4_356 Depth=4
	s_or_b32 exec_lo, exec_lo, s75
	s_delay_alu instid0(VALU_DEP_1) | instskip(NEXT) | instid1(VALU_DEP_2)
	v_dual_lshlrev_b32 v21, 24, v21 :: v_dual_lshlrev_b32 v2, 20, v2
	v_lshl_add_u32 v17, v17, 23, 0x3c000000
	s_delay_alu instid0(VALU_DEP_2) | instskip(NEXT) | instid1(VALU_DEP_1)
	v_and_b32_e32 v21, 0x80000000, v21
	v_or3_b32 v17, v2, v21, v17
.LBB4_826:                              ;   in Loop: Header=BB4_356 Depth=4
	s_or_b32 exec_lo, exec_lo, s74
.LBB4_827:                              ;   in Loop: Header=BB4_356 Depth=4
	s_delay_alu instid0(SALU_CYCLE_1)
	s_or_b32 exec_lo, exec_lo, s73
.LBB4_828:                              ;   in Loop: Header=BB4_356 Depth=4
	s_delay_alu instid0(SALU_CYCLE_1) | instskip(NEXT) | instid1(SALU_CYCLE_1)
	s_or_b32 exec_lo, exec_lo, s13
	s_mov_b32 s13, exec_lo
	v_cmpx_lt_u64_e64 s[22:23], v[18:19]
	s_cbranch_execz .LBB4_836
; %bb.829:                              ;   in Loop: Header=BB4_356 Depth=4
	v_lshrrev_b32_e32 v18, 24, v19
	v_bfrev_b32_e32 v16, 1
	s_mov_b32 s73, exec_lo
	s_delay_alu instid0(VALU_DEP_2)
	v_cmpx_ne_u32_e32 0x80, v18
	s_cbranch_execz .LBB4_835
; %bb.830:                              ;   in Loop: Header=BB4_356 Depth=4
	v_bfe_u32 v19, v19, 24, 7
	v_mov_b32_e32 v16, 0x7f800001
	s_mov_b32 s74, exec_lo
	s_delay_alu instid0(VALU_DEP_2)
	v_cmpx_ne_u32_e32 0x7f, v19
	s_cbranch_execz .LBB4_834
; %bb.831:                              ;   in Loop: Header=BB4_356 Depth=4
	v_dual_lshrrev_b32 v16, 3, v19 :: v_dual_bitop2_b32 v2, 7, v18 bitop3:0x40
	s_mov_b32 s75, exec_lo
	v_cmpx_gt_u32_e32 8, v19
; %bb.832:                              ;   in Loop: Header=BB4_356 Depth=4
	s_delay_alu instid0(VALU_DEP_2) | instskip(NEXT) | instid1(VALU_DEP_1)
	v_clz_i32_u32_e32 v16, v2
	v_min_u32_e32 v16, 32, v16
	s_delay_alu instid0(VALU_DEP_1) | instskip(NEXT) | instid1(VALU_DEP_1)
	v_subrev_nc_u32_e32 v19, 28, v16
	v_lshlrev_b64_e32 v[22:23], v19, v[2:3]
	s_delay_alu instid0(VALU_DEP_1)
	v_dual_sub_nc_u32 v16, 29, v16 :: v_dual_bitop2_b32 v2, 7, v22 bitop3:0x40
; %bb.833:                              ;   in Loop: Header=BB4_356 Depth=4
	s_or_b32 exec_lo, exec_lo, s75
	v_lshlrev_b32_e32 v18, 24, v18
	s_delay_alu instid0(VALU_DEP_2) | instskip(NEXT) | instid1(VALU_DEP_3)
	v_lshlrev_b32_e32 v2, 20, v2
	v_lshl_add_u32 v16, v16, 23, 0x3c000000
	s_delay_alu instid0(VALU_DEP_3) | instskip(NEXT) | instid1(VALU_DEP_1)
	v_and_b32_e32 v18, 0x80000000, v18
	v_or3_b32 v16, v2, v18, v16
.LBB4_834:                              ;   in Loop: Header=BB4_356 Depth=4
	s_or_b32 exec_lo, exec_lo, s74
.LBB4_835:                              ;   in Loop: Header=BB4_356 Depth=4
	s_delay_alu instid0(SALU_CYCLE_1)
	s_or_b32 exec_lo, exec_lo, s73
.LBB4_836:                              ;   in Loop: Header=BB4_356 Depth=4
	s_delay_alu instid0(SALU_CYCLE_1) | instskip(NEXT) | instid1(VALU_DEP_1)
	s_or_b32 exec_lo, exec_lo, s13
	v_add_f32_e32 v16, v17, v16
                                        ; implicit-def: $vgpr21
	s_mov_b32 s13, exec_lo
	s_delay_alu instid0(VALU_DEP_1) | instskip(SKIP_1) | instid1(VALU_DEP_2)
	v_and_b32_e32 v2, 0x7f800000, v16
	v_lshrrev_b32_e32 v17, 24, v16
	v_cmpx_ne_u64_e32 0x7f800000, v[2:3]
	s_xor_b32 s73, exec_lo, s13
	s_cbranch_execz .LBB4_850
; %bb.837:                              ;   in Loop: Header=BB4_356 Depth=4
	v_and_b32_e32 v2, 0x7fffffff, v16
	v_and_b32_e32 v22, 0x80, v17
                                        ; implicit-def: $vgpr21
	s_mov_b32 s13, exec_lo
	s_delay_alu instid0(VALU_DEP_2)
	v_cmpx_gt_u64_e32 0x43e00001, v[2:3]
	s_xor_b32 s74, exec_lo, s13
	s_cbranch_execz .LBB4_847
; %bb.838:                              ;   in Loop: Header=BB4_356 Depth=4
	v_mov_b32_e32 v21, 0
	s_mov_b32 s75, exec_lo
	v_cmpx_ne_u32_e32 0, v16
	s_cbranch_execz .LBB4_846
; %bb.839:                              ;   in Loop: Header=BB4_356 Depth=4
	v_bfe_u32 v21, v16, 23, 8
	s_delay_alu instid0(VALU_DEP_1) | instskip(SKIP_1) | instid1(VALU_DEP_2)
	v_sub_nc_u32_e32 v2, 0x79, v21
	v_cmp_gt_u32_e32 vcc_lo, 0x7a, v21
	v_cndmask_b32_e32 v2, 0, v2, vcc_lo
	v_cmp_eq_u32_e32 vcc_lo, 0, v21
	s_delay_alu instid0(VALU_DEP_2) | instskip(SKIP_1) | instid1(VALU_DEP_2)
	v_cndmask_b32_e64 v23, v2, 0x78, vcc_lo
	v_and_b32_e32 v2, 0x7fffff, v16
	v_add_nc_u32_e32 v16, 20, v23
	s_delay_alu instid0(VALU_DEP_2) | instskip(SKIP_1) | instid1(VALU_DEP_3)
	v_or_b32_e32 v18, 0x800000, v2
	v_add_nc_u32_e32 v19, 19, v23
	v_lshlrev_b64_e64 v[16:17], v16, -1
	s_delay_alu instid0(VALU_DEP_3) | instskip(NEXT) | instid1(VALU_DEP_3)
	v_cndmask_b32_e32 v2, v18, v2, vcc_lo
	v_lshlrev_b64_e64 v[18:19], v19, 1
	s_delay_alu instid0(VALU_DEP_3) | instskip(NEXT) | instid1(VALU_DEP_3)
	v_bfi_b32 v25, v17, 0, 0
	v_bfi_b32 v24, v16, 0, v2
	v_lshrrev_b64 v[16:17], v23, v[2:3]
	s_delay_alu instid0(VALU_DEP_2) | instskip(NEXT) | instid1(VALU_DEP_2)
	v_cmp_eq_u64_e64 s13, v[24:25], v[18:19]
	v_mov_b64_e32 v[18:19], v[16:17]
	s_and_saveexec_b32 s76, s13
; %bb.840:                              ;   in Loop: Header=BB4_356 Depth=4
	v_bfe_u32 v2, v16, 20, 1
	s_delay_alu instid0(VALU_DEP_1) | instskip(NEXT) | instid1(VALU_DEP_1)
	v_add_nc_u64_e32 v[18:19], v[16:17], v[2:3]
	v_add_nc_u64_e32 v[18:19], -1, v[18:19]
; %bb.841:                              ;   in Loop: Header=BB4_356 Depth=4
	s_or_b32 exec_lo, exec_lo, s76
	v_add_nc_u32_e32 v2, 0xffffff81, v21
	v_lshrrev_b32_e32 v17, 23, v16
	s_mov_b32 s13, exec_lo
	s_delay_alu instid0(VALU_DEP_2) | instskip(NEXT) | instid1(VALU_DEP_1)
	v_cndmask_b32_e64 v2, v2, 0xffffff82, vcc_lo
	v_add3_u32 v19, v23, v2, v17
	v_and_b32_e32 v2, 0xfffff, v18
                                        ; implicit-def: $vgpr18
	s_delay_alu instid0(VALU_DEP_1) | instskip(NEXT) | instid1(VALU_DEP_1)
	v_dual_add_nc_u32 v21, 6, v19 :: v_dual_add_nc_u32 v2, v2, v16
                                        ; implicit-def: $vgpr16_vgpr17
	v_cmpx_ne_u32_e32 0, v21
	s_xor_b32 s13, exec_lo, s13
; %bb.842:                              ;   in Loop: Header=BB4_356 Depth=4
	s_delay_alu instid0(VALU_DEP_2) | instskip(SKIP_1) | instid1(VALU_DEP_1)
	v_cmp_lt_u64_e32 vcc_lo, 0xffffff, v[2:3]
	v_add_nc_u32_e32 v16, 7, v19
	v_cndmask_b32_e32 v18, v21, v16, vcc_lo
	v_cndmask_b32_e64 v16, 0, 1, vcc_lo
	s_delay_alu instid0(VALU_DEP_1)
	v_lshrrev_b64 v[16:17], v16, v[2:3]
; %bb.843:                              ;   in Loop: Header=BB4_356 Depth=4
	s_and_not1_saveexec_b32 s13, s13
; %bb.844:                              ;   in Loop: Header=BB4_356 Depth=4
	v_mov_b64_e32 v[16:17], v[2:3]
	v_bfe_u32 v18, v2, 23, 1
; %bb.845:                              ;   in Loop: Header=BB4_356 Depth=4
	s_or_b32 exec_lo, exec_lo, s13
	s_delay_alu instid0(VALU_DEP_2) | instskip(NEXT) | instid1(VALU_DEP_2)
	v_lshrrev_b64 v[16:17], 20, v[16:17]
	v_cmp_gt_i32_e32 vcc_lo, 16, v18
	v_min_i32_e32 v2, 15, v18
	v_cmp_eq_u32_e64 s13, 0, v18
	s_delay_alu instid0(VALU_DEP_2) | instskip(SKIP_1) | instid1(VALU_DEP_2)
	v_dual_cndmask_b32 v17, 0, v17 :: v_dual_lshlrev_b32 v2, 3, v2
	v_cndmask_b32_e32 v16, 7, v16, vcc_lo
	v_and_b32_e32 v2, 0xf8, v2
	s_delay_alu instid0(VALU_DEP_2) | instskip(NEXT) | instid1(VALU_DEP_2)
	v_cmp_eq_u64_e32 vcc_lo, 0, v[16:17]
	v_and_or_b32 v2, v16, 7, v2
	s_and_b32 s13, s13, vcc_lo
	s_delay_alu instid0(VALU_DEP_1) | instid1(SALU_CYCLE_1)
	v_cndmask_b32_e64 v2, v2, 0, s13
	s_delay_alu instid0(VALU_DEP_1)
	v_or_b32_e32 v21, v2, v22
.LBB4_846:                              ;   in Loop: Header=BB4_356 Depth=4
	s_or_b32 exec_lo, exec_lo, s75
                                        ; implicit-def: $vgpr22
.LBB4_847:                              ;   in Loop: Header=BB4_356 Depth=4
	s_and_not1_saveexec_b32 s13, s74
; %bb.848:                              ;   in Loop: Header=BB4_356 Depth=4
	v_or_b32_e32 v21, 0x7e, v22
; %bb.849:                              ;   in Loop: Header=BB4_356 Depth=4
	s_or_b32 exec_lo, exec_lo, s13
                                        ; implicit-def: $vgpr17
.LBB4_850:                              ;   in Loop: Header=BB4_356 Depth=4
	s_and_not1_saveexec_b32 s13, s73
; %bb.851:                              ;   in Loop: Header=BB4_356 Depth=4
	v_or_b32_e32 v21, 0x7f, v17
; %bb.852:                              ;   in Loop: Header=BB4_356 Depth=4
	s_or_b32 exec_lo, exec_lo, s13
	v_and_b32_e32 v17, 0xff, v12
	v_dual_mov_b32 v2, 0 :: v_dual_mov_b32 v16, 0
	s_mov_b32 s13, exec_lo
	s_delay_alu instid0(VALU_DEP_2)
	v_cmpx_ne_u16_e32 0, v17
	s_cbranch_execz .LBB4_858
; %bb.853:                              ;   in Loop: Header=BB4_356 Depth=4
	v_bfrev_b32_e32 v16, 1
	s_mov_b32 s73, exec_lo
	v_cmpx_ne_u16_e32 0x80, v17
	s_cbranch_execz .LBB4_857
; %bb.854:                              ;   in Loop: Header=BB4_356 Depth=4
	v_and_b32_e32 v17, 0x7f, v12
	v_mov_b32_e32 v16, 0x7f800001
	s_mov_b32 s74, exec_lo
	s_delay_alu instid0(VALU_DEP_2)
	v_cmpx_ne_u32_e32 0x7f, v17
	s_cbranch_execz .LBB4_856
; %bb.855:                              ;   in Loop: Header=BB4_356 Depth=4
	v_dual_lshrrev_b32 v18, 3, v17 :: v_dual_bitop2_b32 v16, 7, v12 bitop3:0x40
	v_cmp_gt_u32_e32 vcc_lo, 8, v17
	s_delay_alu instid0(VALU_DEP_2) | instskip(NEXT) | instid1(VALU_DEP_1)
	v_clz_i32_u32_e32 v16, v16
	v_min_u32_e32 v16, 32, v16
	s_delay_alu instid0(VALU_DEP_1) | instskip(SKIP_1) | instid1(VALU_DEP_1)
	v_subrev_nc_u32_e32 v19, 28, v16
	v_sub_nc_u32_e32 v16, 29, v16
	v_dual_cndmask_b32 v18, v18, v16, vcc_lo :: v_dual_cndmask_b32 v16, 0, v19, vcc_lo
	s_delay_alu instid0(VALU_DEP_1) | instskip(NEXT) | instid1(VALU_DEP_2)
	v_lshl_add_u32 v18, v18, 23, 0x3c000000
	v_lshlrev_b64_e32 v[16:17], v16, v[12:13]
	v_lshlrev_b32_e32 v17, 24, v12
	s_delay_alu instid0(VALU_DEP_1) | instskip(NEXT) | instid1(VALU_DEP_3)
	v_and_b32_e32 v17, 0x80000000, v17
	v_lshlrev_b32_e32 v16, 20, v16
	s_delay_alu instid0(VALU_DEP_1) | instskip(NEXT) | instid1(VALU_DEP_1)
	v_and_b32_e32 v16, 0x700000, v16
	v_or3_b32 v16, v16, v17, v18
.LBB4_856:                              ;   in Loop: Header=BB4_356 Depth=4
	s_or_b32 exec_lo, exec_lo, s74
.LBB4_857:                              ;   in Loop: Header=BB4_356 Depth=4
	s_delay_alu instid0(SALU_CYCLE_1)
	s_or_b32 exec_lo, exec_lo, s73
.LBB4_858:                              ;   in Loop: Header=BB4_356 Depth=4
	s_delay_alu instid0(SALU_CYCLE_1) | instskip(SKIP_3) | instid1(VALU_DEP_1)
	s_or_b32 exec_lo, exec_lo, s13
	s_wait_loadcnt 0x0
	v_and_b32_e32 v17, 0xff, v8
	s_mov_b32 s13, exec_lo
	v_cmpx_ne_u16_e32 0, v17
	s_cbranch_execz .LBB4_864
; %bb.859:                              ;   in Loop: Header=BB4_356 Depth=4
	v_bfrev_b32_e32 v2, 1
	s_mov_b32 s73, exec_lo
	v_cmpx_ne_u16_e32 0x80, v17
	s_cbranch_execz .LBB4_863
; %bb.860:                              ;   in Loop: Header=BB4_356 Depth=4
	v_and_b32_e32 v17, 0x7f, v8
	v_mov_b32_e32 v2, 0x7f800001
	s_mov_b32 s74, exec_lo
	s_delay_alu instid0(VALU_DEP_2)
	v_cmpx_ne_u32_e32 0x7f, v17
	s_cbranch_execz .LBB4_862
; %bb.861:                              ;   in Loop: Header=BB4_356 Depth=4
	v_dual_lshrrev_b32 v18, 3, v17 :: v_dual_bitop2_b32 v2, 7, v8 bitop3:0x40
	v_cmp_gt_u32_e32 vcc_lo, 8, v17
	s_delay_alu instid0(VALU_DEP_2) | instskip(NEXT) | instid1(VALU_DEP_1)
	v_clz_i32_u32_e32 v2, v2
	v_min_u32_e32 v2, 32, v2
	s_delay_alu instid0(VALU_DEP_1) | instskip(NEXT) | instid1(VALU_DEP_1)
	v_subrev_nc_u32_e32 v19, 28, v2
	v_dual_cndmask_b32 v17, 0, v19 :: v_dual_sub_nc_u32 v2, 29, v2
	s_delay_alu instid0(VALU_DEP_1) | instskip(NEXT) | instid1(VALU_DEP_2)
	v_cndmask_b32_e32 v2, v18, v2, vcc_lo
	v_lshlrev_b64_e32 v[18:19], v17, v[8:9]
	v_lshlrev_b32_e32 v17, 24, v8
	s_delay_alu instid0(VALU_DEP_3) | instskip(NEXT) | instid1(VALU_DEP_2)
	v_lshl_add_u32 v2, v2, 23, 0x3c000000
	v_and_b32_e32 v17, 0x80000000, v17
	s_delay_alu instid0(VALU_DEP_4) | instskip(NEXT) | instid1(VALU_DEP_1)
	v_lshlrev_b32_e32 v18, 20, v18
	v_and_b32_e32 v18, 0x700000, v18
	s_delay_alu instid0(VALU_DEP_1)
	v_or3_b32 v2, v18, v17, v2
.LBB4_862:                              ;   in Loop: Header=BB4_356 Depth=4
	s_or_b32 exec_lo, exec_lo, s74
.LBB4_863:                              ;   in Loop: Header=BB4_356 Depth=4
	s_delay_alu instid0(SALU_CYCLE_1)
	s_or_b32 exec_lo, exec_lo, s73
.LBB4_864:                              ;   in Loop: Header=BB4_356 Depth=4
	s_delay_alu instid0(SALU_CYCLE_1) | instskip(NEXT) | instid1(VALU_DEP_1)
	s_or_b32 exec_lo, exec_lo, s13
	v_add_f32_e32 v16, v16, v2
                                        ; implicit-def: $vgpr22
	s_mov_b32 s13, exec_lo
	s_delay_alu instid0(VALU_DEP_1) | instskip(SKIP_1) | instid1(VALU_DEP_2)
	v_and_b32_e32 v2, 0x7f800000, v16
	v_lshrrev_b32_e32 v17, 24, v16
	v_cmpx_ne_u64_e32 0x7f800000, v[2:3]
	s_xor_b32 s73, exec_lo, s13
	s_cbranch_execz .LBB4_878
; %bb.865:                              ;   in Loop: Header=BB4_356 Depth=4
	v_and_b32_e32 v2, 0x7fffffff, v16
	v_and_b32_e32 v23, 0x80, v17
                                        ; implicit-def: $vgpr22
	s_mov_b32 s13, exec_lo
	s_delay_alu instid0(VALU_DEP_2)
	v_cmpx_gt_u64_e32 0x43e00001, v[2:3]
	s_xor_b32 s74, exec_lo, s13
	s_cbranch_execz .LBB4_875
; %bb.866:                              ;   in Loop: Header=BB4_356 Depth=4
	v_mov_b32_e32 v22, 0
	s_mov_b32 s75, exec_lo
	v_cmpx_ne_u32_e32 0, v16
	s_cbranch_execz .LBB4_874
; %bb.867:                              ;   in Loop: Header=BB4_356 Depth=4
	v_bfe_u32 v22, v16, 23, 8
	s_delay_alu instid0(VALU_DEP_1) | instskip(SKIP_1) | instid1(VALU_DEP_2)
	v_sub_nc_u32_e32 v2, 0x79, v22
	v_cmp_gt_u32_e32 vcc_lo, 0x7a, v22
	v_cndmask_b32_e32 v2, 0, v2, vcc_lo
	v_cmp_eq_u32_e32 vcc_lo, 0, v22
	s_delay_alu instid0(VALU_DEP_2) | instskip(SKIP_1) | instid1(VALU_DEP_2)
	v_cndmask_b32_e64 v24, v2, 0x78, vcc_lo
	v_and_b32_e32 v2, 0x7fffff, v16
	v_add_nc_u32_e32 v16, 20, v24
	s_delay_alu instid0(VALU_DEP_2) | instskip(SKIP_1) | instid1(VALU_DEP_3)
	v_or_b32_e32 v18, 0x800000, v2
	v_add_nc_u32_e32 v19, 19, v24
	v_lshlrev_b64_e64 v[16:17], v16, -1
	s_delay_alu instid0(VALU_DEP_3) | instskip(NEXT) | instid1(VALU_DEP_3)
	v_cndmask_b32_e32 v2, v18, v2, vcc_lo
	v_lshlrev_b64_e64 v[18:19], v19, 1
	s_delay_alu instid0(VALU_DEP_3) | instskip(NEXT) | instid1(VALU_DEP_3)
	v_bfi_b32 v27, v17, 0, 0
	v_bfi_b32 v26, v16, 0, v2
	v_lshrrev_b64 v[16:17], v24, v[2:3]
	s_delay_alu instid0(VALU_DEP_2) | instskip(NEXT) | instid1(VALU_DEP_2)
	v_cmp_eq_u64_e64 s13, v[26:27], v[18:19]
	v_mov_b64_e32 v[18:19], v[16:17]
	s_and_saveexec_b32 s76, s13
; %bb.868:                              ;   in Loop: Header=BB4_356 Depth=4
	v_bfe_u32 v2, v16, 20, 1
	s_delay_alu instid0(VALU_DEP_1) | instskip(NEXT) | instid1(VALU_DEP_1)
	v_add_nc_u64_e32 v[18:19], v[16:17], v[2:3]
	v_add_nc_u64_e32 v[18:19], -1, v[18:19]
; %bb.869:                              ;   in Loop: Header=BB4_356 Depth=4
	s_or_b32 exec_lo, exec_lo, s76
	v_add_nc_u32_e32 v2, 0xffffff81, v22
	v_lshrrev_b32_e32 v17, 23, v16
	s_mov_b32 s13, exec_lo
	s_delay_alu instid0(VALU_DEP_2) | instskip(NEXT) | instid1(VALU_DEP_1)
	v_cndmask_b32_e64 v2, v2, 0xffffff82, vcc_lo
	v_add3_u32 v19, v24, v2, v17
	v_and_b32_e32 v2, 0xfffff, v18
                                        ; implicit-def: $vgpr18
	s_delay_alu instid0(VALU_DEP_1) | instskip(NEXT) | instid1(VALU_DEP_1)
	v_dual_add_nc_u32 v22, 6, v19 :: v_dual_add_nc_u32 v2, v2, v16
                                        ; implicit-def: $vgpr16_vgpr17
	v_cmpx_ne_u32_e32 0, v22
	s_xor_b32 s13, exec_lo, s13
; %bb.870:                              ;   in Loop: Header=BB4_356 Depth=4
	s_delay_alu instid0(VALU_DEP_2) | instskip(SKIP_1) | instid1(VALU_DEP_1)
	v_cmp_lt_u64_e32 vcc_lo, 0xffffff, v[2:3]
	v_add_nc_u32_e32 v16, 7, v19
	v_cndmask_b32_e32 v18, v22, v16, vcc_lo
	v_cndmask_b32_e64 v16, 0, 1, vcc_lo
	s_delay_alu instid0(VALU_DEP_1)
	v_lshrrev_b64 v[16:17], v16, v[2:3]
; %bb.871:                              ;   in Loop: Header=BB4_356 Depth=4
	s_and_not1_saveexec_b32 s13, s13
; %bb.872:                              ;   in Loop: Header=BB4_356 Depth=4
	v_mov_b64_e32 v[16:17], v[2:3]
	v_bfe_u32 v18, v2, 23, 1
; %bb.873:                              ;   in Loop: Header=BB4_356 Depth=4
	s_or_b32 exec_lo, exec_lo, s13
	s_delay_alu instid0(VALU_DEP_2) | instskip(NEXT) | instid1(VALU_DEP_2)
	v_lshrrev_b64 v[16:17], 20, v[16:17]
	v_cmp_gt_i32_e32 vcc_lo, 16, v18
	v_min_i32_e32 v2, 15, v18
	v_cmp_eq_u32_e64 s13, 0, v18
	s_delay_alu instid0(VALU_DEP_2) | instskip(SKIP_1) | instid1(VALU_DEP_2)
	v_dual_cndmask_b32 v17, 0, v17 :: v_dual_lshlrev_b32 v2, 3, v2
	v_cndmask_b32_e32 v16, 7, v16, vcc_lo
	v_and_b32_e32 v2, 0xf8, v2
	s_delay_alu instid0(VALU_DEP_2) | instskip(NEXT) | instid1(VALU_DEP_2)
	v_cmp_eq_u64_e32 vcc_lo, 0, v[16:17]
	v_and_or_b32 v2, v16, 7, v2
	s_and_b32 s13, s13, vcc_lo
	s_delay_alu instid0(VALU_DEP_1) | instid1(SALU_CYCLE_1)
	v_cndmask_b32_e64 v2, v2, 0, s13
	s_delay_alu instid0(VALU_DEP_1)
	v_or_b32_e32 v22, v2, v23
.LBB4_874:                              ;   in Loop: Header=BB4_356 Depth=4
	s_or_b32 exec_lo, exec_lo, s75
                                        ; implicit-def: $vgpr23
.LBB4_875:                              ;   in Loop: Header=BB4_356 Depth=4
	s_and_not1_saveexec_b32 s13, s74
; %bb.876:                              ;   in Loop: Header=BB4_356 Depth=4
	v_or_b32_e32 v22, 0x7e, v23
; %bb.877:                              ;   in Loop: Header=BB4_356 Depth=4
	s_or_b32 exec_lo, exec_lo, s13
                                        ; implicit-def: $vgpr17
.LBB4_878:                              ;   in Loop: Header=BB4_356 Depth=4
	s_and_not1_saveexec_b32 s13, s73
; %bb.879:                              ;   in Loop: Header=BB4_356 Depth=4
	v_or_b32_e32 v22, 0x7f, v17
; %bb.880:                              ;   in Loop: Header=BB4_356 Depth=4
	s_or_b32 exec_lo, exec_lo, s13
	v_lshrrev_b16 v2, 8, v12
	v_dual_mov_b32 v16, 0 :: v_dual_mov_b32 v17, 0
	s_mov_b32 s13, exec_lo
	s_delay_alu instid0(VALU_DEP_2)
	v_cmpx_ne_u16_e32 0, v2
	s_cbranch_execz .LBB4_888
; %bb.881:                              ;   in Loop: Header=BB4_356 Depth=4
	v_bfrev_b32_e32 v17, 1
	s_mov_b32 s73, exec_lo
	v_cmpx_ne_u16_e32 0x80, v2
	s_cbranch_execz .LBB4_887
; %bb.882:                              ;   in Loop: Header=BB4_356 Depth=4
	v_and_b32_e32 v2, 0xffff, v2
	v_mov_b32_e32 v17, 0x7f800001
	s_mov_b32 s74, exec_lo
	s_delay_alu instid0(VALU_DEP_2) | instskip(NEXT) | instid1(VALU_DEP_1)
	v_and_b32_e32 v18, 0x7f, v2
	v_cmpx_ne_u32_e32 0x7f, v18
	s_cbranch_execz .LBB4_886
; %bb.883:                              ;   in Loop: Header=BB4_356 Depth=4
	v_and_b32_e32 v2, 7, v2
	v_lshrrev_b32_e32 v17, 3, v18
	s_mov_b32 s75, exec_lo
	v_cmpx_gt_u32_e32 8, v18
; %bb.884:                              ;   in Loop: Header=BB4_356 Depth=4
	s_delay_alu instid0(VALU_DEP_3) | instskip(NEXT) | instid1(VALU_DEP_1)
	v_clz_i32_u32_e32 v17, v2
	v_min_u32_e32 v17, 32, v17
	s_delay_alu instid0(VALU_DEP_1) | instskip(NEXT) | instid1(VALU_DEP_1)
	v_subrev_nc_u32_e32 v18, 28, v17
	v_lshlrev_b64_e32 v[18:19], v18, v[2:3]
	s_delay_alu instid0(VALU_DEP_1)
	v_dual_sub_nc_u32 v17, 29, v17 :: v_dual_bitop2_b32 v2, 7, v18 bitop3:0x40
; %bb.885:                              ;   in Loop: Header=BB4_356 Depth=4
	s_or_b32 exec_lo, exec_lo, s75
	s_delay_alu instid0(VALU_DEP_1) | instskip(NEXT) | instid1(VALU_DEP_2)
	v_dual_lshlrev_b32 v18, 16, v12 :: v_dual_lshlrev_b32 v2, 20, v2
	v_lshl_add_u32 v17, v17, 23, 0x3c000000
	s_delay_alu instid0(VALU_DEP_2) | instskip(NEXT) | instid1(VALU_DEP_1)
	v_and_b32_e32 v18, 0x80000000, v18
	v_or3_b32 v17, v2, v18, v17
.LBB4_886:                              ;   in Loop: Header=BB4_356 Depth=4
	s_or_b32 exec_lo, exec_lo, s74
.LBB4_887:                              ;   in Loop: Header=BB4_356 Depth=4
	s_delay_alu instid0(SALU_CYCLE_1)
	s_or_b32 exec_lo, exec_lo, s73
.LBB4_888:                              ;   in Loop: Header=BB4_356 Depth=4
	s_delay_alu instid0(SALU_CYCLE_1) | instskip(SKIP_2) | instid1(VALU_DEP_1)
	s_or_b32 exec_lo, exec_lo, s13
	v_lshrrev_b16 v2, 8, v8
	s_mov_b32 s13, exec_lo
	v_cmpx_ne_u16_e32 0, v2
	s_cbranch_execz .LBB4_896
; %bb.889:                              ;   in Loop: Header=BB4_356 Depth=4
	v_bfrev_b32_e32 v16, 1
	s_mov_b32 s73, exec_lo
	v_cmpx_ne_u16_e32 0x80, v2
	s_cbranch_execz .LBB4_895
; %bb.890:                              ;   in Loop: Header=BB4_356 Depth=4
	v_and_b32_e32 v2, 0xffff, v2
	v_mov_b32_e32 v16, 0x7f800001
	s_mov_b32 s74, exec_lo
	s_delay_alu instid0(VALU_DEP_2) | instskip(NEXT) | instid1(VALU_DEP_1)
	v_and_b32_e32 v18, 0x7f, v2
	v_cmpx_ne_u32_e32 0x7f, v18
	s_cbranch_execz .LBB4_894
; %bb.891:                              ;   in Loop: Header=BB4_356 Depth=4
	v_and_b32_e32 v2, 7, v2
	v_lshrrev_b32_e32 v16, 3, v18
	s_mov_b32 s75, exec_lo
	v_cmpx_gt_u32_e32 8, v18
; %bb.892:                              ;   in Loop: Header=BB4_356 Depth=4
	s_delay_alu instid0(VALU_DEP_3) | instskip(NEXT) | instid1(VALU_DEP_1)
	v_clz_i32_u32_e32 v16, v2
	v_min_u32_e32 v16, 32, v16
	s_delay_alu instid0(VALU_DEP_1) | instskip(NEXT) | instid1(VALU_DEP_1)
	v_subrev_nc_u32_e32 v18, 28, v16
	v_lshlrev_b64_e32 v[18:19], v18, v[2:3]
	s_delay_alu instid0(VALU_DEP_1)
	v_dual_sub_nc_u32 v16, 29, v16 :: v_dual_bitop2_b32 v2, 7, v18 bitop3:0x40
; %bb.893:                              ;   in Loop: Header=BB4_356 Depth=4
	s_or_b32 exec_lo, exec_lo, s75
	s_delay_alu instid0(VALU_DEP_1) | instskip(NEXT) | instid1(VALU_DEP_2)
	v_dual_lshlrev_b32 v18, 16, v8 :: v_dual_lshlrev_b32 v2, 20, v2
	v_lshl_add_u32 v16, v16, 23, 0x3c000000
	s_delay_alu instid0(VALU_DEP_2) | instskip(NEXT) | instid1(VALU_DEP_1)
	v_and_b32_e32 v18, 0x80000000, v18
	v_or3_b32 v16, v2, v18, v16
.LBB4_894:                              ;   in Loop: Header=BB4_356 Depth=4
	s_or_b32 exec_lo, exec_lo, s74
.LBB4_895:                              ;   in Loop: Header=BB4_356 Depth=4
	s_delay_alu instid0(SALU_CYCLE_1)
	s_or_b32 exec_lo, exec_lo, s73
.LBB4_896:                              ;   in Loop: Header=BB4_356 Depth=4
	s_delay_alu instid0(SALU_CYCLE_1) | instskip(NEXT) | instid1(VALU_DEP_1)
	s_or_b32 exec_lo, exec_lo, s13
	v_add_f32_e32 v16, v17, v16
                                        ; implicit-def: $vgpr23
	s_mov_b32 s13, exec_lo
	s_delay_alu instid0(VALU_DEP_1) | instskip(SKIP_1) | instid1(VALU_DEP_2)
	v_and_b32_e32 v2, 0x7f800000, v16
	v_lshrrev_b32_e32 v17, 24, v16
	v_cmpx_ne_u64_e32 0x7f800000, v[2:3]
	s_xor_b32 s73, exec_lo, s13
	s_cbranch_execz .LBB4_910
; %bb.897:                              ;   in Loop: Header=BB4_356 Depth=4
	v_and_b32_e32 v2, 0x7fffffff, v16
	v_and_b32_e32 v26, 0x80, v17
                                        ; implicit-def: $vgpr23
	s_mov_b32 s13, exec_lo
	s_delay_alu instid0(VALU_DEP_2)
	v_cmpx_gt_u64_e32 0x43e00001, v[2:3]
	s_xor_b32 s74, exec_lo, s13
	s_cbranch_execz .LBB4_907
; %bb.898:                              ;   in Loop: Header=BB4_356 Depth=4
	v_mov_b32_e32 v23, 0
	s_mov_b32 s75, exec_lo
	v_cmpx_ne_u32_e32 0, v16
	s_cbranch_execz .LBB4_906
; %bb.899:                              ;   in Loop: Header=BB4_356 Depth=4
	v_bfe_u32 v23, v16, 23, 8
	s_delay_alu instid0(VALU_DEP_1) | instskip(SKIP_1) | instid1(VALU_DEP_2)
	v_sub_nc_u32_e32 v2, 0x79, v23
	v_cmp_gt_u32_e32 vcc_lo, 0x7a, v23
	v_cndmask_b32_e32 v2, 0, v2, vcc_lo
	v_cmp_eq_u32_e32 vcc_lo, 0, v23
	s_delay_alu instid0(VALU_DEP_2) | instskip(SKIP_1) | instid1(VALU_DEP_2)
	v_cndmask_b32_e64 v24, v2, 0x78, vcc_lo
	v_and_b32_e32 v2, 0x7fffff, v16
	v_add_nc_u32_e32 v16, 20, v24
	s_delay_alu instid0(VALU_DEP_2) | instskip(SKIP_1) | instid1(VALU_DEP_3)
	v_or_b32_e32 v18, 0x800000, v2
	v_add_nc_u32_e32 v19, 19, v24
	v_lshlrev_b64_e64 v[16:17], v16, -1
	s_delay_alu instid0(VALU_DEP_3) | instskip(NEXT) | instid1(VALU_DEP_3)
	v_cndmask_b32_e32 v2, v18, v2, vcc_lo
	v_lshlrev_b64_e64 v[18:19], v19, 1
	s_delay_alu instid0(VALU_DEP_3) | instskip(NEXT) | instid1(VALU_DEP_3)
	v_bfi_b32 v29, v17, 0, 0
	v_bfi_b32 v28, v16, 0, v2
	v_lshrrev_b64 v[16:17], v24, v[2:3]
	s_delay_alu instid0(VALU_DEP_2) | instskip(NEXT) | instid1(VALU_DEP_2)
	v_cmp_eq_u64_e64 s13, v[28:29], v[18:19]
	v_mov_b64_e32 v[18:19], v[16:17]
	s_and_saveexec_b32 s76, s13
; %bb.900:                              ;   in Loop: Header=BB4_356 Depth=4
	v_bfe_u32 v2, v16, 20, 1
	s_delay_alu instid0(VALU_DEP_1) | instskip(NEXT) | instid1(VALU_DEP_1)
	v_add_nc_u64_e32 v[18:19], v[16:17], v[2:3]
	v_add_nc_u64_e32 v[18:19], -1, v[18:19]
; %bb.901:                              ;   in Loop: Header=BB4_356 Depth=4
	s_or_b32 exec_lo, exec_lo, s76
	v_add_nc_u32_e32 v2, 0xffffff81, v23
	v_lshrrev_b32_e32 v17, 23, v16
	s_mov_b32 s13, exec_lo
	s_delay_alu instid0(VALU_DEP_2) | instskip(NEXT) | instid1(VALU_DEP_1)
	v_cndmask_b32_e64 v2, v2, 0xffffff82, vcc_lo
	v_add3_u32 v19, v24, v2, v17
	v_and_b32_e32 v2, 0xfffff, v18
                                        ; implicit-def: $vgpr18
	s_delay_alu instid0(VALU_DEP_1) | instskip(NEXT) | instid1(VALU_DEP_1)
	v_dual_add_nc_u32 v23, 6, v19 :: v_dual_add_nc_u32 v2, v2, v16
                                        ; implicit-def: $vgpr16_vgpr17
	v_cmpx_ne_u32_e32 0, v23
	s_xor_b32 s13, exec_lo, s13
; %bb.902:                              ;   in Loop: Header=BB4_356 Depth=4
	s_delay_alu instid0(VALU_DEP_2) | instskip(SKIP_1) | instid1(VALU_DEP_1)
	v_cmp_lt_u64_e32 vcc_lo, 0xffffff, v[2:3]
	v_add_nc_u32_e32 v16, 7, v19
	v_cndmask_b32_e32 v18, v23, v16, vcc_lo
	v_cndmask_b32_e64 v16, 0, 1, vcc_lo
	s_delay_alu instid0(VALU_DEP_1)
	v_lshrrev_b64 v[16:17], v16, v[2:3]
; %bb.903:                              ;   in Loop: Header=BB4_356 Depth=4
	s_and_not1_saveexec_b32 s13, s13
; %bb.904:                              ;   in Loop: Header=BB4_356 Depth=4
	v_mov_b64_e32 v[16:17], v[2:3]
	v_bfe_u32 v18, v2, 23, 1
; %bb.905:                              ;   in Loop: Header=BB4_356 Depth=4
	s_or_b32 exec_lo, exec_lo, s13
	s_delay_alu instid0(VALU_DEP_2) | instskip(NEXT) | instid1(VALU_DEP_2)
	v_lshrrev_b64 v[16:17], 20, v[16:17]
	v_cmp_gt_i32_e32 vcc_lo, 16, v18
	v_min_i32_e32 v2, 15, v18
	v_cmp_eq_u32_e64 s13, 0, v18
	s_delay_alu instid0(VALU_DEP_2) | instskip(SKIP_1) | instid1(VALU_DEP_2)
	v_dual_cndmask_b32 v17, 0, v17 :: v_dual_lshlrev_b32 v2, 3, v2
	v_cndmask_b32_e32 v16, 7, v16, vcc_lo
	v_and_b32_e32 v2, 0xf8, v2
	s_delay_alu instid0(VALU_DEP_2) | instskip(NEXT) | instid1(VALU_DEP_2)
	v_cmp_eq_u64_e32 vcc_lo, 0, v[16:17]
	v_and_or_b32 v2, v16, 7, v2
	s_and_b32 s13, s13, vcc_lo
	s_delay_alu instid0(VALU_DEP_1) | instid1(SALU_CYCLE_1)
	v_cndmask_b32_e64 v2, v2, 0, s13
	s_delay_alu instid0(VALU_DEP_1)
	v_or_b32_e32 v23, v2, v26
.LBB4_906:                              ;   in Loop: Header=BB4_356 Depth=4
	s_or_b32 exec_lo, exec_lo, s75
                                        ; implicit-def: $vgpr26
.LBB4_907:                              ;   in Loop: Header=BB4_356 Depth=4
	s_and_not1_saveexec_b32 s13, s74
; %bb.908:                              ;   in Loop: Header=BB4_356 Depth=4
	v_or_b32_e32 v23, 0x7e, v26
; %bb.909:                              ;   in Loop: Header=BB4_356 Depth=4
	s_or_b32 exec_lo, exec_lo, s13
                                        ; implicit-def: $vgpr17
.LBB4_910:                              ;   in Loop: Header=BB4_356 Depth=4
	s_and_not1_saveexec_b32 s13, s73
; %bb.911:                              ;   in Loop: Header=BB4_356 Depth=4
	v_or_b32_e32 v23, 0x7f, v17
; %bb.912:                              ;   in Loop: Header=BB4_356 Depth=4
	s_or_b32 exec_lo, exec_lo, s13
	v_dual_lshrrev_b32 v18, 16, v12 :: v_dual_mov_b32 v16, 0
	v_mov_b32_e32 v17, 0
	s_mov_b32 s13, exec_lo
	s_delay_alu instid0(VALU_DEP_2) | instskip(NEXT) | instid1(VALU_DEP_1)
	v_and_b32_e32 v2, 0xff, v18
	v_cmpx_ne_u16_e32 0, v2
	s_cbranch_execz .LBB4_920
; %bb.913:                              ;   in Loop: Header=BB4_356 Depth=4
	v_bfrev_b32_e32 v17, 1
	s_mov_b32 s73, exec_lo
	v_cmpx_ne_u16_e32 0x80, v2
	s_cbranch_execz .LBB4_919
; %bb.914:                              ;   in Loop: Header=BB4_356 Depth=4
	v_bfe_u32 v19, v12, 16, 7
	v_mov_b32_e32 v17, 0x7f800001
	s_mov_b32 s74, exec_lo
	s_delay_alu instid0(VALU_DEP_2)
	v_cmpx_ne_u32_e32 0x7f, v19
	s_cbranch_execz .LBB4_918
; %bb.915:                              ;   in Loop: Header=BB4_356 Depth=4
	v_dual_lshrrev_b32 v17, 3, v19 :: v_dual_bitop2_b32 v2, 7, v18 bitop3:0x40
	s_mov_b32 s75, exec_lo
	v_cmpx_gt_u32_e32 8, v19
; %bb.916:                              ;   in Loop: Header=BB4_356 Depth=4
	s_delay_alu instid0(VALU_DEP_2) | instskip(NEXT) | instid1(VALU_DEP_1)
	v_clz_i32_u32_e32 v17, v2
	v_min_u32_e32 v17, 32, v17
	s_delay_alu instid0(VALU_DEP_1) | instskip(NEXT) | instid1(VALU_DEP_1)
	v_subrev_nc_u32_e32 v19, 28, v17
	v_lshlrev_b64_e32 v[24:25], v19, v[2:3]
	s_delay_alu instid0(VALU_DEP_1)
	v_dual_sub_nc_u32 v17, 29, v17 :: v_dual_bitop2_b32 v2, 7, v24 bitop3:0x40
; %bb.917:                              ;   in Loop: Header=BB4_356 Depth=4
	s_or_b32 exec_lo, exec_lo, s75
	v_lshlrev_b32_e32 v18, 24, v18
	s_delay_alu instid0(VALU_DEP_2) | instskip(NEXT) | instid1(VALU_DEP_3)
	v_lshlrev_b32_e32 v2, 20, v2
	v_lshl_add_u32 v17, v17, 23, 0x3c000000
	s_delay_alu instid0(VALU_DEP_3) | instskip(NEXT) | instid1(VALU_DEP_1)
	v_and_b32_e32 v18, 0x80000000, v18
	v_or3_b32 v17, v2, v18, v17
.LBB4_918:                              ;   in Loop: Header=BB4_356 Depth=4
	s_or_b32 exec_lo, exec_lo, s74
.LBB4_919:                              ;   in Loop: Header=BB4_356 Depth=4
	s_delay_alu instid0(SALU_CYCLE_1)
	s_or_b32 exec_lo, exec_lo, s73
.LBB4_920:                              ;   in Loop: Header=BB4_356 Depth=4
	s_delay_alu instid0(SALU_CYCLE_1) | instskip(SKIP_2) | instid1(VALU_DEP_1)
	s_or_b32 exec_lo, exec_lo, s13
	v_lshrrev_b32_e32 v2, 16, v8
	s_mov_b32 s13, exec_lo
	v_and_b32_e32 v18, 0xff, v2
	s_delay_alu instid0(VALU_DEP_1)
	v_cmpx_ne_u16_e32 0, v18
	s_cbranch_execz .LBB4_928
; %bb.921:                              ;   in Loop: Header=BB4_356 Depth=4
	v_bfrev_b32_e32 v16, 1
	s_mov_b32 s73, exec_lo
	v_cmpx_ne_u16_e32 0x80, v18
	s_cbranch_execz .LBB4_927
; %bb.922:                              ;   in Loop: Header=BB4_356 Depth=4
	v_bfe_u32 v18, v8, 16, 7
	v_mov_b32_e32 v16, 0x7f800001
	s_mov_b32 s74, exec_lo
	s_delay_alu instid0(VALU_DEP_2)
	v_cmpx_ne_u32_e32 0x7f, v18
	s_cbranch_execz .LBB4_926
; %bb.923:                              ;   in Loop: Header=BB4_356 Depth=4
	v_and_b32_e32 v2, 7, v2
	v_lshrrev_b32_e32 v16, 3, v18
	s_mov_b32 s75, exec_lo
	v_cmpx_gt_u32_e32 8, v18
; %bb.924:                              ;   in Loop: Header=BB4_356 Depth=4
	s_delay_alu instid0(VALU_DEP_3) | instskip(NEXT) | instid1(VALU_DEP_1)
	v_clz_i32_u32_e32 v16, v2
	v_min_u32_e32 v16, 32, v16
	s_delay_alu instid0(VALU_DEP_1) | instskip(NEXT) | instid1(VALU_DEP_1)
	v_subrev_nc_u32_e32 v18, 28, v16
	v_lshlrev_b64_e32 v[18:19], v18, v[2:3]
	s_delay_alu instid0(VALU_DEP_1)
	v_dual_sub_nc_u32 v16, 29, v16 :: v_dual_bitop2_b32 v2, 7, v18 bitop3:0x40
; %bb.925:                              ;   in Loop: Header=BB4_356 Depth=4
	s_or_b32 exec_lo, exec_lo, s75
	s_delay_alu instid0(VALU_DEP_1) | instskip(NEXT) | instid1(VALU_DEP_2)
	v_dual_lshlrev_b32 v18, 8, v8 :: v_dual_lshlrev_b32 v2, 20, v2
	v_lshl_add_u32 v16, v16, 23, 0x3c000000
	s_delay_alu instid0(VALU_DEP_2) | instskip(NEXT) | instid1(VALU_DEP_1)
	v_and_b32_e32 v18, 0x80000000, v18
	v_or3_b32 v16, v2, v18, v16
.LBB4_926:                              ;   in Loop: Header=BB4_356 Depth=4
	s_or_b32 exec_lo, exec_lo, s74
.LBB4_927:                              ;   in Loop: Header=BB4_356 Depth=4
	s_delay_alu instid0(SALU_CYCLE_1)
	s_or_b32 exec_lo, exec_lo, s73
.LBB4_928:                              ;   in Loop: Header=BB4_356 Depth=4
	s_delay_alu instid0(SALU_CYCLE_1) | instskip(NEXT) | instid1(VALU_DEP_1)
	s_or_b32 exec_lo, exec_lo, s13
	v_add_f32_e32 v16, v17, v16
                                        ; implicit-def: $vgpr111
	s_mov_b32 s13, exec_lo
	s_delay_alu instid0(VALU_DEP_1) | instskip(SKIP_1) | instid1(VALU_DEP_2)
	v_and_b32_e32 v2, 0x7f800000, v16
	v_lshrrev_b32_e32 v17, 24, v16
	v_cmpx_ne_u64_e32 0x7f800000, v[2:3]
	s_xor_b32 s73, exec_lo, s13
	s_cbranch_execz .LBB4_942
; %bb.929:                              ;   in Loop: Header=BB4_356 Depth=4
	v_and_b32_e32 v2, 0x7fffffff, v16
	v_and_b32_e32 v26, 0x80, v17
                                        ; implicit-def: $vgpr111
	s_mov_b32 s13, exec_lo
	s_delay_alu instid0(VALU_DEP_2)
	v_cmpx_gt_u64_e32 0x43e00001, v[2:3]
	s_xor_b32 s74, exec_lo, s13
	s_cbranch_execz .LBB4_939
; %bb.930:                              ;   in Loop: Header=BB4_356 Depth=4
	v_mov_b32_e32 v111, 0
	s_mov_b32 s75, exec_lo
	v_cmpx_ne_u32_e32 0, v16
	s_cbranch_execz .LBB4_938
; %bb.931:                              ;   in Loop: Header=BB4_356 Depth=4
	v_bfe_u32 v24, v16, 23, 8
	s_delay_alu instid0(VALU_DEP_1) | instskip(SKIP_1) | instid1(VALU_DEP_2)
	v_sub_nc_u32_e32 v2, 0x79, v24
	v_cmp_gt_u32_e32 vcc_lo, 0x7a, v24
	v_cndmask_b32_e32 v2, 0, v2, vcc_lo
	v_cmp_eq_u32_e32 vcc_lo, 0, v24
	s_delay_alu instid0(VALU_DEP_2) | instskip(SKIP_1) | instid1(VALU_DEP_2)
	v_cndmask_b32_e64 v25, v2, 0x78, vcc_lo
	v_and_b32_e32 v2, 0x7fffff, v16
	v_add_nc_u32_e32 v16, 20, v25
	s_delay_alu instid0(VALU_DEP_2) | instskip(SKIP_1) | instid1(VALU_DEP_3)
	v_or_b32_e32 v18, 0x800000, v2
	v_add_nc_u32_e32 v19, 19, v25
	v_lshlrev_b64_e64 v[16:17], v16, -1
	s_delay_alu instid0(VALU_DEP_3) | instskip(NEXT) | instid1(VALU_DEP_3)
	v_cndmask_b32_e32 v2, v18, v2, vcc_lo
	v_lshlrev_b64_e64 v[18:19], v19, 1
	s_delay_alu instid0(VALU_DEP_3) | instskip(NEXT) | instid1(VALU_DEP_3)
	v_bfi_b32 v29, v17, 0, 0
	v_bfi_b32 v28, v16, 0, v2
	v_lshrrev_b64 v[16:17], v25, v[2:3]
	s_delay_alu instid0(VALU_DEP_2) | instskip(NEXT) | instid1(VALU_DEP_2)
	v_cmp_eq_u64_e64 s13, v[28:29], v[18:19]
	v_mov_b64_e32 v[18:19], v[16:17]
	s_and_saveexec_b32 s76, s13
; %bb.932:                              ;   in Loop: Header=BB4_356 Depth=4
	v_bfe_u32 v2, v16, 20, 1
	s_delay_alu instid0(VALU_DEP_1) | instskip(NEXT) | instid1(VALU_DEP_1)
	v_add_nc_u64_e32 v[18:19], v[16:17], v[2:3]
	v_add_nc_u64_e32 v[18:19], -1, v[18:19]
; %bb.933:                              ;   in Loop: Header=BB4_356 Depth=4
	s_or_b32 exec_lo, exec_lo, s76
	v_add_nc_u32_e32 v2, 0xffffff81, v24
	v_lshrrev_b32_e32 v17, 23, v16
	s_mov_b32 s13, exec_lo
	s_delay_alu instid0(VALU_DEP_2) | instskip(NEXT) | instid1(VALU_DEP_1)
	v_cndmask_b32_e64 v2, v2, 0xffffff82, vcc_lo
	v_add3_u32 v19, v25, v2, v17
	v_and_b32_e32 v2, 0xfffff, v18
                                        ; implicit-def: $vgpr18
	s_delay_alu instid0(VALU_DEP_1) | instskip(NEXT) | instid1(VALU_DEP_1)
	v_dual_add_nc_u32 v24, 6, v19 :: v_dual_add_nc_u32 v2, v2, v16
                                        ; implicit-def: $vgpr16_vgpr17
	v_cmpx_ne_u32_e32 0, v24
	s_xor_b32 s13, exec_lo, s13
; %bb.934:                              ;   in Loop: Header=BB4_356 Depth=4
	s_delay_alu instid0(VALU_DEP_2) | instskip(SKIP_1) | instid1(VALU_DEP_1)
	v_cmp_lt_u64_e32 vcc_lo, 0xffffff, v[2:3]
	v_add_nc_u32_e32 v16, 7, v19
	v_cndmask_b32_e32 v18, v24, v16, vcc_lo
	v_cndmask_b32_e64 v16, 0, 1, vcc_lo
	s_delay_alu instid0(VALU_DEP_1)
	v_lshrrev_b64 v[16:17], v16, v[2:3]
; %bb.935:                              ;   in Loop: Header=BB4_356 Depth=4
	s_and_not1_saveexec_b32 s13, s13
; %bb.936:                              ;   in Loop: Header=BB4_356 Depth=4
	v_mov_b64_e32 v[16:17], v[2:3]
	v_bfe_u32 v18, v2, 23, 1
; %bb.937:                              ;   in Loop: Header=BB4_356 Depth=4
	s_or_b32 exec_lo, exec_lo, s13
	s_delay_alu instid0(VALU_DEP_2) | instskip(NEXT) | instid1(VALU_DEP_2)
	v_lshrrev_b64 v[16:17], 20, v[16:17]
	v_cmp_gt_i32_e32 vcc_lo, 16, v18
	v_min_i32_e32 v2, 15, v18
	v_cmp_eq_u32_e64 s13, 0, v18
	s_delay_alu instid0(VALU_DEP_2) | instskip(SKIP_1) | instid1(VALU_DEP_2)
	v_dual_cndmask_b32 v17, 0, v17 :: v_dual_lshlrev_b32 v2, 3, v2
	v_cndmask_b32_e32 v16, 7, v16, vcc_lo
	v_and_b32_e32 v2, 0xf8, v2
	s_delay_alu instid0(VALU_DEP_2) | instskip(NEXT) | instid1(VALU_DEP_2)
	v_cmp_eq_u64_e32 vcc_lo, 0, v[16:17]
	v_and_or_b32 v2, v16, 7, v2
	s_and_b32 s13, s13, vcc_lo
	s_delay_alu instid0(VALU_DEP_1) | instid1(SALU_CYCLE_1)
	v_cndmask_b32_e64 v2, v2, 0, s13
	s_delay_alu instid0(VALU_DEP_1)
	v_or_b32_e32 v111, v2, v26
.LBB4_938:                              ;   in Loop: Header=BB4_356 Depth=4
	s_or_b32 exec_lo, exec_lo, s75
                                        ; implicit-def: $vgpr26
.LBB4_939:                              ;   in Loop: Header=BB4_356 Depth=4
	s_and_not1_saveexec_b32 s13, s74
; %bb.940:                              ;   in Loop: Header=BB4_356 Depth=4
	v_or_b32_e32 v111, 0x7e, v26
; %bb.941:                              ;   in Loop: Header=BB4_356 Depth=4
	s_or_b32 exec_lo, exec_lo, s13
                                        ; implicit-def: $vgpr17
.LBB4_942:                              ;   in Loop: Header=BB4_356 Depth=4
	s_and_not1_saveexec_b32 s13, s73
; %bb.943:                              ;   in Loop: Header=BB4_356 Depth=4
	v_or_b32_e32 v111, 0x7f, v17
; %bb.944:                              ;   in Loop: Header=BB4_356 Depth=4
	s_or_b32 exec_lo, exec_lo, s13
	v_dual_mov_b32 v16, 0 :: v_dual_mov_b32 v17, 0
	s_mov_b32 s13, exec_lo
	v_cmpx_lt_u32_e32 0xffffff, v12
	s_cbranch_execz .LBB4_952
; %bb.945:                              ;   in Loop: Header=BB4_356 Depth=4
	v_lshrrev_b32_e32 v18, 24, v12
	v_bfrev_b32_e32 v17, 1
	s_mov_b32 s73, exec_lo
	s_delay_alu instid0(VALU_DEP_2)
	v_cmpx_ne_u32_e32 0x80, v18
	s_cbranch_execz .LBB4_951
; %bb.946:                              ;   in Loop: Header=BB4_356 Depth=4
	v_bfe_u32 v19, v12, 24, 7
	v_mov_b32_e32 v17, 0x7f800001
	s_mov_b32 s74, exec_lo
	s_delay_alu instid0(VALU_DEP_2)
	v_cmpx_ne_u32_e32 0x7f, v19
	s_cbranch_execz .LBB4_950
; %bb.947:                              ;   in Loop: Header=BB4_356 Depth=4
	v_dual_lshrrev_b32 v17, 3, v19 :: v_dual_bitop2_b32 v2, 7, v18 bitop3:0x40
	s_mov_b32 s75, exec_lo
	v_cmpx_gt_u32_e32 8, v19
; %bb.948:                              ;   in Loop: Header=BB4_356 Depth=4
	s_delay_alu instid0(VALU_DEP_2) | instskip(NEXT) | instid1(VALU_DEP_1)
	v_clz_i32_u32_e32 v17, v2
	v_min_u32_e32 v17, 32, v17
	s_delay_alu instid0(VALU_DEP_1) | instskip(NEXT) | instid1(VALU_DEP_1)
	v_subrev_nc_u32_e32 v19, 28, v17
	v_lshlrev_b64_e32 v[24:25], v19, v[2:3]
	s_delay_alu instid0(VALU_DEP_1)
	v_dual_sub_nc_u32 v17, 29, v17 :: v_dual_bitop2_b32 v2, 7, v24 bitop3:0x40
; %bb.949:                              ;   in Loop: Header=BB4_356 Depth=4
	s_or_b32 exec_lo, exec_lo, s75
	v_lshlrev_b32_e32 v18, 24, v18
	s_delay_alu instid0(VALU_DEP_2) | instskip(NEXT) | instid1(VALU_DEP_3)
	v_lshlrev_b32_e32 v2, 20, v2
	v_lshl_add_u32 v17, v17, 23, 0x3c000000
	s_delay_alu instid0(VALU_DEP_3) | instskip(NEXT) | instid1(VALU_DEP_1)
	v_and_b32_e32 v18, 0x80000000, v18
	v_or3_b32 v17, v2, v18, v17
.LBB4_950:                              ;   in Loop: Header=BB4_356 Depth=4
	s_or_b32 exec_lo, exec_lo, s74
.LBB4_951:                              ;   in Loop: Header=BB4_356 Depth=4
	s_delay_alu instid0(SALU_CYCLE_1)
	s_or_b32 exec_lo, exec_lo, s73
.LBB4_952:                              ;   in Loop: Header=BB4_356 Depth=4
	s_delay_alu instid0(SALU_CYCLE_1) | instskip(NEXT) | instid1(SALU_CYCLE_1)
	s_or_b32 exec_lo, exec_lo, s13
	s_mov_b32 s13, exec_lo
	v_cmpx_lt_u32_e32 0xffffff, v8
	s_cbranch_execz .LBB4_960
; %bb.953:                              ;   in Loop: Header=BB4_356 Depth=4
	v_lshrrev_b32_e32 v18, 24, v8
	v_bfrev_b32_e32 v16, 1
	s_mov_b32 s73, exec_lo
	s_delay_alu instid0(VALU_DEP_2)
	v_cmpx_ne_u32_e32 0x80, v18
	s_cbranch_execz .LBB4_959
; %bb.954:                              ;   in Loop: Header=BB4_356 Depth=4
	v_bfe_u32 v19, v8, 24, 7
	v_mov_b32_e32 v16, 0x7f800001
	s_mov_b32 s74, exec_lo
	s_delay_alu instid0(VALU_DEP_2)
	v_cmpx_ne_u32_e32 0x7f, v19
	s_cbranch_execz .LBB4_958
; %bb.955:                              ;   in Loop: Header=BB4_356 Depth=4
	v_dual_lshrrev_b32 v16, 3, v19 :: v_dual_bitop2_b32 v2, 7, v18 bitop3:0x40
	s_mov_b32 s75, exec_lo
	v_cmpx_gt_u32_e32 8, v19
; %bb.956:                              ;   in Loop: Header=BB4_356 Depth=4
	s_delay_alu instid0(VALU_DEP_2) | instskip(NEXT) | instid1(VALU_DEP_1)
	v_clz_i32_u32_e32 v16, v2
	v_min_u32_e32 v16, 32, v16
	s_delay_alu instid0(VALU_DEP_1) | instskip(SKIP_1) | instid1(VALU_DEP_2)
	v_subrev_nc_u32_e32 v19, 28, v16
	v_sub_nc_u32_e32 v16, 29, v16
	v_lshlrev_b64_e32 v[24:25], v19, v[2:3]
	s_delay_alu instid0(VALU_DEP_1)
	v_and_b32_e32 v2, 7, v24
; %bb.957:                              ;   in Loop: Header=BB4_356 Depth=4
	s_or_b32 exec_lo, exec_lo, s75
	v_lshlrev_b32_e32 v18, 24, v18
	s_delay_alu instid0(VALU_DEP_2) | instskip(SKIP_1) | instid1(VALU_DEP_3)
	v_lshlrev_b32_e32 v2, 20, v2
	v_lshl_add_u32 v16, v16, 23, 0x3c000000
	v_and_b32_e32 v18, 0x80000000, v18
	s_delay_alu instid0(VALU_DEP_1)
	v_or3_b32 v16, v2, v18, v16
.LBB4_958:                              ;   in Loop: Header=BB4_356 Depth=4
	s_or_b32 exec_lo, exec_lo, s74
.LBB4_959:                              ;   in Loop: Header=BB4_356 Depth=4
	s_delay_alu instid0(SALU_CYCLE_1)
	s_or_b32 exec_lo, exec_lo, s73
.LBB4_960:                              ;   in Loop: Header=BB4_356 Depth=4
	s_delay_alu instid0(SALU_CYCLE_1) | instskip(NEXT) | instid1(VALU_DEP_1)
	s_or_b32 exec_lo, exec_lo, s13
	v_add_f32_e32 v16, v17, v16
                                        ; implicit-def: $vgpr120
	s_mov_b32 s13, exec_lo
	s_delay_alu instid0(VALU_DEP_1) | instskip(SKIP_1) | instid1(VALU_DEP_2)
	v_and_b32_e32 v2, 0x7f800000, v16
	v_lshrrev_b32_e32 v17, 24, v16
	v_cmpx_ne_u64_e32 0x7f800000, v[2:3]
	s_xor_b32 s73, exec_lo, s13
	s_cbranch_execz .LBB4_974
; %bb.961:                              ;   in Loop: Header=BB4_356 Depth=4
	v_and_b32_e32 v2, 0x7fffffff, v16
	v_and_b32_e32 v26, 0x80, v17
                                        ; implicit-def: $vgpr120
	s_mov_b32 s13, exec_lo
	s_delay_alu instid0(VALU_DEP_2)
	v_cmpx_gt_u64_e32 0x43e00001, v[2:3]
	s_xor_b32 s74, exec_lo, s13
	s_cbranch_execz .LBB4_971
; %bb.962:                              ;   in Loop: Header=BB4_356 Depth=4
	v_mov_b32_e32 v120, 0
	s_mov_b32 s75, exec_lo
	v_cmpx_ne_u32_e32 0, v16
	s_cbranch_execz .LBB4_970
; %bb.963:                              ;   in Loop: Header=BB4_356 Depth=4
	v_bfe_u32 v24, v16, 23, 8
	s_delay_alu instid0(VALU_DEP_1) | instskip(SKIP_1) | instid1(VALU_DEP_2)
	v_sub_nc_u32_e32 v2, 0x79, v24
	v_cmp_gt_u32_e32 vcc_lo, 0x7a, v24
	v_cndmask_b32_e32 v2, 0, v2, vcc_lo
	v_cmp_eq_u32_e32 vcc_lo, 0, v24
	s_delay_alu instid0(VALU_DEP_2) | instskip(SKIP_1) | instid1(VALU_DEP_2)
	v_cndmask_b32_e64 v25, v2, 0x78, vcc_lo
	v_and_b32_e32 v2, 0x7fffff, v16
	v_add_nc_u32_e32 v16, 20, v25
	s_delay_alu instid0(VALU_DEP_2) | instskip(SKIP_1) | instid1(VALU_DEP_3)
	v_or_b32_e32 v18, 0x800000, v2
	v_add_nc_u32_e32 v19, 19, v25
	v_lshlrev_b64_e64 v[16:17], v16, -1
	s_delay_alu instid0(VALU_DEP_3) | instskip(NEXT) | instid1(VALU_DEP_3)
	v_cndmask_b32_e32 v2, v18, v2, vcc_lo
	v_lshlrev_b64_e64 v[18:19], v19, 1
	s_delay_alu instid0(VALU_DEP_3) | instskip(NEXT) | instid1(VALU_DEP_3)
	v_bfi_b32 v29, v17, 0, 0
	v_bfi_b32 v28, v16, 0, v2
	v_lshrrev_b64 v[16:17], v25, v[2:3]
	s_delay_alu instid0(VALU_DEP_2) | instskip(NEXT) | instid1(VALU_DEP_2)
	v_cmp_eq_u64_e64 s13, v[28:29], v[18:19]
	v_mov_b64_e32 v[18:19], v[16:17]
	s_and_saveexec_b32 s76, s13
; %bb.964:                              ;   in Loop: Header=BB4_356 Depth=4
	v_bfe_u32 v2, v16, 20, 1
	s_delay_alu instid0(VALU_DEP_1) | instskip(NEXT) | instid1(VALU_DEP_1)
	v_add_nc_u64_e32 v[18:19], v[16:17], v[2:3]
	v_add_nc_u64_e32 v[18:19], -1, v[18:19]
; %bb.965:                              ;   in Loop: Header=BB4_356 Depth=4
	s_or_b32 exec_lo, exec_lo, s76
	v_add_nc_u32_e32 v2, 0xffffff81, v24
	v_lshrrev_b32_e32 v17, 23, v16
	s_mov_b32 s13, exec_lo
	s_delay_alu instid0(VALU_DEP_2) | instskip(NEXT) | instid1(VALU_DEP_1)
	v_cndmask_b32_e64 v2, v2, 0xffffff82, vcc_lo
	v_add3_u32 v19, v25, v2, v17
	v_and_b32_e32 v2, 0xfffff, v18
                                        ; implicit-def: $vgpr18
	s_delay_alu instid0(VALU_DEP_1) | instskip(NEXT) | instid1(VALU_DEP_1)
	v_dual_add_nc_u32 v24, 6, v19 :: v_dual_add_nc_u32 v2, v2, v16
                                        ; implicit-def: $vgpr16_vgpr17
	v_cmpx_ne_u32_e32 0, v24
	s_xor_b32 s13, exec_lo, s13
; %bb.966:                              ;   in Loop: Header=BB4_356 Depth=4
	s_delay_alu instid0(VALU_DEP_2) | instskip(SKIP_1) | instid1(VALU_DEP_1)
	v_cmp_lt_u64_e32 vcc_lo, 0xffffff, v[2:3]
	v_add_nc_u32_e32 v16, 7, v19
	v_cndmask_b32_e32 v18, v24, v16, vcc_lo
	v_cndmask_b32_e64 v16, 0, 1, vcc_lo
	s_delay_alu instid0(VALU_DEP_1)
	v_lshrrev_b64 v[16:17], v16, v[2:3]
; %bb.967:                              ;   in Loop: Header=BB4_356 Depth=4
	s_and_not1_saveexec_b32 s13, s13
; %bb.968:                              ;   in Loop: Header=BB4_356 Depth=4
	v_mov_b64_e32 v[16:17], v[2:3]
	v_bfe_u32 v18, v2, 23, 1
; %bb.969:                              ;   in Loop: Header=BB4_356 Depth=4
	s_or_b32 exec_lo, exec_lo, s13
	s_delay_alu instid0(VALU_DEP_2) | instskip(NEXT) | instid1(VALU_DEP_2)
	v_lshrrev_b64 v[16:17], 20, v[16:17]
	v_cmp_gt_i32_e32 vcc_lo, 16, v18
	v_min_i32_e32 v2, 15, v18
	v_cmp_eq_u32_e64 s13, 0, v18
	s_delay_alu instid0(VALU_DEP_2) | instskip(SKIP_1) | instid1(VALU_DEP_2)
	v_dual_cndmask_b32 v17, 0, v17 :: v_dual_lshlrev_b32 v2, 3, v2
	v_cndmask_b32_e32 v16, 7, v16, vcc_lo
	v_and_b32_e32 v2, 0xf8, v2
	s_delay_alu instid0(VALU_DEP_2) | instskip(NEXT) | instid1(VALU_DEP_2)
	v_cmp_eq_u64_e32 vcc_lo, 0, v[16:17]
	v_and_or_b32 v2, v16, 7, v2
	s_and_b32 s13, s13, vcc_lo
	s_delay_alu instid0(VALU_DEP_1) | instid1(SALU_CYCLE_1)
	v_cndmask_b32_e64 v2, v2, 0, s13
	s_delay_alu instid0(VALU_DEP_1)
	v_or_b32_e32 v120, v2, v26
.LBB4_970:                              ;   in Loop: Header=BB4_356 Depth=4
	s_or_b32 exec_lo, exec_lo, s75
                                        ; implicit-def: $vgpr26
.LBB4_971:                              ;   in Loop: Header=BB4_356 Depth=4
	s_and_not1_saveexec_b32 s13, s74
; %bb.972:                              ;   in Loop: Header=BB4_356 Depth=4
	v_or_b32_e32 v120, 0x7e, v26
; %bb.973:                              ;   in Loop: Header=BB4_356 Depth=4
	s_or_b32 exec_lo, exec_lo, s13
                                        ; implicit-def: $vgpr17
.LBB4_974:                              ;   in Loop: Header=BB4_356 Depth=4
	s_and_not1_saveexec_b32 s13, s73
; %bb.975:                              ;   in Loop: Header=BB4_356 Depth=4
	v_or_b32_e32 v120, 0x7f, v17
; %bb.976:                              ;   in Loop: Header=BB4_356 Depth=4
	s_or_b32 exec_lo, exec_lo, s13
	v_and_b32_e32 v18, 0xff, v13
	v_dual_mov_b32 v2, v13 :: v_dual_mov_b32 v17, 0
	v_mov_b32_e32 v16, 0
	s_mov_b32 s13, exec_lo
	s_delay_alu instid0(VALU_DEP_3)
	v_cmpx_ne_u16_e32 0, v18
	s_cbranch_execz .LBB4_982
; %bb.977:                              ;   in Loop: Header=BB4_356 Depth=4
	v_bfrev_b32_e32 v16, 1
	s_mov_b32 s73, exec_lo
	v_cmpx_ne_u16_e32 0x80, v18
	s_cbranch_execz .LBB4_981
; %bb.978:                              ;   in Loop: Header=BB4_356 Depth=4
	v_and_b32_e32 v18, 0x7f, v13
	v_mov_b32_e32 v16, 0x7f800001
	s_mov_b32 s74, exec_lo
	s_delay_alu instid0(VALU_DEP_2)
	v_cmpx_ne_u32_e32 0x7f, v18
	s_cbranch_execz .LBB4_980
; %bb.979:                              ;   in Loop: Header=BB4_356 Depth=4
	v_dual_lshrrev_b32 v19, 3, v18 :: v_dual_bitop2_b32 v16, 7, v13 bitop3:0x40
	v_cmp_gt_u32_e32 vcc_lo, 8, v18
	s_delay_alu instid0(VALU_DEP_2) | instskip(NEXT) | instid1(VALU_DEP_1)
	v_clz_i32_u32_e32 v16, v16
	v_min_u32_e32 v16, 32, v16
	s_delay_alu instid0(VALU_DEP_1) | instskip(SKIP_1) | instid1(VALU_DEP_2)
	v_subrev_nc_u32_e32 v24, 28, v16
	v_sub_nc_u32_e32 v16, 29, v16
	v_cndmask_b32_e32 v18, 0, v24, vcc_lo
	s_delay_alu instid0(VALU_DEP_2) | instskip(NEXT) | instid1(VALU_DEP_2)
	v_cndmask_b32_e32 v16, v19, v16, vcc_lo
	v_lshlrev_b64_e32 v[18:19], v18, v[2:3]
	v_lshlrev_b32_e32 v19, 24, v2
	s_delay_alu instid0(VALU_DEP_1) | instskip(NEXT) | instid1(VALU_DEP_3)
	v_and_b32_e32 v19, 0x80000000, v19
	v_lshlrev_b32_e32 v18, 20, v18
	v_lshl_add_u32 v16, v16, 23, 0x3c000000
	s_delay_alu instid0(VALU_DEP_2) | instskip(NEXT) | instid1(VALU_DEP_1)
	v_and_b32_e32 v18, 0x700000, v18
	v_or3_b32 v16, v18, v19, v16
.LBB4_980:                              ;   in Loop: Header=BB4_356 Depth=4
	s_or_b32 exec_lo, exec_lo, s74
.LBB4_981:                              ;   in Loop: Header=BB4_356 Depth=4
	s_delay_alu instid0(SALU_CYCLE_1)
	s_or_b32 exec_lo, exec_lo, s73
.LBB4_982:                              ;   in Loop: Header=BB4_356 Depth=4
	s_delay_alu instid0(SALU_CYCLE_1) | instskip(SKIP_2) | instid1(VALU_DEP_1)
	s_or_b32 exec_lo, exec_lo, s13
	v_and_b32_e32 v18, 0xff, v9
	s_mov_b32 s13, exec_lo
	v_cmpx_ne_u16_e32 0, v18
	s_cbranch_execz .LBB4_988
; %bb.983:                              ;   in Loop: Header=BB4_356 Depth=4
	v_bfrev_b32_e32 v17, 1
	s_mov_b32 s73, exec_lo
	v_cmpx_ne_u16_e32 0x80, v18
	s_cbranch_execz .LBB4_987
; %bb.984:                              ;   in Loop: Header=BB4_356 Depth=4
	v_and_b32_e32 v18, 0x7f, v9
	v_mov_b32_e32 v17, 0x7f800001
	s_mov_b32 s74, exec_lo
	s_delay_alu instid0(VALU_DEP_2)
	v_cmpx_ne_u32_e32 0x7f, v18
	s_cbranch_execz .LBB4_986
; %bb.985:                              ;   in Loop: Header=BB4_356 Depth=4
	v_dual_lshrrev_b32 v24, 3, v18 :: v_dual_bitop2_b32 v17, 7, v9 bitop3:0x40
	v_cmp_gt_u32_e32 vcc_lo, 8, v18
	v_mov_b32_e32 v18, v9
	s_delay_alu instid0(VALU_DEP_3) | instskip(NEXT) | instid1(VALU_DEP_1)
	v_clz_i32_u32_e32 v17, v17
	v_min_u32_e32 v17, 32, v17
	s_delay_alu instid0(VALU_DEP_1) | instskip(SKIP_1) | instid1(VALU_DEP_2)
	v_sub_nc_u32_e32 v25, 29, v17
	v_subrev_nc_u32_e32 v17, 28, v17
	v_dual_mov_b32 v19, v3 :: v_dual_cndmask_b32 v26, v24, v25
	s_delay_alu instid0(VALU_DEP_2) | instskip(NEXT) | instid1(VALU_DEP_1)
	v_cndmask_b32_e32 v17, 0, v17, vcc_lo
	v_lshlrev_b64_e32 v[24:25], v17, v[18:19]
	v_lshlrev_b32_e32 v17, 24, v18
	s_delay_alu instid0(VALU_DEP_4) | instskip(NEXT) | instid1(VALU_DEP_2)
	v_lshl_add_u32 v19, v26, 23, 0x3c000000
	v_and_b32_e32 v17, 0x80000000, v17
	s_delay_alu instid0(VALU_DEP_4) | instskip(NEXT) | instid1(VALU_DEP_1)
	v_lshlrev_b32_e32 v18, 20, v24
	v_and_b32_e32 v18, 0x700000, v18
	s_delay_alu instid0(VALU_DEP_1)
	v_or3_b32 v17, v18, v17, v19
.LBB4_986:                              ;   in Loop: Header=BB4_356 Depth=4
	s_or_b32 exec_lo, exec_lo, s74
.LBB4_987:                              ;   in Loop: Header=BB4_356 Depth=4
	s_delay_alu instid0(SALU_CYCLE_1)
	s_or_b32 exec_lo, exec_lo, s73
.LBB4_988:                              ;   in Loop: Header=BB4_356 Depth=4
	s_delay_alu instid0(SALU_CYCLE_1) | instskip(NEXT) | instid1(VALU_DEP_1)
	s_or_b32 exec_lo, exec_lo, s13
	v_dual_add_f32 v16, v16, v17 :: v_dual_mov_b32 v19, v3
                                        ; implicit-def: $vgpr121
	s_mov_b32 s13, exec_lo
	s_delay_alu instid0(VALU_DEP_1) | instskip(SKIP_1) | instid1(VALU_DEP_2)
	v_and_b32_e32 v18, 0x7f800000, v16
	v_lshrrev_b32_e32 v17, 24, v16
	v_cmpx_ne_u64_e32 0x7f800000, v[18:19]
	s_xor_b32 s73, exec_lo, s13
	s_cbranch_execz .LBB4_1002
; %bb.989:                              ;   in Loop: Header=BB4_356 Depth=4
	v_and_b32_e32 v18, 0x7fffffff, v16
	v_mov_b32_e32 v19, v3
	v_and_b32_e32 v26, 0x80, v17
                                        ; implicit-def: $vgpr121
	s_mov_b32 s13, exec_lo
	s_delay_alu instid0(VALU_DEP_2)
	v_cmpx_gt_u64_e32 0x43e00001, v[18:19]
	s_xor_b32 s74, exec_lo, s13
	s_cbranch_execz .LBB4_999
; %bb.990:                              ;   in Loop: Header=BB4_356 Depth=4
	v_mov_b32_e32 v121, 0
	s_mov_b32 s75, exec_lo
	v_cmpx_ne_u32_e32 0, v16
	s_cbranch_execz .LBB4_998
; %bb.991:                              ;   in Loop: Header=BB4_356 Depth=4
	v_bfe_u32 v27, v16, 23, 8
	v_and_b32_e32 v17, 0x7fffff, v16
	s_delay_alu instid0(VALU_DEP_2) | instskip(SKIP_2) | instid1(VALU_DEP_4)
	v_cmp_gt_u32_e64 s13, 0x7a, v27
	v_sub_nc_u32_e32 v16, 0x79, v27
	v_cmp_eq_u32_e32 vcc_lo, 0, v27
	v_or_b32_e32 v18, 0x800000, v17
	s_delay_alu instid0(VALU_DEP_3) | instskip(NEXT) | instid1(VALU_DEP_1)
	v_cndmask_b32_e64 v16, 0, v16, s13
	v_cndmask_b32_e64 v24, v16, 0x78, vcc_lo
	s_delay_alu instid0(VALU_DEP_3) | instskip(NEXT) | instid1(VALU_DEP_2)
	v_dual_cndmask_b32 v16, v18, v17 :: v_dual_mov_b32 v17, v3
	v_dual_add_nc_u32 v18, 20, v24 :: v_dual_add_nc_u32 v25, 19, v24
	s_delay_alu instid0(VALU_DEP_1) | instskip(NEXT) | instid1(VALU_DEP_2)
	v_lshlrev_b64_e64 v[18:19], v18, -1
	v_lshlrev_b64_e64 v[28:29], v25, 1
	s_delay_alu instid0(VALU_DEP_2) | instskip(SKIP_1) | instid1(VALU_DEP_4)
	v_bfi_b32 v18, v18, 0, v16
	v_lshrrev_b64 v[16:17], v24, v[16:17]
	v_bfi_b32 v19, v19, 0, 0
	s_delay_alu instid0(VALU_DEP_1) | instskip(NEXT) | instid1(VALU_DEP_3)
	v_cmp_eq_u64_e64 s13, v[18:19], v[28:29]
	v_mov_b64_e32 v[18:19], v[16:17]
	s_and_saveexec_b32 s76, s13
; %bb.992:                              ;   in Loop: Header=BB4_356 Depth=4
	v_bfe_u32 v18, v16, 20, 1
	v_mov_b32_e32 v19, v3
	s_delay_alu instid0(VALU_DEP_1) | instskip(NEXT) | instid1(VALU_DEP_1)
	v_add_nc_u64_e32 v[18:19], v[16:17], v[18:19]
	v_add_nc_u64_e32 v[18:19], -1, v[18:19]
; %bb.993:                              ;   in Loop: Header=BB4_356 Depth=4
	s_or_b32 exec_lo, exec_lo, s76
	v_add_nc_u32_e32 v17, 0xffffff81, v27
	v_lshrrev_b32_e32 v19, 23, v16
	s_mov_b32 s13, exec_lo
	s_delay_alu instid0(VALU_DEP_2) | instskip(NEXT) | instid1(VALU_DEP_1)
	v_cndmask_b32_e64 v17, v17, 0xffffff82, vcc_lo
	v_add3_u32 v19, v24, v17, v19
	v_and_b32_e32 v17, 0xfffff, v18
                                        ; implicit-def: $vgpr18
	s_delay_alu instid0(VALU_DEP_1) | instskip(SKIP_1) | instid1(VALU_DEP_2)
	v_dual_add_nc_u32 v24, 6, v19 :: v_dual_add_nc_u32 v16, v17, v16
	v_mov_b32_e32 v17, v3
	v_cmpx_ne_u32_e32 0, v24
	s_xor_b32 s13, exec_lo, s13
; %bb.994:                              ;   in Loop: Header=BB4_356 Depth=4
	s_delay_alu instid0(VALU_DEP_2) | instskip(SKIP_2) | instid1(VALU_DEP_2)
	v_cmp_lt_u64_e32 vcc_lo, 0xffffff, v[16:17]
	v_add_nc_u32_e32 v18, 7, v19
	v_cndmask_b32_e64 v19, 0, 1, vcc_lo
	v_cndmask_b32_e32 v18, v24, v18, vcc_lo
	s_delay_alu instid0(VALU_DEP_2)
	v_lshrrev_b64 v[16:17], v19, v[16:17]
; %bb.995:                              ;   in Loop: Header=BB4_356 Depth=4
	s_and_not1_saveexec_b32 s13, s13
; %bb.996:                              ;   in Loop: Header=BB4_356 Depth=4
	s_delay_alu instid0(VALU_DEP_1)
	v_bfe_u32 v18, v16, 23, 1
; %bb.997:                              ;   in Loop: Header=BB4_356 Depth=4
	s_or_b32 exec_lo, exec_lo, s13
	s_delay_alu instid0(VALU_DEP_2) | instskip(NEXT) | instid1(VALU_DEP_2)
	v_lshrrev_b64 v[16:17], 20, v[16:17]
	v_cmp_gt_i32_e32 vcc_lo, 16, v18
	v_min_i32_e32 v19, 15, v18
	v_cmp_eq_u32_e64 s13, 0, v18
	s_delay_alu instid0(VALU_DEP_2) | instskip(SKIP_1) | instid1(VALU_DEP_2)
	v_dual_cndmask_b32 v17, 0, v17, vcc_lo :: v_dual_lshlrev_b32 v19, 3, v19
	v_cndmask_b32_e32 v16, 7, v16, vcc_lo
	v_and_b32_e32 v19, 0xf8, v19
	s_delay_alu instid0(VALU_DEP_2) | instskip(NEXT) | instid1(VALU_DEP_2)
	v_cmp_eq_u64_e32 vcc_lo, 0, v[16:17]
	v_and_or_b32 v16, v16, 7, v19
	s_and_b32 s13, s13, vcc_lo
	s_delay_alu instid0(VALU_DEP_1) | instid1(SALU_CYCLE_1)
	v_cndmask_b32_e64 v16, v16, 0, s13
	s_delay_alu instid0(VALU_DEP_1)
	v_or_b32_e32 v121, v16, v26
.LBB4_998:                              ;   in Loop: Header=BB4_356 Depth=4
	s_or_b32 exec_lo, exec_lo, s75
                                        ; implicit-def: $vgpr26
.LBB4_999:                              ;   in Loop: Header=BB4_356 Depth=4
	s_and_not1_saveexec_b32 s13, s74
; %bb.1000:                             ;   in Loop: Header=BB4_356 Depth=4
	v_or_b32_e32 v121, 0x7e, v26
; %bb.1001:                             ;   in Loop: Header=BB4_356 Depth=4
	s_or_b32 exec_lo, exec_lo, s13
                                        ; implicit-def: $vgpr17
.LBB4_1002:                             ;   in Loop: Header=BB4_356 Depth=4
	s_and_not1_saveexec_b32 s13, s73
; %bb.1003:                             ;   in Loop: Header=BB4_356 Depth=4
	v_or_b32_e32 v121, 0x7f, v17
; %bb.1004:                             ;   in Loop: Header=BB4_356 Depth=4
	s_or_b32 exec_lo, exec_lo, s13
	v_lshrrev_b16 v17, 8, v2
	v_dual_mov_b32 v18, 0 :: v_dual_mov_b32 v16, 0
	s_mov_b32 s13, exec_lo
	s_delay_alu instid0(VALU_DEP_2)
	v_cmpx_ne_u16_e32 0, v17
	s_cbranch_execz .LBB4_1012
; %bb.1005:                             ;   in Loop: Header=BB4_356 Depth=4
	v_bfrev_b32_e32 v16, 1
	s_mov_b32 s73, exec_lo
	v_cmpx_ne_u16_e32 0x80, v17
	s_cbranch_execz .LBB4_1011
; %bb.1006:                             ;   in Loop: Header=BB4_356 Depth=4
	v_and_b32_e32 v17, 0xffff, v17
	v_mov_b32_e32 v16, 0x7f800001
	s_mov_b32 s74, exec_lo
	s_delay_alu instid0(VALU_DEP_2) | instskip(NEXT) | instid1(VALU_DEP_1)
	v_and_b32_e32 v24, 0x7f, v17
	v_cmpx_ne_u32_e32 0x7f, v24
	s_cbranch_execz .LBB4_1010
; %bb.1007:                             ;   in Loop: Header=BB4_356 Depth=4
	v_dual_mov_b32 v17, v3 :: v_dual_bitop2_b32 v16, 7, v17 bitop3:0x40
	v_lshrrev_b32_e32 v19, 3, v24
	s_mov_b32 s75, exec_lo
	v_cmpx_gt_u32_e32 8, v24
; %bb.1008:                             ;   in Loop: Header=BB4_356 Depth=4
	s_delay_alu instid0(VALU_DEP_3) | instskip(NEXT) | instid1(VALU_DEP_1)
	v_clz_i32_u32_e32 v19, v16
	v_min_u32_e32 v19, 32, v19
	s_delay_alu instid0(VALU_DEP_1) | instskip(NEXT) | instid1(VALU_DEP_1)
	v_subrev_nc_u32_e32 v24, 28, v19
	v_lshlrev_b64_e32 v[16:17], v24, v[16:17]
	s_delay_alu instid0(VALU_DEP_1)
	v_dual_sub_nc_u32 v19, 29, v19 :: v_dual_bitop2_b32 v16, 7, v16 bitop3:0x40
; %bb.1009:                             ;   in Loop: Header=BB4_356 Depth=4
	s_or_b32 exec_lo, exec_lo, s75
	s_delay_alu instid0(VALU_DEP_1) | instskip(NEXT) | instid1(VALU_DEP_2)
	v_dual_lshlrev_b32 v2, 16, v2 :: v_dual_lshlrev_b32 v16, 20, v16
	v_lshl_add_u32 v17, v19, 23, 0x3c000000
	s_delay_alu instid0(VALU_DEP_2) | instskip(NEXT) | instid1(VALU_DEP_1)
	v_and_b32_e32 v2, 0x80000000, v2
	v_or3_b32 v16, v16, v2, v17
.LBB4_1010:                             ;   in Loop: Header=BB4_356 Depth=4
	s_or_b32 exec_lo, exec_lo, s74
.LBB4_1011:                             ;   in Loop: Header=BB4_356 Depth=4
	s_delay_alu instid0(SALU_CYCLE_1)
	s_or_b32 exec_lo, exec_lo, s73
.LBB4_1012:                             ;   in Loop: Header=BB4_356 Depth=4
	s_delay_alu instid0(SALU_CYCLE_1) | instskip(SKIP_2) | instid1(VALU_DEP_1)
	s_or_b32 exec_lo, exec_lo, s13
	v_lshrrev_b16 v2, 8, v9
	s_mov_b32 s13, exec_lo
	v_cmpx_ne_u16_e32 0, v2
	s_cbranch_execz .LBB4_1020
; %bb.1013:                             ;   in Loop: Header=BB4_356 Depth=4
	v_bfrev_b32_e32 v18, 1
	s_mov_b32 s73, exec_lo
	v_cmpx_ne_u16_e32 0x80, v2
	s_cbranch_execz .LBB4_1019
; %bb.1014:                             ;   in Loop: Header=BB4_356 Depth=4
	v_and_b32_e32 v2, 0xffff, v2
	v_mov_b32_e32 v18, 0x7f800001
	s_mov_b32 s74, exec_lo
	s_delay_alu instid0(VALU_DEP_2) | instskip(NEXT) | instid1(VALU_DEP_1)
	v_and_b32_e32 v19, 0x7f, v2
	v_cmpx_ne_u32_e32 0x7f, v19
	s_cbranch_execz .LBB4_1018
; %bb.1015:                             ;   in Loop: Header=BB4_356 Depth=4
	v_dual_lshrrev_b32 v17, 3, v19 :: v_dual_bitop2_b32 v2, 7, v2 bitop3:0x40
	s_mov_b32 s75, exec_lo
	v_cmpx_gt_u32_e32 8, v19
; %bb.1016:                             ;   in Loop: Header=BB4_356 Depth=4
	s_delay_alu instid0(VALU_DEP_2) | instskip(NEXT) | instid1(VALU_DEP_1)
	v_clz_i32_u32_e32 v17, v2
	v_min_u32_e32 v17, 32, v17
	s_delay_alu instid0(VALU_DEP_1) | instskip(NEXT) | instid1(VALU_DEP_1)
	v_subrev_nc_u32_e32 v18, 28, v17
	v_lshlrev_b64_e32 v[18:19], v18, v[2:3]
	s_delay_alu instid0(VALU_DEP_1)
	v_dual_sub_nc_u32 v17, 29, v17 :: v_dual_bitop2_b32 v2, 7, v18 bitop3:0x40
; %bb.1017:                             ;   in Loop: Header=BB4_356 Depth=4
	s_or_b32 exec_lo, exec_lo, s75
	s_delay_alu instid0(VALU_DEP_1) | instskip(NEXT) | instid1(VALU_DEP_2)
	v_dual_lshlrev_b32 v18, 16, v9 :: v_dual_lshlrev_b32 v2, 20, v2
	v_lshl_add_u32 v17, v17, 23, 0x3c000000
	s_delay_alu instid0(VALU_DEP_2) | instskip(NEXT) | instid1(VALU_DEP_1)
	v_and_b32_e32 v18, 0x80000000, v18
	v_or3_b32 v18, v2, v18, v17
.LBB4_1018:                             ;   in Loop: Header=BB4_356 Depth=4
	s_or_b32 exec_lo, exec_lo, s74
.LBB4_1019:                             ;   in Loop: Header=BB4_356 Depth=4
	s_delay_alu instid0(SALU_CYCLE_1)
	s_or_b32 exec_lo, exec_lo, s73
.LBB4_1020:                             ;   in Loop: Header=BB4_356 Depth=4
	s_delay_alu instid0(SALU_CYCLE_1) | instskip(NEXT) | instid1(VALU_DEP_1)
	s_or_b32 exec_lo, exec_lo, s13
	v_add_f32_e32 v16, v16, v18
                                        ; implicit-def: $vgpr122
	s_mov_b32 s13, exec_lo
	s_delay_alu instid0(VALU_DEP_1) | instskip(SKIP_1) | instid1(VALU_DEP_2)
	v_and_b32_e32 v2, 0x7f800000, v16
	v_lshrrev_b32_e32 v17, 24, v16
	v_cmpx_ne_u64_e32 0x7f800000, v[2:3]
	s_xor_b32 s73, exec_lo, s13
	s_cbranch_execz .LBB4_1034
; %bb.1021:                             ;   in Loop: Header=BB4_356 Depth=4
	v_and_b32_e32 v2, 0x7fffffff, v16
	v_and_b32_e32 v26, 0x80, v17
                                        ; implicit-def: $vgpr122
	s_mov_b32 s13, exec_lo
	s_delay_alu instid0(VALU_DEP_2)
	v_cmpx_gt_u64_e32 0x43e00001, v[2:3]
	s_xor_b32 s74, exec_lo, s13
	s_cbranch_execz .LBB4_1031
; %bb.1022:                             ;   in Loop: Header=BB4_356 Depth=4
	v_mov_b32_e32 v122, 0
	s_mov_b32 s75, exec_lo
	v_cmpx_ne_u32_e32 0, v16
	s_cbranch_execz .LBB4_1030
; %bb.1023:                             ;   in Loop: Header=BB4_356 Depth=4
	v_bfe_u32 v24, v16, 23, 8
	s_delay_alu instid0(VALU_DEP_1) | instskip(SKIP_1) | instid1(VALU_DEP_2)
	v_sub_nc_u32_e32 v2, 0x79, v24
	v_cmp_gt_u32_e32 vcc_lo, 0x7a, v24
	v_cndmask_b32_e32 v2, 0, v2, vcc_lo
	v_cmp_eq_u32_e32 vcc_lo, 0, v24
	s_delay_alu instid0(VALU_DEP_2) | instskip(SKIP_1) | instid1(VALU_DEP_2)
	v_cndmask_b32_e64 v25, v2, 0x78, vcc_lo
	v_and_b32_e32 v2, 0x7fffff, v16
	v_add_nc_u32_e32 v16, 20, v25
	s_delay_alu instid0(VALU_DEP_2) | instskip(SKIP_1) | instid1(VALU_DEP_3)
	v_or_b32_e32 v18, 0x800000, v2
	v_add_nc_u32_e32 v19, 19, v25
	v_lshlrev_b64_e64 v[16:17], v16, -1
	s_delay_alu instid0(VALU_DEP_3) | instskip(NEXT) | instid1(VALU_DEP_3)
	v_cndmask_b32_e32 v2, v18, v2, vcc_lo
	v_lshlrev_b64_e64 v[18:19], v19, 1
	s_delay_alu instid0(VALU_DEP_3) | instskip(NEXT) | instid1(VALU_DEP_3)
	v_bfi_b32 v29, v17, 0, 0
	v_bfi_b32 v28, v16, 0, v2
	v_lshrrev_b64 v[16:17], v25, v[2:3]
	s_delay_alu instid0(VALU_DEP_2) | instskip(NEXT) | instid1(VALU_DEP_2)
	v_cmp_eq_u64_e64 s13, v[28:29], v[18:19]
	v_mov_b64_e32 v[18:19], v[16:17]
	s_and_saveexec_b32 s76, s13
; %bb.1024:                             ;   in Loop: Header=BB4_356 Depth=4
	v_bfe_u32 v2, v16, 20, 1
	s_delay_alu instid0(VALU_DEP_1) | instskip(NEXT) | instid1(VALU_DEP_1)
	v_add_nc_u64_e32 v[18:19], v[16:17], v[2:3]
	v_add_nc_u64_e32 v[18:19], -1, v[18:19]
; %bb.1025:                             ;   in Loop: Header=BB4_356 Depth=4
	s_or_b32 exec_lo, exec_lo, s76
	v_add_nc_u32_e32 v2, 0xffffff81, v24
	v_lshrrev_b32_e32 v17, 23, v16
	s_mov_b32 s13, exec_lo
	s_delay_alu instid0(VALU_DEP_2) | instskip(NEXT) | instid1(VALU_DEP_1)
	v_cndmask_b32_e64 v2, v2, 0xffffff82, vcc_lo
	v_add3_u32 v19, v25, v2, v17
	v_and_b32_e32 v2, 0xfffff, v18
                                        ; implicit-def: $vgpr18
	s_delay_alu instid0(VALU_DEP_1) | instskip(NEXT) | instid1(VALU_DEP_1)
	v_dual_add_nc_u32 v24, 6, v19 :: v_dual_add_nc_u32 v2, v2, v16
                                        ; implicit-def: $vgpr16_vgpr17
	v_cmpx_ne_u32_e32 0, v24
	s_xor_b32 s13, exec_lo, s13
; %bb.1026:                             ;   in Loop: Header=BB4_356 Depth=4
	s_delay_alu instid0(VALU_DEP_2) | instskip(SKIP_1) | instid1(VALU_DEP_1)
	v_cmp_lt_u64_e32 vcc_lo, 0xffffff, v[2:3]
	v_add_nc_u32_e32 v16, 7, v19
	v_cndmask_b32_e32 v18, v24, v16, vcc_lo
	v_cndmask_b32_e64 v16, 0, 1, vcc_lo
	s_delay_alu instid0(VALU_DEP_1)
	v_lshrrev_b64 v[16:17], v16, v[2:3]
; %bb.1027:                             ;   in Loop: Header=BB4_356 Depth=4
	s_and_not1_saveexec_b32 s13, s13
; %bb.1028:                             ;   in Loop: Header=BB4_356 Depth=4
	v_mov_b64_e32 v[16:17], v[2:3]
	v_bfe_u32 v18, v2, 23, 1
; %bb.1029:                             ;   in Loop: Header=BB4_356 Depth=4
	s_or_b32 exec_lo, exec_lo, s13
	s_delay_alu instid0(VALU_DEP_2) | instskip(NEXT) | instid1(VALU_DEP_2)
	v_lshrrev_b64 v[16:17], 20, v[16:17]
	v_cmp_gt_i32_e32 vcc_lo, 16, v18
	v_min_i32_e32 v2, 15, v18
	v_cmp_eq_u32_e64 s13, 0, v18
	s_delay_alu instid0(VALU_DEP_2) | instskip(SKIP_1) | instid1(VALU_DEP_2)
	v_dual_cndmask_b32 v17, 0, v17 :: v_dual_lshlrev_b32 v2, 3, v2
	v_cndmask_b32_e32 v16, 7, v16, vcc_lo
	v_and_b32_e32 v2, 0xf8, v2
	s_delay_alu instid0(VALU_DEP_2) | instskip(NEXT) | instid1(VALU_DEP_2)
	v_cmp_eq_u64_e32 vcc_lo, 0, v[16:17]
	v_and_or_b32 v2, v16, 7, v2
	s_and_b32 s13, s13, vcc_lo
	s_delay_alu instid0(VALU_DEP_1) | instid1(SALU_CYCLE_1)
	v_cndmask_b32_e64 v2, v2, 0, s13
	s_delay_alu instid0(VALU_DEP_1)
	v_or_b32_e32 v122, v2, v26
.LBB4_1030:                             ;   in Loop: Header=BB4_356 Depth=4
	s_or_b32 exec_lo, exec_lo, s75
                                        ; implicit-def: $vgpr26
.LBB4_1031:                             ;   in Loop: Header=BB4_356 Depth=4
	s_and_not1_saveexec_b32 s13, s74
; %bb.1032:                             ;   in Loop: Header=BB4_356 Depth=4
	v_or_b32_e32 v122, 0x7e, v26
; %bb.1033:                             ;   in Loop: Header=BB4_356 Depth=4
	s_or_b32 exec_lo, exec_lo, s13
                                        ; implicit-def: $vgpr17
.LBB4_1034:                             ;   in Loop: Header=BB4_356 Depth=4
	s_and_not1_saveexec_b32 s13, s73
; %bb.1035:                             ;   in Loop: Header=BB4_356 Depth=4
	v_or_b32_e32 v122, 0x7f, v17
; %bb.1036:                             ;   in Loop: Header=BB4_356 Depth=4
	s_or_b32 exec_lo, exec_lo, s13
	v_dual_lshrrev_b32 v18, 16, v13 :: v_dual_mov_b32 v16, 0
	v_mov_b32_e32 v17, 0
	s_mov_b32 s13, exec_lo
	s_delay_alu instid0(VALU_DEP_2) | instskip(NEXT) | instid1(VALU_DEP_1)
	v_and_b32_e32 v2, 0xff, v18
	v_cmpx_ne_u16_e32 0, v2
	s_cbranch_execz .LBB4_1044
; %bb.1037:                             ;   in Loop: Header=BB4_356 Depth=4
	v_bfrev_b32_e32 v17, 1
	s_mov_b32 s73, exec_lo
	v_cmpx_ne_u16_e32 0x80, v2
	s_cbranch_execz .LBB4_1043
; %bb.1038:                             ;   in Loop: Header=BB4_356 Depth=4
	v_bfe_u32 v19, v13, 16, 7
	v_mov_b32_e32 v17, 0x7f800001
	s_mov_b32 s74, exec_lo
	s_delay_alu instid0(VALU_DEP_2)
	v_cmpx_ne_u32_e32 0x7f, v19
	s_cbranch_execz .LBB4_1042
; %bb.1039:                             ;   in Loop: Header=BB4_356 Depth=4
	v_dual_lshrrev_b32 v17, 3, v19 :: v_dual_bitop2_b32 v2, 7, v18 bitop3:0x40
	s_mov_b32 s75, exec_lo
	v_cmpx_gt_u32_e32 8, v19
; %bb.1040:                             ;   in Loop: Header=BB4_356 Depth=4
	s_delay_alu instid0(VALU_DEP_2) | instskip(NEXT) | instid1(VALU_DEP_1)
	v_clz_i32_u32_e32 v17, v2
	v_min_u32_e32 v17, 32, v17
	s_delay_alu instid0(VALU_DEP_1) | instskip(NEXT) | instid1(VALU_DEP_1)
	v_subrev_nc_u32_e32 v19, 28, v17
	v_lshlrev_b64_e32 v[24:25], v19, v[2:3]
	s_delay_alu instid0(VALU_DEP_1)
	v_dual_sub_nc_u32 v17, 29, v17 :: v_dual_bitop2_b32 v2, 7, v24 bitop3:0x40
; %bb.1041:                             ;   in Loop: Header=BB4_356 Depth=4
	s_or_b32 exec_lo, exec_lo, s75
	v_lshlrev_b32_e32 v18, 24, v18
	s_delay_alu instid0(VALU_DEP_2) | instskip(NEXT) | instid1(VALU_DEP_3)
	v_lshlrev_b32_e32 v2, 20, v2
	v_lshl_add_u32 v17, v17, 23, 0x3c000000
	s_delay_alu instid0(VALU_DEP_3) | instskip(NEXT) | instid1(VALU_DEP_1)
	v_and_b32_e32 v18, 0x80000000, v18
	v_or3_b32 v17, v2, v18, v17
.LBB4_1042:                             ;   in Loop: Header=BB4_356 Depth=4
	s_or_b32 exec_lo, exec_lo, s74
.LBB4_1043:                             ;   in Loop: Header=BB4_356 Depth=4
	s_delay_alu instid0(SALU_CYCLE_1)
	s_or_b32 exec_lo, exec_lo, s73
.LBB4_1044:                             ;   in Loop: Header=BB4_356 Depth=4
	s_delay_alu instid0(SALU_CYCLE_1) | instskip(SKIP_2) | instid1(VALU_DEP_1)
	s_or_b32 exec_lo, exec_lo, s13
	v_lshrrev_b32_e32 v2, 16, v9
	s_mov_b32 s13, exec_lo
	v_and_b32_e32 v18, 0xff, v2
	s_delay_alu instid0(VALU_DEP_1)
	v_cmpx_ne_u16_e32 0, v18
	s_cbranch_execz .LBB4_1052
; %bb.1045:                             ;   in Loop: Header=BB4_356 Depth=4
	v_bfrev_b32_e32 v16, 1
	s_mov_b32 s73, exec_lo
	v_cmpx_ne_u16_e32 0x80, v18
	s_cbranch_execz .LBB4_1051
; %bb.1046:                             ;   in Loop: Header=BB4_356 Depth=4
	v_bfe_u32 v18, v9, 16, 7
	v_mov_b32_e32 v16, 0x7f800001
	s_mov_b32 s74, exec_lo
	s_delay_alu instid0(VALU_DEP_2)
	v_cmpx_ne_u32_e32 0x7f, v18
	s_cbranch_execz .LBB4_1050
; %bb.1047:                             ;   in Loop: Header=BB4_356 Depth=4
	v_and_b32_e32 v2, 7, v2
	v_lshrrev_b32_e32 v16, 3, v18
	s_mov_b32 s75, exec_lo
	v_cmpx_gt_u32_e32 8, v18
; %bb.1048:                             ;   in Loop: Header=BB4_356 Depth=4
	s_delay_alu instid0(VALU_DEP_3) | instskip(NEXT) | instid1(VALU_DEP_1)
	v_clz_i32_u32_e32 v16, v2
	v_min_u32_e32 v16, 32, v16
	s_delay_alu instid0(VALU_DEP_1) | instskip(NEXT) | instid1(VALU_DEP_1)
	v_subrev_nc_u32_e32 v18, 28, v16
	v_lshlrev_b64_e32 v[18:19], v18, v[2:3]
	s_delay_alu instid0(VALU_DEP_1)
	v_dual_sub_nc_u32 v16, 29, v16 :: v_dual_bitop2_b32 v2, 7, v18 bitop3:0x40
; %bb.1049:                             ;   in Loop: Header=BB4_356 Depth=4
	s_or_b32 exec_lo, exec_lo, s75
	s_delay_alu instid0(VALU_DEP_1) | instskip(NEXT) | instid1(VALU_DEP_2)
	v_dual_lshlrev_b32 v18, 8, v9 :: v_dual_lshlrev_b32 v2, 20, v2
	v_lshl_add_u32 v16, v16, 23, 0x3c000000
	s_delay_alu instid0(VALU_DEP_2) | instskip(NEXT) | instid1(VALU_DEP_1)
	v_and_b32_e32 v18, 0x80000000, v18
	v_or3_b32 v16, v2, v18, v16
.LBB4_1050:                             ;   in Loop: Header=BB4_356 Depth=4
	s_or_b32 exec_lo, exec_lo, s74
.LBB4_1051:                             ;   in Loop: Header=BB4_356 Depth=4
	s_delay_alu instid0(SALU_CYCLE_1)
	s_or_b32 exec_lo, exec_lo, s73
.LBB4_1052:                             ;   in Loop: Header=BB4_356 Depth=4
	s_delay_alu instid0(SALU_CYCLE_1) | instskip(NEXT) | instid1(VALU_DEP_1)
	s_or_b32 exec_lo, exec_lo, s13
	v_add_f32_e32 v17, v17, v16
                                        ; implicit-def: $vgpr16
	s_mov_b32 s13, exec_lo
	s_delay_alu instid0(VALU_DEP_1) | instskip(SKIP_1) | instid1(VALU_DEP_2)
	v_and_b32_e32 v2, 0x7f800000, v17
	v_lshrrev_b32_e32 v18, 24, v17
	v_cmpx_ne_u64_e32 0x7f800000, v[2:3]
	s_xor_b32 s73, exec_lo, s13
	s_cbranch_execz .LBB4_1066
; %bb.1053:                             ;   in Loop: Header=BB4_356 Depth=4
	v_and_b32_e32 v2, 0x7fffffff, v17
	v_and_b32_e32 v26, 0x80, v18
                                        ; implicit-def: $vgpr16
	s_mov_b32 s13, exec_lo
	s_delay_alu instid0(VALU_DEP_2)
	v_cmpx_gt_u64_e32 0x43e00001, v[2:3]
	s_xor_b32 s74, exec_lo, s13
	s_cbranch_execz .LBB4_1063
; %bb.1054:                             ;   in Loop: Header=BB4_356 Depth=4
	v_mov_b32_e32 v16, 0
	s_mov_b32 s75, exec_lo
	v_cmpx_ne_u32_e32 0, v17
	s_cbranch_execz .LBB4_1062
; %bb.1055:                             ;   in Loop: Header=BB4_356 Depth=4
	v_bfe_u32 v24, v17, 23, 8
	v_and_b32_e32 v2, 0x7fffff, v17
	s_delay_alu instid0(VALU_DEP_2) | instskip(SKIP_2) | instid1(VALU_DEP_4)
	v_cmp_gt_u32_e64 s13, 0x7a, v24
	v_sub_nc_u32_e32 v16, 0x79, v24
	v_cmp_eq_u32_e32 vcc_lo, 0, v24
	v_or_b32_e32 v17, 0x800000, v2
	s_delay_alu instid0(VALU_DEP_1) | instskip(NEXT) | instid1(VALU_DEP_1)
	v_dual_cndmask_b32 v16, 0, v16, s13 :: v_dual_cndmask_b32 v2, v17, v2, vcc_lo
	v_cndmask_b32_e64 v25, v16, 0x78, vcc_lo
	s_delay_alu instid0(VALU_DEP_1) | instskip(NEXT) | instid1(VALU_DEP_1)
	v_dual_add_nc_u32 v16, 20, v25 :: v_dual_add_nc_u32 v18, 19, v25
	v_lshlrev_b64_e64 v[16:17], v16, -1
	s_delay_alu instid0(VALU_DEP_2) | instskip(NEXT) | instid1(VALU_DEP_2)
	v_lshlrev_b64_e64 v[18:19], v18, 1
	v_bfi_b32 v17, v17, 0, 0
	s_delay_alu instid0(VALU_DEP_3) | instskip(NEXT) | instid1(VALU_DEP_1)
	v_bfi_b32 v16, v16, 0, v2
	v_cmp_eq_u64_e64 s13, v[16:17], v[18:19]
	v_lshrrev_b64 v[16:17], v25, v[2:3]
	s_delay_alu instid0(VALU_DEP_1)
	v_mov_b64_e32 v[18:19], v[16:17]
	s_and_saveexec_b32 s76, s13
; %bb.1056:                             ;   in Loop: Header=BB4_356 Depth=4
	v_bfe_u32 v2, v16, 20, 1
	s_delay_alu instid0(VALU_DEP_1) | instskip(NEXT) | instid1(VALU_DEP_1)
	v_add_nc_u64_e32 v[18:19], v[16:17], v[2:3]
	v_add_nc_u64_e32 v[18:19], -1, v[18:19]
; %bb.1057:                             ;   in Loop: Header=BB4_356 Depth=4
	s_or_b32 exec_lo, exec_lo, s76
	v_add_nc_u32_e32 v2, 0xffffff81, v24
	v_lshrrev_b32_e32 v17, 23, v16
	s_mov_b32 s13, exec_lo
	s_delay_alu instid0(VALU_DEP_2) | instskip(NEXT) | instid1(VALU_DEP_1)
	v_cndmask_b32_e64 v2, v2, 0xffffff82, vcc_lo
	v_add3_u32 v19, v25, v2, v17
	v_and_b32_e32 v2, 0xfffff, v18
                                        ; implicit-def: $vgpr18
	s_delay_alu instid0(VALU_DEP_1) | instskip(NEXT) | instid1(VALU_DEP_1)
	v_dual_add_nc_u32 v24, 6, v19 :: v_dual_add_nc_u32 v2, v2, v16
                                        ; implicit-def: $vgpr16_vgpr17
	v_cmpx_ne_u32_e32 0, v24
	s_xor_b32 s13, exec_lo, s13
; %bb.1058:                             ;   in Loop: Header=BB4_356 Depth=4
	s_delay_alu instid0(VALU_DEP_2) | instskip(SKIP_1) | instid1(VALU_DEP_1)
	v_cmp_lt_u64_e32 vcc_lo, 0xffffff, v[2:3]
	v_add_nc_u32_e32 v16, 7, v19
	v_cndmask_b32_e32 v18, v24, v16, vcc_lo
	v_cndmask_b32_e64 v16, 0, 1, vcc_lo
	s_delay_alu instid0(VALU_DEP_1)
	v_lshrrev_b64 v[16:17], v16, v[2:3]
; %bb.1059:                             ;   in Loop: Header=BB4_356 Depth=4
	s_and_not1_saveexec_b32 s13, s13
; %bb.1060:                             ;   in Loop: Header=BB4_356 Depth=4
	v_mov_b64_e32 v[16:17], v[2:3]
	v_bfe_u32 v18, v2, 23, 1
; %bb.1061:                             ;   in Loop: Header=BB4_356 Depth=4
	s_or_b32 exec_lo, exec_lo, s13
	s_delay_alu instid0(VALU_DEP_2) | instskip(NEXT) | instid1(VALU_DEP_2)
	v_lshrrev_b64 v[16:17], 20, v[16:17]
	v_cmp_gt_i32_e32 vcc_lo, 16, v18
	v_min_i32_e32 v2, 15, v18
	v_cmp_eq_u32_e64 s13, 0, v18
	s_delay_alu instid0(VALU_DEP_2) | instskip(SKIP_1) | instid1(VALU_DEP_2)
	v_dual_cndmask_b32 v17, 0, v17 :: v_dual_lshlrev_b32 v2, 3, v2
	v_cndmask_b32_e32 v16, 7, v16, vcc_lo
	v_and_b32_e32 v2, 0xf8, v2
	s_delay_alu instid0(VALU_DEP_2) | instskip(NEXT) | instid1(VALU_DEP_2)
	v_cmp_eq_u64_e32 vcc_lo, 0, v[16:17]
	v_and_or_b32 v2, v16, 7, v2
	s_and_b32 s13, s13, vcc_lo
	s_delay_alu instid0(VALU_DEP_1) | instid1(SALU_CYCLE_1)
	v_cndmask_b32_e64 v2, v2, 0, s13
	s_delay_alu instid0(VALU_DEP_1)
	v_or_b32_e32 v16, v2, v26
.LBB4_1062:                             ;   in Loop: Header=BB4_356 Depth=4
	s_or_b32 exec_lo, exec_lo, s75
                                        ; implicit-def: $vgpr26
.LBB4_1063:                             ;   in Loop: Header=BB4_356 Depth=4
	s_and_not1_saveexec_b32 s13, s74
; %bb.1064:                             ;   in Loop: Header=BB4_356 Depth=4
	v_or_b32_e32 v16, 0x7e, v26
; %bb.1065:                             ;   in Loop: Header=BB4_356 Depth=4
	s_or_b32 exec_lo, exec_lo, s13
                                        ; implicit-def: $vgpr18
.LBB4_1066:                             ;   in Loop: Header=BB4_356 Depth=4
	s_and_not1_saveexec_b32 s13, s73
; %bb.1067:                             ;   in Loop: Header=BB4_356 Depth=4
	v_or_b32_e32 v16, 0x7f, v18
; %bb.1068:                             ;   in Loop: Header=BB4_356 Depth=4
	s_or_b32 exec_lo, exec_lo, s13
	v_cmp_lt_u64_e32 vcc_lo, s[22:23], v[12:13]
	v_dual_mov_b32 v12, 0 :: v_dual_mov_b32 v17, 0
	s_and_saveexec_b32 s13, vcc_lo
	s_cbranch_execz .LBB4_1076
; %bb.1069:                             ;   in Loop: Header=BB4_356 Depth=4
	v_lshrrev_b32_e32 v18, 24, v13
	v_bfrev_b32_e32 v17, 1
	s_mov_b32 s73, exec_lo
	s_delay_alu instid0(VALU_DEP_2)
	v_cmpx_ne_u32_e32 0x80, v18
	s_cbranch_execz .LBB4_1075
; %bb.1070:                             ;   in Loop: Header=BB4_356 Depth=4
	v_bfe_u32 v19, v13, 24, 7
	v_mov_b32_e32 v17, 0x7f800001
	s_mov_b32 s74, exec_lo
	s_delay_alu instid0(VALU_DEP_2)
	v_cmpx_ne_u32_e32 0x7f, v19
	s_cbranch_execz .LBB4_1074
; %bb.1071:                             ;   in Loop: Header=BB4_356 Depth=4
	v_dual_lshrrev_b32 v13, 3, v19 :: v_dual_bitop2_b32 v2, 7, v18 bitop3:0x40
	s_mov_b32 s75, exec_lo
	v_cmpx_gt_u32_e32 8, v19
; %bb.1072:                             ;   in Loop: Header=BB4_356 Depth=4
	s_delay_alu instid0(VALU_DEP_2) | instskip(NEXT) | instid1(VALU_DEP_1)
	v_clz_i32_u32_e32 v13, v2
	v_min_u32_e32 v13, 32, v13
	s_delay_alu instid0(VALU_DEP_1) | instskip(NEXT) | instid1(VALU_DEP_1)
	v_subrev_nc_u32_e32 v17, 28, v13
	v_lshlrev_b64_e32 v[24:25], v17, v[2:3]
	s_delay_alu instid0(VALU_DEP_1)
	v_dual_sub_nc_u32 v13, 29, v13 :: v_dual_bitop2_b32 v2, 7, v24 bitop3:0x40
; %bb.1073:                             ;   in Loop: Header=BB4_356 Depth=4
	s_or_b32 exec_lo, exec_lo, s75
	v_lshlrev_b32_e32 v17, 24, v18
	s_delay_alu instid0(VALU_DEP_2) | instskip(NEXT) | instid1(VALU_DEP_3)
	v_lshlrev_b32_e32 v2, 20, v2
	v_lshl_add_u32 v13, v13, 23, 0x3c000000
	s_delay_alu instid0(VALU_DEP_3) | instskip(NEXT) | instid1(VALU_DEP_1)
	v_and_b32_e32 v17, 0x80000000, v17
	v_or3_b32 v17, v2, v17, v13
.LBB4_1074:                             ;   in Loop: Header=BB4_356 Depth=4
	s_or_b32 exec_lo, exec_lo, s74
.LBB4_1075:                             ;   in Loop: Header=BB4_356 Depth=4
	s_delay_alu instid0(SALU_CYCLE_1)
	s_or_b32 exec_lo, exec_lo, s73
.LBB4_1076:                             ;   in Loop: Header=BB4_356 Depth=4
	s_delay_alu instid0(SALU_CYCLE_1) | instskip(NEXT) | instid1(SALU_CYCLE_1)
	s_or_b32 exec_lo, exec_lo, s13
	s_mov_b32 s13, exec_lo
	v_cmpx_lt_u64_e64 s[22:23], v[8:9]
	s_cbranch_execz .LBB4_1084
; %bb.1077:                             ;   in Loop: Header=BB4_356 Depth=4
	v_lshrrev_b32_e32 v8, 24, v9
	v_bfrev_b32_e32 v12, 1
	s_mov_b32 s73, exec_lo
	s_delay_alu instid0(VALU_DEP_2)
	v_cmpx_ne_u32_e32 0x80, v8
	s_cbranch_execz .LBB4_1083
; %bb.1078:                             ;   in Loop: Header=BB4_356 Depth=4
	v_bfe_u32 v13, v9, 24, 7
	v_mov_b32_e32 v12, 0x7f800001
	s_mov_b32 s74, exec_lo
	s_delay_alu instid0(VALU_DEP_2)
	v_cmpx_ne_u32_e32 0x7f, v13
	s_cbranch_execz .LBB4_1082
; %bb.1079:                             ;   in Loop: Header=BB4_356 Depth=4
	v_dual_lshrrev_b32 v9, 3, v13 :: v_dual_bitop2_b32 v2, 7, v8 bitop3:0x40
	s_mov_b32 s75, exec_lo
	v_cmpx_gt_u32_e32 8, v13
; %bb.1080:                             ;   in Loop: Header=BB4_356 Depth=4
	s_delay_alu instid0(VALU_DEP_2) | instskip(NEXT) | instid1(VALU_DEP_1)
	v_clz_i32_u32_e32 v9, v2
	v_min_u32_e32 v9, 32, v9
	s_delay_alu instid0(VALU_DEP_1) | instskip(NEXT) | instid1(VALU_DEP_1)
	v_subrev_nc_u32_e32 v12, 28, v9
	v_lshlrev_b64_e32 v[12:13], v12, v[2:3]
	s_delay_alu instid0(VALU_DEP_1)
	v_dual_sub_nc_u32 v9, 29, v9 :: v_dual_bitop2_b32 v2, 7, v12 bitop3:0x40
; %bb.1081:                             ;   in Loop: Header=BB4_356 Depth=4
	s_or_b32 exec_lo, exec_lo, s75
	s_delay_alu instid0(VALU_DEP_1) | instskip(NEXT) | instid1(VALU_DEP_2)
	v_dual_lshlrev_b32 v8, 24, v8 :: v_dual_lshlrev_b32 v2, 20, v2
	v_lshl_add_u32 v9, v9, 23, 0x3c000000
	s_delay_alu instid0(VALU_DEP_2) | instskip(NEXT) | instid1(VALU_DEP_1)
	v_and_b32_e32 v8, 0x80000000, v8
	v_or3_b32 v12, v2, v8, v9
.LBB4_1082:                             ;   in Loop: Header=BB4_356 Depth=4
	s_or_b32 exec_lo, exec_lo, s74
.LBB4_1083:                             ;   in Loop: Header=BB4_356 Depth=4
	s_delay_alu instid0(SALU_CYCLE_1)
	s_or_b32 exec_lo, exec_lo, s73
.LBB4_1084:                             ;   in Loop: Header=BB4_356 Depth=4
	s_delay_alu instid0(SALU_CYCLE_1) | instskip(NEXT) | instid1(VALU_DEP_1)
	s_or_b32 exec_lo, exec_lo, s13
	v_add_f32_e32 v8, v17, v12
                                        ; implicit-def: $vgpr17
	s_mov_b32 s13, exec_lo
	s_delay_alu instid0(VALU_DEP_1) | instskip(SKIP_1) | instid1(VALU_DEP_2)
	v_and_b32_e32 v2, 0x7f800000, v8
	v_lshrrev_b32_e32 v9, 24, v8
	v_cmpx_ne_u64_e32 0x7f800000, v[2:3]
	s_xor_b32 s73, exec_lo, s13
	s_cbranch_execz .LBB4_1098
; %bb.1085:                             ;   in Loop: Header=BB4_356 Depth=4
	v_and_b32_e32 v2, 0x7fffffff, v8
	v_and_b32_e32 v18, 0x80, v9
                                        ; implicit-def: $vgpr17
	s_mov_b32 s13, exec_lo
	s_delay_alu instid0(VALU_DEP_2)
	v_cmpx_gt_u64_e32 0x43e00001, v[2:3]
	s_xor_b32 s74, exec_lo, s13
	s_cbranch_execz .LBB4_1095
; %bb.1086:                             ;   in Loop: Header=BB4_356 Depth=4
	v_mov_b32_e32 v17, 0
	s_mov_b32 s75, exec_lo
	v_cmpx_ne_u32_e32 0, v8
	s_cbranch_execz .LBB4_1094
; %bb.1087:                             ;   in Loop: Header=BB4_356 Depth=4
	v_bfe_u32 v17, v8, 23, 8
	s_delay_alu instid0(VALU_DEP_1) | instskip(SKIP_1) | instid1(VALU_DEP_2)
	v_sub_nc_u32_e32 v2, 0x79, v17
	v_cmp_gt_u32_e32 vcc_lo, 0x7a, v17
	v_cndmask_b32_e32 v2, 0, v2, vcc_lo
	v_cmp_eq_u32_e32 vcc_lo, 0, v17
	s_delay_alu instid0(VALU_DEP_2) | instskip(SKIP_1) | instid1(VALU_DEP_2)
	v_cndmask_b32_e64 v19, v2, 0x78, vcc_lo
	v_and_b32_e32 v2, 0x7fffff, v8
	v_add_nc_u32_e32 v8, 20, v19
	s_delay_alu instid0(VALU_DEP_2) | instskip(SKIP_1) | instid1(VALU_DEP_3)
	v_or_b32_e32 v12, 0x800000, v2
	v_add_nc_u32_e32 v13, 19, v19
	v_lshlrev_b64_e64 v[8:9], v8, -1
	s_delay_alu instid0(VALU_DEP_3) | instskip(NEXT) | instid1(VALU_DEP_3)
	v_cndmask_b32_e32 v2, v12, v2, vcc_lo
	v_lshlrev_b64_e64 v[12:13], v13, 1
	s_delay_alu instid0(VALU_DEP_3) | instskip(NEXT) | instid1(VALU_DEP_3)
	v_bfi_b32 v25, v9, 0, 0
	v_bfi_b32 v24, v8, 0, v2
	v_lshrrev_b64 v[8:9], v19, v[2:3]
	s_delay_alu instid0(VALU_DEP_2) | instskip(NEXT) | instid1(VALU_DEP_2)
	v_cmp_eq_u64_e64 s13, v[24:25], v[12:13]
	v_mov_b64_e32 v[12:13], v[8:9]
	s_and_saveexec_b32 s76, s13
; %bb.1088:                             ;   in Loop: Header=BB4_356 Depth=4
	v_bfe_u32 v2, v8, 20, 1
	s_delay_alu instid0(VALU_DEP_1) | instskip(NEXT) | instid1(VALU_DEP_1)
	v_add_nc_u64_e32 v[12:13], v[8:9], v[2:3]
	v_add_nc_u64_e32 v[12:13], -1, v[12:13]
; %bb.1089:                             ;   in Loop: Header=BB4_356 Depth=4
	s_or_b32 exec_lo, exec_lo, s76
	v_add_nc_u32_e32 v2, 0xffffff81, v17
	v_lshrrev_b32_e32 v9, 23, v8
	s_mov_b32 s13, exec_lo
	s_delay_alu instid0(VALU_DEP_2) | instskip(NEXT) | instid1(VALU_DEP_1)
	v_cndmask_b32_e64 v2, v2, 0xffffff82, vcc_lo
	v_add3_u32 v13, v19, v2, v9
	v_and_b32_e32 v2, 0xfffff, v12
                                        ; implicit-def: $vgpr12
	s_delay_alu instid0(VALU_DEP_1) | instskip(NEXT) | instid1(VALU_DEP_1)
	v_dual_add_nc_u32 v17, 6, v13 :: v_dual_add_nc_u32 v2, v2, v8
                                        ; implicit-def: $vgpr8_vgpr9
	v_cmpx_ne_u32_e32 0, v17
	s_xor_b32 s13, exec_lo, s13
; %bb.1090:                             ;   in Loop: Header=BB4_356 Depth=4
	s_delay_alu instid0(VALU_DEP_2) | instskip(SKIP_1) | instid1(VALU_DEP_1)
	v_cmp_lt_u64_e32 vcc_lo, 0xffffff, v[2:3]
	v_add_nc_u32_e32 v8, 7, v13
	v_cndmask_b32_e32 v12, v17, v8, vcc_lo
	v_cndmask_b32_e64 v8, 0, 1, vcc_lo
	s_delay_alu instid0(VALU_DEP_1)
	v_lshrrev_b64 v[8:9], v8, v[2:3]
; %bb.1091:                             ;   in Loop: Header=BB4_356 Depth=4
	s_and_not1_saveexec_b32 s13, s13
; %bb.1092:                             ;   in Loop: Header=BB4_356 Depth=4
	v_mov_b64_e32 v[8:9], v[2:3]
	v_bfe_u32 v12, v2, 23, 1
; %bb.1093:                             ;   in Loop: Header=BB4_356 Depth=4
	s_or_b32 exec_lo, exec_lo, s13
	s_delay_alu instid0(VALU_DEP_2) | instskip(NEXT) | instid1(VALU_DEP_2)
	v_lshrrev_b64 v[8:9], 20, v[8:9]
	v_cmp_gt_i32_e32 vcc_lo, 16, v12
	v_min_i32_e32 v2, 15, v12
	v_cmp_eq_u32_e64 s13, 0, v12
	s_delay_alu instid0(VALU_DEP_2) | instskip(SKIP_1) | instid1(VALU_DEP_2)
	v_dual_cndmask_b32 v9, 0, v9 :: v_dual_lshlrev_b32 v2, 3, v2
	v_cndmask_b32_e32 v8, 7, v8, vcc_lo
	v_and_b32_e32 v2, 0xf8, v2
	s_delay_alu instid0(VALU_DEP_2) | instskip(NEXT) | instid1(VALU_DEP_2)
	v_cmp_eq_u64_e32 vcc_lo, 0, v[8:9]
	v_and_or_b32 v2, v8, 7, v2
	s_and_b32 s13, s13, vcc_lo
	s_delay_alu instid0(VALU_DEP_1) | instid1(SALU_CYCLE_1)
	v_cndmask_b32_e64 v2, v2, 0, s13
	s_delay_alu instid0(VALU_DEP_1)
	v_or_b32_e32 v17, v2, v18
.LBB4_1094:                             ;   in Loop: Header=BB4_356 Depth=4
	s_or_b32 exec_lo, exec_lo, s75
                                        ; implicit-def: $vgpr18
.LBB4_1095:                             ;   in Loop: Header=BB4_356 Depth=4
	s_and_not1_saveexec_b32 s13, s74
; %bb.1096:                             ;   in Loop: Header=BB4_356 Depth=4
	v_or_b32_e32 v17, 0x7e, v18
; %bb.1097:                             ;   in Loop: Header=BB4_356 Depth=4
	s_or_b32 exec_lo, exec_lo, s13
                                        ; implicit-def: $vgpr9
.LBB4_1098:                             ;   in Loop: Header=BB4_356 Depth=4
	s_and_not1_saveexec_b32 s13, s73
; %bb.1099:                             ;   in Loop: Header=BB4_356 Depth=4
	v_or_b32_e32 v17, 0x7f, v9
; %bb.1100:                             ;   in Loop: Header=BB4_356 Depth=4
	s_or_b32 exec_lo, exec_lo, s13
	v_and_b32_e32 v9, 0xff, v14
	v_dual_mov_b32 v2, 0 :: v_dual_mov_b32 v8, 0
	s_mov_b32 s13, exec_lo
	s_delay_alu instid0(VALU_DEP_2)
	v_cmpx_ne_u16_e32 0, v9
	s_cbranch_execz .LBB4_1106
; %bb.1101:                             ;   in Loop: Header=BB4_356 Depth=4
	v_bfrev_b32_e32 v8, 1
	s_mov_b32 s73, exec_lo
	v_cmpx_ne_u16_e32 0x80, v9
	s_cbranch_execz .LBB4_1105
; %bb.1102:                             ;   in Loop: Header=BB4_356 Depth=4
	v_and_b32_e32 v9, 0x7f, v14
	v_mov_b32_e32 v8, 0x7f800001
	s_mov_b32 s74, exec_lo
	s_delay_alu instid0(VALU_DEP_2)
	v_cmpx_ne_u32_e32 0x7f, v9
	s_cbranch_execz .LBB4_1104
; %bb.1103:                             ;   in Loop: Header=BB4_356 Depth=4
	v_dual_lshrrev_b32 v12, 3, v9 :: v_dual_bitop2_b32 v8, 7, v14 bitop3:0x40
	v_cmp_gt_u32_e32 vcc_lo, 8, v9
	s_delay_alu instid0(VALU_DEP_2) | instskip(NEXT) | instid1(VALU_DEP_1)
	v_clz_i32_u32_e32 v8, v8
	v_min_u32_e32 v8, 32, v8
	s_delay_alu instid0(VALU_DEP_1) | instskip(SKIP_1) | instid1(VALU_DEP_1)
	v_subrev_nc_u32_e32 v13, 28, v8
	v_sub_nc_u32_e32 v8, 29, v8
	v_dual_cndmask_b32 v12, v12, v8, vcc_lo :: v_dual_cndmask_b32 v8, 0, v13, vcc_lo
	s_delay_alu instid0(VALU_DEP_1) | instskip(NEXT) | instid1(VALU_DEP_2)
	v_lshl_add_u32 v12, v12, 23, 0x3c000000
	v_lshlrev_b64_e32 v[8:9], v8, v[14:15]
	v_lshlrev_b32_e32 v9, 24, v14
	s_delay_alu instid0(VALU_DEP_1) | instskip(NEXT) | instid1(VALU_DEP_3)
	v_and_b32_e32 v9, 0x80000000, v9
	v_lshlrev_b32_e32 v8, 20, v8
	s_delay_alu instid0(VALU_DEP_1) | instskip(NEXT) | instid1(VALU_DEP_1)
	v_and_b32_e32 v8, 0x700000, v8
	v_or3_b32 v8, v8, v9, v12
.LBB4_1104:                             ;   in Loop: Header=BB4_356 Depth=4
	s_or_b32 exec_lo, exec_lo, s74
.LBB4_1105:                             ;   in Loop: Header=BB4_356 Depth=4
	s_delay_alu instid0(SALU_CYCLE_1)
	s_or_b32 exec_lo, exec_lo, s73
.LBB4_1106:                             ;   in Loop: Header=BB4_356 Depth=4
	s_delay_alu instid0(SALU_CYCLE_1) | instskip(SKIP_2) | instid1(VALU_DEP_1)
	s_or_b32 exec_lo, exec_lo, s13
	v_and_b32_e32 v9, 0xff, v10
	s_mov_b32 s13, exec_lo
	v_cmpx_ne_u16_e32 0, v9
	s_cbranch_execz .LBB4_1112
; %bb.1107:                             ;   in Loop: Header=BB4_356 Depth=4
	v_bfrev_b32_e32 v2, 1
	s_mov_b32 s73, exec_lo
	v_cmpx_ne_u16_e32 0x80, v9
	s_cbranch_execz .LBB4_1111
; %bb.1108:                             ;   in Loop: Header=BB4_356 Depth=4
	v_and_b32_e32 v9, 0x7f, v10
	v_mov_b32_e32 v2, 0x7f800001
	s_mov_b32 s74, exec_lo
	s_delay_alu instid0(VALU_DEP_2)
	v_cmpx_ne_u32_e32 0x7f, v9
	s_cbranch_execz .LBB4_1110
; %bb.1109:                             ;   in Loop: Header=BB4_356 Depth=4
	v_dual_lshrrev_b32 v12, 3, v9 :: v_dual_bitop2_b32 v2, 7, v10 bitop3:0x40
	v_cmp_gt_u32_e32 vcc_lo, 8, v9
	s_delay_alu instid0(VALU_DEP_2) | instskip(NEXT) | instid1(VALU_DEP_1)
	v_clz_i32_u32_e32 v2, v2
	v_min_u32_e32 v2, 32, v2
	s_delay_alu instid0(VALU_DEP_1) | instskip(NEXT) | instid1(VALU_DEP_1)
	v_subrev_nc_u32_e32 v13, 28, v2
	v_dual_cndmask_b32 v9, 0, v13 :: v_dual_sub_nc_u32 v2, 29, v2
	s_delay_alu instid0(VALU_DEP_1) | instskip(NEXT) | instid1(VALU_DEP_2)
	v_cndmask_b32_e32 v2, v12, v2, vcc_lo
	v_lshlrev_b64_e32 v[12:13], v9, v[10:11]
	v_lshlrev_b32_e32 v9, 24, v10
	s_delay_alu instid0(VALU_DEP_1) | instskip(NEXT) | instid1(VALU_DEP_3)
	v_and_b32_e32 v9, 0x80000000, v9
	v_lshlrev_b32_e32 v12, 20, v12
	v_lshl_add_u32 v2, v2, 23, 0x3c000000
	s_delay_alu instid0(VALU_DEP_2) | instskip(NEXT) | instid1(VALU_DEP_1)
	v_and_b32_e32 v12, 0x700000, v12
	v_or3_b32 v2, v12, v9, v2
.LBB4_1110:                             ;   in Loop: Header=BB4_356 Depth=4
	s_or_b32 exec_lo, exec_lo, s74
.LBB4_1111:                             ;   in Loop: Header=BB4_356 Depth=4
	s_delay_alu instid0(SALU_CYCLE_1)
	s_or_b32 exec_lo, exec_lo, s73
.LBB4_1112:                             ;   in Loop: Header=BB4_356 Depth=4
	s_delay_alu instid0(SALU_CYCLE_1) | instskip(NEXT) | instid1(VALU_DEP_1)
	s_or_b32 exec_lo, exec_lo, s13
	v_add_f32_e32 v8, v8, v2
                                        ; implicit-def: $vgpr18
	s_mov_b32 s13, exec_lo
	s_delay_alu instid0(VALU_DEP_1) | instskip(SKIP_1) | instid1(VALU_DEP_2)
	v_and_b32_e32 v2, 0x7f800000, v8
	v_lshrrev_b32_e32 v9, 24, v8
	v_cmpx_ne_u64_e32 0x7f800000, v[2:3]
	s_xor_b32 s73, exec_lo, s13
	s_cbranch_execz .LBB4_1126
; %bb.1113:                             ;   in Loop: Header=BB4_356 Depth=4
	v_and_b32_e32 v2, 0x7fffffff, v8
	v_and_b32_e32 v19, 0x80, v9
                                        ; implicit-def: $vgpr18
	s_mov_b32 s13, exec_lo
	s_delay_alu instid0(VALU_DEP_2)
	v_cmpx_gt_u64_e32 0x43e00001, v[2:3]
	s_xor_b32 s74, exec_lo, s13
	s_cbranch_execz .LBB4_1123
; %bb.1114:                             ;   in Loop: Header=BB4_356 Depth=4
	v_mov_b32_e32 v18, 0
	s_mov_b32 s75, exec_lo
	v_cmpx_ne_u32_e32 0, v8
	s_cbranch_execz .LBB4_1122
; %bb.1115:                             ;   in Loop: Header=BB4_356 Depth=4
	v_bfe_u32 v18, v8, 23, 8
	s_delay_alu instid0(VALU_DEP_1) | instskip(SKIP_1) | instid1(VALU_DEP_2)
	v_sub_nc_u32_e32 v2, 0x79, v18
	v_cmp_gt_u32_e32 vcc_lo, 0x7a, v18
	v_cndmask_b32_e32 v2, 0, v2, vcc_lo
	v_cmp_eq_u32_e32 vcc_lo, 0, v18
	s_delay_alu instid0(VALU_DEP_2) | instskip(SKIP_1) | instid1(VALU_DEP_2)
	v_cndmask_b32_e64 v24, v2, 0x78, vcc_lo
	v_and_b32_e32 v2, 0x7fffff, v8
	v_add_nc_u32_e32 v8, 20, v24
	s_delay_alu instid0(VALU_DEP_2) | instskip(SKIP_1) | instid1(VALU_DEP_3)
	v_or_b32_e32 v12, 0x800000, v2
	v_add_nc_u32_e32 v13, 19, v24
	v_lshlrev_b64_e64 v[8:9], v8, -1
	s_delay_alu instid0(VALU_DEP_3) | instskip(NEXT) | instid1(VALU_DEP_3)
	v_cndmask_b32_e32 v2, v12, v2, vcc_lo
	v_lshlrev_b64_e64 v[12:13], v13, 1
	s_delay_alu instid0(VALU_DEP_3) | instskip(NEXT) | instid1(VALU_DEP_3)
	v_bfi_b32 v27, v9, 0, 0
	v_bfi_b32 v26, v8, 0, v2
	v_lshrrev_b64 v[8:9], v24, v[2:3]
	s_delay_alu instid0(VALU_DEP_2) | instskip(NEXT) | instid1(VALU_DEP_2)
	v_cmp_eq_u64_e64 s13, v[26:27], v[12:13]
	v_mov_b64_e32 v[12:13], v[8:9]
	s_and_saveexec_b32 s76, s13
; %bb.1116:                             ;   in Loop: Header=BB4_356 Depth=4
	v_bfe_u32 v2, v8, 20, 1
	s_delay_alu instid0(VALU_DEP_1) | instskip(NEXT) | instid1(VALU_DEP_1)
	v_add_nc_u64_e32 v[12:13], v[8:9], v[2:3]
	v_add_nc_u64_e32 v[12:13], -1, v[12:13]
; %bb.1117:                             ;   in Loop: Header=BB4_356 Depth=4
	s_or_b32 exec_lo, exec_lo, s76
	v_add_nc_u32_e32 v2, 0xffffff81, v18
	v_lshrrev_b32_e32 v9, 23, v8
	s_mov_b32 s13, exec_lo
	s_delay_alu instid0(VALU_DEP_2) | instskip(NEXT) | instid1(VALU_DEP_1)
	v_cndmask_b32_e64 v2, v2, 0xffffff82, vcc_lo
	v_add3_u32 v13, v24, v2, v9
	v_and_b32_e32 v2, 0xfffff, v12
                                        ; implicit-def: $vgpr12
	s_delay_alu instid0(VALU_DEP_1) | instskip(NEXT) | instid1(VALU_DEP_1)
	v_dual_add_nc_u32 v18, 6, v13 :: v_dual_add_nc_u32 v2, v2, v8
                                        ; implicit-def: $vgpr8_vgpr9
	v_cmpx_ne_u32_e32 0, v18
	s_xor_b32 s13, exec_lo, s13
; %bb.1118:                             ;   in Loop: Header=BB4_356 Depth=4
	s_delay_alu instid0(VALU_DEP_2) | instskip(SKIP_1) | instid1(VALU_DEP_1)
	v_cmp_lt_u64_e32 vcc_lo, 0xffffff, v[2:3]
	v_add_nc_u32_e32 v8, 7, v13
	v_cndmask_b32_e32 v12, v18, v8, vcc_lo
	v_cndmask_b32_e64 v8, 0, 1, vcc_lo
	s_delay_alu instid0(VALU_DEP_1)
	v_lshrrev_b64 v[8:9], v8, v[2:3]
; %bb.1119:                             ;   in Loop: Header=BB4_356 Depth=4
	s_and_not1_saveexec_b32 s13, s13
; %bb.1120:                             ;   in Loop: Header=BB4_356 Depth=4
	v_mov_b64_e32 v[8:9], v[2:3]
	v_bfe_u32 v12, v2, 23, 1
; %bb.1121:                             ;   in Loop: Header=BB4_356 Depth=4
	s_or_b32 exec_lo, exec_lo, s13
	s_delay_alu instid0(VALU_DEP_2) | instskip(NEXT) | instid1(VALU_DEP_2)
	v_lshrrev_b64 v[8:9], 20, v[8:9]
	v_cmp_gt_i32_e32 vcc_lo, 16, v12
	v_min_i32_e32 v2, 15, v12
	v_cmp_eq_u32_e64 s13, 0, v12
	s_delay_alu instid0(VALU_DEP_2) | instskip(SKIP_1) | instid1(VALU_DEP_2)
	v_dual_cndmask_b32 v9, 0, v9 :: v_dual_lshlrev_b32 v2, 3, v2
	v_cndmask_b32_e32 v8, 7, v8, vcc_lo
	v_and_b32_e32 v2, 0xf8, v2
	s_delay_alu instid0(VALU_DEP_2) | instskip(NEXT) | instid1(VALU_DEP_2)
	v_cmp_eq_u64_e32 vcc_lo, 0, v[8:9]
	v_and_or_b32 v2, v8, 7, v2
	s_and_b32 s13, s13, vcc_lo
	s_delay_alu instid0(VALU_DEP_1) | instid1(SALU_CYCLE_1)
	v_cndmask_b32_e64 v2, v2, 0, s13
	s_delay_alu instid0(VALU_DEP_1)
	v_or_b32_e32 v18, v2, v19
.LBB4_1122:                             ;   in Loop: Header=BB4_356 Depth=4
	s_or_b32 exec_lo, exec_lo, s75
                                        ; implicit-def: $vgpr19
.LBB4_1123:                             ;   in Loop: Header=BB4_356 Depth=4
	s_and_not1_saveexec_b32 s13, s74
; %bb.1124:                             ;   in Loop: Header=BB4_356 Depth=4
	v_or_b32_e32 v18, 0x7e, v19
; %bb.1125:                             ;   in Loop: Header=BB4_356 Depth=4
	s_or_b32 exec_lo, exec_lo, s13
                                        ; implicit-def: $vgpr9
.LBB4_1126:                             ;   in Loop: Header=BB4_356 Depth=4
	s_and_not1_saveexec_b32 s13, s73
; %bb.1127:                             ;   in Loop: Header=BB4_356 Depth=4
	v_or_b32_e32 v18, 0x7f, v9
; %bb.1128:                             ;   in Loop: Header=BB4_356 Depth=4
	s_or_b32 exec_lo, exec_lo, s13
	v_lshrrev_b16 v2, 8, v14
	v_dual_mov_b32 v8, 0 :: v_dual_mov_b32 v9, 0
	s_mov_b32 s13, exec_lo
	s_delay_alu instid0(VALU_DEP_2)
	v_cmpx_ne_u16_e32 0, v2
	s_cbranch_execz .LBB4_1136
; %bb.1129:                             ;   in Loop: Header=BB4_356 Depth=4
	v_bfrev_b32_e32 v9, 1
	s_mov_b32 s73, exec_lo
	v_cmpx_ne_u16_e32 0x80, v2
	s_cbranch_execz .LBB4_1135
; %bb.1130:                             ;   in Loop: Header=BB4_356 Depth=4
	v_and_b32_e32 v2, 0xffff, v2
	v_mov_b32_e32 v9, 0x7f800001
	s_mov_b32 s74, exec_lo
	s_delay_alu instid0(VALU_DEP_2) | instskip(NEXT) | instid1(VALU_DEP_1)
	v_and_b32_e32 v12, 0x7f, v2
	v_cmpx_ne_u32_e32 0x7f, v12
	s_cbranch_execz .LBB4_1134
; %bb.1131:                             ;   in Loop: Header=BB4_356 Depth=4
	v_dual_lshrrev_b32 v9, 3, v12 :: v_dual_bitop2_b32 v2, 7, v2 bitop3:0x40
	s_mov_b32 s75, exec_lo
	v_cmpx_gt_u32_e32 8, v12
; %bb.1132:                             ;   in Loop: Header=BB4_356 Depth=4
	s_delay_alu instid0(VALU_DEP_2) | instskip(NEXT) | instid1(VALU_DEP_1)
	v_clz_i32_u32_e32 v9, v2
	v_min_u32_e32 v9, 32, v9
	s_delay_alu instid0(VALU_DEP_1) | instskip(NEXT) | instid1(VALU_DEP_1)
	v_subrev_nc_u32_e32 v12, 28, v9
	v_lshlrev_b64_e32 v[12:13], v12, v[2:3]
	s_delay_alu instid0(VALU_DEP_1)
	v_dual_sub_nc_u32 v9, 29, v9 :: v_dual_bitop2_b32 v2, 7, v12 bitop3:0x40
; %bb.1133:                             ;   in Loop: Header=BB4_356 Depth=4
	s_or_b32 exec_lo, exec_lo, s75
	v_lshlrev_b32_e32 v12, 16, v14
	s_delay_alu instid0(VALU_DEP_2) | instskip(NEXT) | instid1(VALU_DEP_3)
	v_lshlrev_b32_e32 v2, 20, v2
	v_lshl_add_u32 v9, v9, 23, 0x3c000000
	s_delay_alu instid0(VALU_DEP_3) | instskip(NEXT) | instid1(VALU_DEP_1)
	v_and_b32_e32 v12, 0x80000000, v12
	v_or3_b32 v9, v2, v12, v9
.LBB4_1134:                             ;   in Loop: Header=BB4_356 Depth=4
	s_or_b32 exec_lo, exec_lo, s74
.LBB4_1135:                             ;   in Loop: Header=BB4_356 Depth=4
	s_delay_alu instid0(SALU_CYCLE_1)
	s_or_b32 exec_lo, exec_lo, s73
.LBB4_1136:                             ;   in Loop: Header=BB4_356 Depth=4
	s_delay_alu instid0(SALU_CYCLE_1) | instskip(SKIP_2) | instid1(VALU_DEP_1)
	s_or_b32 exec_lo, exec_lo, s13
	v_lshrrev_b16 v2, 8, v10
	s_mov_b32 s13, exec_lo
	v_cmpx_ne_u16_e32 0, v2
	s_cbranch_execz .LBB4_1144
; %bb.1137:                             ;   in Loop: Header=BB4_356 Depth=4
	v_bfrev_b32_e32 v8, 1
	s_mov_b32 s73, exec_lo
	v_cmpx_ne_u16_e32 0x80, v2
	s_cbranch_execz .LBB4_1143
; %bb.1138:                             ;   in Loop: Header=BB4_356 Depth=4
	v_and_b32_e32 v2, 0xffff, v2
	v_mov_b32_e32 v8, 0x7f800001
	s_mov_b32 s74, exec_lo
	s_delay_alu instid0(VALU_DEP_2) | instskip(NEXT) | instid1(VALU_DEP_1)
	v_and_b32_e32 v12, 0x7f, v2
	v_cmpx_ne_u32_e32 0x7f, v12
	s_cbranch_execz .LBB4_1142
; %bb.1139:                             ;   in Loop: Header=BB4_356 Depth=4
	v_dual_lshrrev_b32 v8, 3, v12 :: v_dual_bitop2_b32 v2, 7, v2 bitop3:0x40
	s_mov_b32 s75, exec_lo
	v_cmpx_gt_u32_e32 8, v12
; %bb.1140:                             ;   in Loop: Header=BB4_356 Depth=4
	s_delay_alu instid0(VALU_DEP_2) | instskip(NEXT) | instid1(VALU_DEP_1)
	v_clz_i32_u32_e32 v8, v2
	v_min_u32_e32 v8, 32, v8
	s_delay_alu instid0(VALU_DEP_1) | instskip(SKIP_1) | instid1(VALU_DEP_2)
	v_subrev_nc_u32_e32 v12, 28, v8
	v_sub_nc_u32_e32 v8, 29, v8
	v_lshlrev_b64_e32 v[12:13], v12, v[2:3]
	s_delay_alu instid0(VALU_DEP_1)
	v_and_b32_e32 v2, 7, v12
; %bb.1141:                             ;   in Loop: Header=BB4_356 Depth=4
	s_or_b32 exec_lo, exec_lo, s75
	v_lshlrev_b32_e32 v12, 16, v10
	s_delay_alu instid0(VALU_DEP_2) | instskip(SKIP_1) | instid1(VALU_DEP_3)
	v_lshlrev_b32_e32 v2, 20, v2
	v_lshl_add_u32 v8, v8, 23, 0x3c000000
	v_and_b32_e32 v12, 0x80000000, v12
	s_delay_alu instid0(VALU_DEP_1)
	v_or3_b32 v8, v2, v12, v8
.LBB4_1142:                             ;   in Loop: Header=BB4_356 Depth=4
	s_or_b32 exec_lo, exec_lo, s74
.LBB4_1143:                             ;   in Loop: Header=BB4_356 Depth=4
	s_delay_alu instid0(SALU_CYCLE_1)
	s_or_b32 exec_lo, exec_lo, s73
.LBB4_1144:                             ;   in Loop: Header=BB4_356 Depth=4
	s_delay_alu instid0(SALU_CYCLE_1) | instskip(NEXT) | instid1(VALU_DEP_1)
	s_or_b32 exec_lo, exec_lo, s13
	v_add_f32_e32 v8, v9, v8
                                        ; implicit-def: $vgpr19
	s_mov_b32 s13, exec_lo
	s_delay_alu instid0(VALU_DEP_1) | instskip(SKIP_1) | instid1(VALU_DEP_2)
	v_and_b32_e32 v2, 0x7f800000, v8
	v_lshrrev_b32_e32 v9, 24, v8
	v_cmpx_ne_u64_e32 0x7f800000, v[2:3]
	s_xor_b32 s73, exec_lo, s13
	s_cbranch_execz .LBB4_1158
; %bb.1145:                             ;   in Loop: Header=BB4_356 Depth=4
	v_and_b32_e32 v2, 0x7fffffff, v8
	v_and_b32_e32 v26, 0x80, v9
                                        ; implicit-def: $vgpr19
	s_mov_b32 s13, exec_lo
	s_delay_alu instid0(VALU_DEP_2)
	v_cmpx_gt_u64_e32 0x43e00001, v[2:3]
	s_xor_b32 s74, exec_lo, s13
	s_cbranch_execz .LBB4_1155
; %bb.1146:                             ;   in Loop: Header=BB4_356 Depth=4
	v_mov_b32_e32 v19, 0
	s_mov_b32 s75, exec_lo
	v_cmpx_ne_u32_e32 0, v8
	s_cbranch_execz .LBB4_1154
; %bb.1147:                             ;   in Loop: Header=BB4_356 Depth=4
	v_bfe_u32 v19, v8, 23, 8
	s_delay_alu instid0(VALU_DEP_1) | instskip(SKIP_1) | instid1(VALU_DEP_2)
	v_sub_nc_u32_e32 v2, 0x79, v19
	v_cmp_gt_u32_e32 vcc_lo, 0x7a, v19
	v_cndmask_b32_e32 v2, 0, v2, vcc_lo
	v_cmp_eq_u32_e32 vcc_lo, 0, v19
	s_delay_alu instid0(VALU_DEP_2) | instskip(SKIP_1) | instid1(VALU_DEP_2)
	v_cndmask_b32_e64 v24, v2, 0x78, vcc_lo
	v_and_b32_e32 v2, 0x7fffff, v8
	v_add_nc_u32_e32 v8, 20, v24
	s_delay_alu instid0(VALU_DEP_2) | instskip(SKIP_1) | instid1(VALU_DEP_3)
	v_or_b32_e32 v12, 0x800000, v2
	v_add_nc_u32_e32 v13, 19, v24
	v_lshlrev_b64_e64 v[8:9], v8, -1
	s_delay_alu instid0(VALU_DEP_3) | instskip(NEXT) | instid1(VALU_DEP_3)
	v_cndmask_b32_e32 v2, v12, v2, vcc_lo
	v_lshlrev_b64_e64 v[12:13], v13, 1
	s_delay_alu instid0(VALU_DEP_3) | instskip(NEXT) | instid1(VALU_DEP_3)
	v_bfi_b32 v29, v9, 0, 0
	v_bfi_b32 v28, v8, 0, v2
	v_lshrrev_b64 v[8:9], v24, v[2:3]
	s_delay_alu instid0(VALU_DEP_2) | instskip(NEXT) | instid1(VALU_DEP_2)
	v_cmp_eq_u64_e64 s13, v[28:29], v[12:13]
	v_mov_b64_e32 v[12:13], v[8:9]
	s_and_saveexec_b32 s76, s13
; %bb.1148:                             ;   in Loop: Header=BB4_356 Depth=4
	v_bfe_u32 v2, v8, 20, 1
	s_delay_alu instid0(VALU_DEP_1) | instskip(NEXT) | instid1(VALU_DEP_1)
	v_add_nc_u64_e32 v[12:13], v[8:9], v[2:3]
	v_add_nc_u64_e32 v[12:13], -1, v[12:13]
; %bb.1149:                             ;   in Loop: Header=BB4_356 Depth=4
	s_or_b32 exec_lo, exec_lo, s76
	v_add_nc_u32_e32 v2, 0xffffff81, v19
	v_lshrrev_b32_e32 v9, 23, v8
	s_mov_b32 s13, exec_lo
	s_delay_alu instid0(VALU_DEP_2) | instskip(NEXT) | instid1(VALU_DEP_1)
	v_cndmask_b32_e64 v2, v2, 0xffffff82, vcc_lo
	v_add3_u32 v13, v24, v2, v9
	v_and_b32_e32 v2, 0xfffff, v12
                                        ; implicit-def: $vgpr12
	s_delay_alu instid0(VALU_DEP_1) | instskip(NEXT) | instid1(VALU_DEP_1)
	v_dual_add_nc_u32 v19, 6, v13 :: v_dual_add_nc_u32 v2, v2, v8
                                        ; implicit-def: $vgpr8_vgpr9
	v_cmpx_ne_u32_e32 0, v19
	s_xor_b32 s13, exec_lo, s13
; %bb.1150:                             ;   in Loop: Header=BB4_356 Depth=4
	s_delay_alu instid0(VALU_DEP_2) | instskip(SKIP_1) | instid1(VALU_DEP_1)
	v_cmp_lt_u64_e32 vcc_lo, 0xffffff, v[2:3]
	v_add_nc_u32_e32 v8, 7, v13
	v_cndmask_b32_e32 v12, v19, v8, vcc_lo
	v_cndmask_b32_e64 v8, 0, 1, vcc_lo
	s_delay_alu instid0(VALU_DEP_1)
	v_lshrrev_b64 v[8:9], v8, v[2:3]
; %bb.1151:                             ;   in Loop: Header=BB4_356 Depth=4
	s_and_not1_saveexec_b32 s13, s13
; %bb.1152:                             ;   in Loop: Header=BB4_356 Depth=4
	v_mov_b64_e32 v[8:9], v[2:3]
	v_bfe_u32 v12, v2, 23, 1
; %bb.1153:                             ;   in Loop: Header=BB4_356 Depth=4
	s_or_b32 exec_lo, exec_lo, s13
	s_delay_alu instid0(VALU_DEP_2) | instskip(NEXT) | instid1(VALU_DEP_2)
	v_lshrrev_b64 v[8:9], 20, v[8:9]
	v_cmp_gt_i32_e32 vcc_lo, 16, v12
	v_min_i32_e32 v2, 15, v12
	v_cmp_eq_u32_e64 s13, 0, v12
	s_delay_alu instid0(VALU_DEP_2) | instskip(SKIP_1) | instid1(VALU_DEP_2)
	v_dual_cndmask_b32 v9, 0, v9 :: v_dual_lshlrev_b32 v2, 3, v2
	v_cndmask_b32_e32 v8, 7, v8, vcc_lo
	v_and_b32_e32 v2, 0xf8, v2
	s_delay_alu instid0(VALU_DEP_2) | instskip(NEXT) | instid1(VALU_DEP_2)
	v_cmp_eq_u64_e32 vcc_lo, 0, v[8:9]
	v_and_or_b32 v2, v8, 7, v2
	s_and_b32 s13, s13, vcc_lo
	s_delay_alu instid0(VALU_DEP_1) | instid1(SALU_CYCLE_1)
	v_cndmask_b32_e64 v2, v2, 0, s13
	s_delay_alu instid0(VALU_DEP_1)
	v_or_b32_e32 v19, v2, v26
.LBB4_1154:                             ;   in Loop: Header=BB4_356 Depth=4
	s_or_b32 exec_lo, exec_lo, s75
                                        ; implicit-def: $vgpr26
.LBB4_1155:                             ;   in Loop: Header=BB4_356 Depth=4
	s_and_not1_saveexec_b32 s13, s74
; %bb.1156:                             ;   in Loop: Header=BB4_356 Depth=4
	v_or_b32_e32 v19, 0x7e, v26
; %bb.1157:                             ;   in Loop: Header=BB4_356 Depth=4
	s_or_b32 exec_lo, exec_lo, s13
                                        ; implicit-def: $vgpr9
.LBB4_1158:                             ;   in Loop: Header=BB4_356 Depth=4
	s_and_not1_saveexec_b32 s13, s73
; %bb.1159:                             ;   in Loop: Header=BB4_356 Depth=4
	v_or_b32_e32 v19, 0x7f, v9
; %bb.1160:                             ;   in Loop: Header=BB4_356 Depth=4
	s_or_b32 exec_lo, exec_lo, s13
	v_dual_lshrrev_b32 v12, 16, v14 :: v_dual_mov_b32 v8, 0
	v_mov_b32_e32 v9, 0
	s_mov_b32 s13, exec_lo
	s_delay_alu instid0(VALU_DEP_2) | instskip(NEXT) | instid1(VALU_DEP_1)
	v_and_b32_e32 v2, 0xff, v12
	v_cmpx_ne_u16_e32 0, v2
	s_cbranch_execz .LBB4_1168
; %bb.1161:                             ;   in Loop: Header=BB4_356 Depth=4
	v_bfrev_b32_e32 v9, 1
	s_mov_b32 s73, exec_lo
	v_cmpx_ne_u16_e32 0x80, v2
	s_cbranch_execz .LBB4_1167
; %bb.1162:                             ;   in Loop: Header=BB4_356 Depth=4
	v_bfe_u32 v13, v14, 16, 7
	v_mov_b32_e32 v9, 0x7f800001
	s_mov_b32 s74, exec_lo
	s_delay_alu instid0(VALU_DEP_2)
	v_cmpx_ne_u32_e32 0x7f, v13
	s_cbranch_execz .LBB4_1166
; %bb.1163:                             ;   in Loop: Header=BB4_356 Depth=4
	v_dual_lshrrev_b32 v9, 3, v13 :: v_dual_bitop2_b32 v2, 7, v12 bitop3:0x40
	s_mov_b32 s75, exec_lo
	v_cmpx_gt_u32_e32 8, v13
; %bb.1164:                             ;   in Loop: Header=BB4_356 Depth=4
	s_delay_alu instid0(VALU_DEP_2) | instskip(NEXT) | instid1(VALU_DEP_1)
	v_clz_i32_u32_e32 v9, v2
	v_min_u32_e32 v9, 32, v9
	s_delay_alu instid0(VALU_DEP_1) | instskip(NEXT) | instid1(VALU_DEP_1)
	v_subrev_nc_u32_e32 v13, 28, v9
	v_lshlrev_b64_e32 v[24:25], v13, v[2:3]
	s_delay_alu instid0(VALU_DEP_1)
	v_dual_sub_nc_u32 v9, 29, v9 :: v_dual_bitop2_b32 v2, 7, v24 bitop3:0x40
; %bb.1165:                             ;   in Loop: Header=BB4_356 Depth=4
	s_or_b32 exec_lo, exec_lo, s75
	s_delay_alu instid0(VALU_DEP_1) | instskip(NEXT) | instid1(VALU_DEP_2)
	v_dual_lshlrev_b32 v12, 24, v12 :: v_dual_lshlrev_b32 v2, 20, v2
	v_lshl_add_u32 v9, v9, 23, 0x3c000000
	s_delay_alu instid0(VALU_DEP_2) | instskip(NEXT) | instid1(VALU_DEP_1)
	v_and_b32_e32 v12, 0x80000000, v12
	v_or3_b32 v9, v2, v12, v9
.LBB4_1166:                             ;   in Loop: Header=BB4_356 Depth=4
	s_or_b32 exec_lo, exec_lo, s74
.LBB4_1167:                             ;   in Loop: Header=BB4_356 Depth=4
	s_delay_alu instid0(SALU_CYCLE_1)
	s_or_b32 exec_lo, exec_lo, s73
.LBB4_1168:                             ;   in Loop: Header=BB4_356 Depth=4
	s_delay_alu instid0(SALU_CYCLE_1) | instskip(SKIP_2) | instid1(VALU_DEP_1)
	s_or_b32 exec_lo, exec_lo, s13
	v_lshrrev_b32_e32 v2, 16, v10
	s_mov_b32 s13, exec_lo
	v_and_b32_e32 v12, 0xff, v2
	s_delay_alu instid0(VALU_DEP_1)
	v_cmpx_ne_u16_e32 0, v12
	s_cbranch_execz .LBB4_1176
; %bb.1169:                             ;   in Loop: Header=BB4_356 Depth=4
	v_bfrev_b32_e32 v8, 1
	s_mov_b32 s73, exec_lo
	v_cmpx_ne_u16_e32 0x80, v12
	s_cbranch_execz .LBB4_1175
; %bb.1170:                             ;   in Loop: Header=BB4_356 Depth=4
	v_bfe_u32 v12, v10, 16, 7
	v_mov_b32_e32 v8, 0x7f800001
	s_mov_b32 s74, exec_lo
	s_delay_alu instid0(VALU_DEP_2)
	v_cmpx_ne_u32_e32 0x7f, v12
	s_cbranch_execz .LBB4_1174
; %bb.1171:                             ;   in Loop: Header=BB4_356 Depth=4
	v_dual_lshrrev_b32 v8, 3, v12 :: v_dual_bitop2_b32 v2, 7, v2 bitop3:0x40
	s_mov_b32 s75, exec_lo
	v_cmpx_gt_u32_e32 8, v12
; %bb.1172:                             ;   in Loop: Header=BB4_356 Depth=4
	s_delay_alu instid0(VALU_DEP_2) | instskip(NEXT) | instid1(VALU_DEP_1)
	v_clz_i32_u32_e32 v8, v2
	v_min_u32_e32 v8, 32, v8
	s_delay_alu instid0(VALU_DEP_1) | instskip(SKIP_1) | instid1(VALU_DEP_2)
	v_subrev_nc_u32_e32 v12, 28, v8
	v_sub_nc_u32_e32 v8, 29, v8
	v_lshlrev_b64_e32 v[12:13], v12, v[2:3]
	s_delay_alu instid0(VALU_DEP_1)
	v_and_b32_e32 v2, 7, v12
; %bb.1173:                             ;   in Loop: Header=BB4_356 Depth=4
	s_or_b32 exec_lo, exec_lo, s75
	v_lshlrev_b32_e32 v12, 8, v10
	s_delay_alu instid0(VALU_DEP_2) | instskip(SKIP_1) | instid1(VALU_DEP_3)
	v_lshlrev_b32_e32 v2, 20, v2
	v_lshl_add_u32 v8, v8, 23, 0x3c000000
	v_and_b32_e32 v12, 0x80000000, v12
	s_delay_alu instid0(VALU_DEP_1)
	v_or3_b32 v8, v2, v12, v8
.LBB4_1174:                             ;   in Loop: Header=BB4_356 Depth=4
	s_or_b32 exec_lo, exec_lo, s74
.LBB4_1175:                             ;   in Loop: Header=BB4_356 Depth=4
	s_delay_alu instid0(SALU_CYCLE_1)
	s_or_b32 exec_lo, exec_lo, s73
.LBB4_1176:                             ;   in Loop: Header=BB4_356 Depth=4
	s_delay_alu instid0(SALU_CYCLE_1) | instskip(NEXT) | instid1(VALU_DEP_1)
	s_or_b32 exec_lo, exec_lo, s13
	v_add_f32_e32 v8, v9, v8
                                        ; implicit-def: $vgpr26
	s_mov_b32 s13, exec_lo
	s_delay_alu instid0(VALU_DEP_1) | instskip(SKIP_1) | instid1(VALU_DEP_2)
	v_and_b32_e32 v2, 0x7f800000, v8
	v_lshrrev_b32_e32 v9, 24, v8
	v_cmpx_ne_u64_e32 0x7f800000, v[2:3]
	s_xor_b32 s73, exec_lo, s13
	s_cbranch_execz .LBB4_1190
; %bb.1177:                             ;   in Loop: Header=BB4_356 Depth=4
	v_and_b32_e32 v2, 0x7fffffff, v8
	v_and_b32_e32 v27, 0x80, v9
                                        ; implicit-def: $vgpr26
	s_mov_b32 s13, exec_lo
	s_delay_alu instid0(VALU_DEP_2)
	v_cmpx_gt_u64_e32 0x43e00001, v[2:3]
	s_xor_b32 s74, exec_lo, s13
	s_cbranch_execz .LBB4_1187
; %bb.1178:                             ;   in Loop: Header=BB4_356 Depth=4
	v_mov_b32_e32 v26, 0
	s_mov_b32 s75, exec_lo
	v_cmpx_ne_u32_e32 0, v8
	s_cbranch_execz .LBB4_1186
; %bb.1179:                             ;   in Loop: Header=BB4_356 Depth=4
	v_bfe_u32 v24, v8, 23, 8
	v_and_b32_e32 v2, 0x7fffff, v8
	s_delay_alu instid0(VALU_DEP_2) | instskip(SKIP_2) | instid1(VALU_DEP_4)
	v_cmp_gt_u32_e64 s13, 0x7a, v24
	v_sub_nc_u32_e32 v8, 0x79, v24
	v_cmp_eq_u32_e32 vcc_lo, 0, v24
	v_or_b32_e32 v9, 0x800000, v2
	s_delay_alu instid0(VALU_DEP_1) | instskip(NEXT) | instid1(VALU_DEP_1)
	v_dual_cndmask_b32 v8, 0, v8, s13 :: v_dual_cndmask_b32 v2, v9, v2, vcc_lo
	v_cndmask_b32_e64 v25, v8, 0x78, vcc_lo
	s_delay_alu instid0(VALU_DEP_1) | instskip(NEXT) | instid1(VALU_DEP_1)
	v_dual_add_nc_u32 v8, 20, v25 :: v_dual_add_nc_u32 v12, 19, v25
	v_lshlrev_b64_e64 v[8:9], v8, -1
	s_delay_alu instid0(VALU_DEP_2) | instskip(NEXT) | instid1(VALU_DEP_2)
	v_lshlrev_b64_e64 v[12:13], v12, 1
	v_bfi_b32 v9, v9, 0, 0
	s_delay_alu instid0(VALU_DEP_3) | instskip(NEXT) | instid1(VALU_DEP_1)
	v_bfi_b32 v8, v8, 0, v2
	v_cmp_eq_u64_e64 s13, v[8:9], v[12:13]
	v_lshrrev_b64 v[8:9], v25, v[2:3]
	s_delay_alu instid0(VALU_DEP_1)
	v_mov_b64_e32 v[12:13], v[8:9]
	s_and_saveexec_b32 s76, s13
; %bb.1180:                             ;   in Loop: Header=BB4_356 Depth=4
	v_bfe_u32 v2, v8, 20, 1
	s_delay_alu instid0(VALU_DEP_1) | instskip(NEXT) | instid1(VALU_DEP_1)
	v_add_nc_u64_e32 v[12:13], v[8:9], v[2:3]
	v_add_nc_u64_e32 v[12:13], -1, v[12:13]
; %bb.1181:                             ;   in Loop: Header=BB4_356 Depth=4
	s_or_b32 exec_lo, exec_lo, s76
	v_add_nc_u32_e32 v2, 0xffffff81, v24
	v_lshrrev_b32_e32 v9, 23, v8
	s_mov_b32 s13, exec_lo
	s_delay_alu instid0(VALU_DEP_2) | instskip(NEXT) | instid1(VALU_DEP_1)
	v_cndmask_b32_e64 v2, v2, 0xffffff82, vcc_lo
	v_add3_u32 v13, v25, v2, v9
	v_and_b32_e32 v2, 0xfffff, v12
                                        ; implicit-def: $vgpr12
	s_delay_alu instid0(VALU_DEP_1) | instskip(NEXT) | instid1(VALU_DEP_1)
	v_dual_add_nc_u32 v24, 6, v13 :: v_dual_add_nc_u32 v2, v2, v8
                                        ; implicit-def: $vgpr8_vgpr9
	v_cmpx_ne_u32_e32 0, v24
	s_xor_b32 s13, exec_lo, s13
; %bb.1182:                             ;   in Loop: Header=BB4_356 Depth=4
	s_delay_alu instid0(VALU_DEP_2) | instskip(SKIP_1) | instid1(VALU_DEP_1)
	v_cmp_lt_u64_e32 vcc_lo, 0xffffff, v[2:3]
	v_add_nc_u32_e32 v8, 7, v13
	v_cndmask_b32_e32 v12, v24, v8, vcc_lo
	v_cndmask_b32_e64 v8, 0, 1, vcc_lo
	s_delay_alu instid0(VALU_DEP_1)
	v_lshrrev_b64 v[8:9], v8, v[2:3]
; %bb.1183:                             ;   in Loop: Header=BB4_356 Depth=4
	s_and_not1_saveexec_b32 s13, s13
; %bb.1184:                             ;   in Loop: Header=BB4_356 Depth=4
	v_mov_b64_e32 v[8:9], v[2:3]
	v_bfe_u32 v12, v2, 23, 1
; %bb.1185:                             ;   in Loop: Header=BB4_356 Depth=4
	s_or_b32 exec_lo, exec_lo, s13
	s_delay_alu instid0(VALU_DEP_2) | instskip(NEXT) | instid1(VALU_DEP_2)
	v_lshrrev_b64 v[8:9], 20, v[8:9]
	v_cmp_gt_i32_e32 vcc_lo, 16, v12
	v_min_i32_e32 v2, 15, v12
	v_cmp_eq_u32_e64 s13, 0, v12
	s_delay_alu instid0(VALU_DEP_2) | instskip(SKIP_1) | instid1(VALU_DEP_2)
	v_dual_cndmask_b32 v9, 0, v9 :: v_dual_lshlrev_b32 v2, 3, v2
	v_cndmask_b32_e32 v8, 7, v8, vcc_lo
	v_and_b32_e32 v2, 0xf8, v2
	s_delay_alu instid0(VALU_DEP_2) | instskip(NEXT) | instid1(VALU_DEP_2)
	v_cmp_eq_u64_e32 vcc_lo, 0, v[8:9]
	v_and_or_b32 v2, v8, 7, v2
	s_and_b32 s13, s13, vcc_lo
	s_delay_alu instid0(VALU_DEP_1) | instid1(SALU_CYCLE_1)
	v_cndmask_b32_e64 v2, v2, 0, s13
	s_delay_alu instid0(VALU_DEP_1)
	v_or_b32_e32 v26, v2, v27
.LBB4_1186:                             ;   in Loop: Header=BB4_356 Depth=4
	s_or_b32 exec_lo, exec_lo, s75
                                        ; implicit-def: $vgpr27
.LBB4_1187:                             ;   in Loop: Header=BB4_356 Depth=4
	s_and_not1_saveexec_b32 s13, s74
; %bb.1188:                             ;   in Loop: Header=BB4_356 Depth=4
	v_or_b32_e32 v26, 0x7e, v27
; %bb.1189:                             ;   in Loop: Header=BB4_356 Depth=4
	s_or_b32 exec_lo, exec_lo, s13
                                        ; implicit-def: $vgpr9
.LBB4_1190:                             ;   in Loop: Header=BB4_356 Depth=4
	s_and_not1_saveexec_b32 s13, s73
; %bb.1191:                             ;   in Loop: Header=BB4_356 Depth=4
	v_or_b32_e32 v26, 0x7f, v9
; %bb.1192:                             ;   in Loop: Header=BB4_356 Depth=4
	s_or_b32 exec_lo, exec_lo, s13
	v_dual_mov_b32 v8, 0 :: v_dual_mov_b32 v9, 0
	s_mov_b32 s13, exec_lo
	v_cmpx_lt_u32_e32 0xffffff, v14
	s_cbranch_execz .LBB4_1200
; %bb.1193:                             ;   in Loop: Header=BB4_356 Depth=4
	v_lshrrev_b32_e32 v12, 24, v14
	v_bfrev_b32_e32 v9, 1
	s_mov_b32 s73, exec_lo
	s_delay_alu instid0(VALU_DEP_2)
	v_cmpx_ne_u32_e32 0x80, v12
	s_cbranch_execz .LBB4_1199
; %bb.1194:                             ;   in Loop: Header=BB4_356 Depth=4
	v_bfe_u32 v13, v14, 24, 7
	v_mov_b32_e32 v9, 0x7f800001
	s_mov_b32 s74, exec_lo
	s_delay_alu instid0(VALU_DEP_2)
	v_cmpx_ne_u32_e32 0x7f, v13
	s_cbranch_execz .LBB4_1198
; %bb.1195:                             ;   in Loop: Header=BB4_356 Depth=4
	v_dual_lshrrev_b32 v9, 3, v13 :: v_dual_bitop2_b32 v2, 7, v12 bitop3:0x40
	s_mov_b32 s75, exec_lo
	v_cmpx_gt_u32_e32 8, v13
; %bb.1196:                             ;   in Loop: Header=BB4_356 Depth=4
	s_delay_alu instid0(VALU_DEP_2) | instskip(NEXT) | instid1(VALU_DEP_1)
	v_clz_i32_u32_e32 v9, v2
	v_min_u32_e32 v9, 32, v9
	s_delay_alu instid0(VALU_DEP_1) | instskip(NEXT) | instid1(VALU_DEP_1)
	v_subrev_nc_u32_e32 v13, 28, v9
	v_lshlrev_b64_e32 v[24:25], v13, v[2:3]
	s_delay_alu instid0(VALU_DEP_1)
	v_dual_sub_nc_u32 v9, 29, v9 :: v_dual_bitop2_b32 v2, 7, v24 bitop3:0x40
; %bb.1197:                             ;   in Loop: Header=BB4_356 Depth=4
	s_or_b32 exec_lo, exec_lo, s75
	s_delay_alu instid0(VALU_DEP_1) | instskip(NEXT) | instid1(VALU_DEP_2)
	v_dual_lshlrev_b32 v12, 24, v12 :: v_dual_lshlrev_b32 v2, 20, v2
	v_lshl_add_u32 v9, v9, 23, 0x3c000000
	s_delay_alu instid0(VALU_DEP_2) | instskip(NEXT) | instid1(VALU_DEP_1)
	v_and_b32_e32 v12, 0x80000000, v12
	v_or3_b32 v9, v2, v12, v9
.LBB4_1198:                             ;   in Loop: Header=BB4_356 Depth=4
	s_or_b32 exec_lo, exec_lo, s74
.LBB4_1199:                             ;   in Loop: Header=BB4_356 Depth=4
	s_delay_alu instid0(SALU_CYCLE_1)
	s_or_b32 exec_lo, exec_lo, s73
.LBB4_1200:                             ;   in Loop: Header=BB4_356 Depth=4
	s_delay_alu instid0(SALU_CYCLE_1) | instskip(NEXT) | instid1(SALU_CYCLE_1)
	s_or_b32 exec_lo, exec_lo, s13
	s_mov_b32 s13, exec_lo
	v_cmpx_lt_u32_e32 0xffffff, v10
	s_cbranch_execz .LBB4_1208
; %bb.1201:                             ;   in Loop: Header=BB4_356 Depth=4
	v_lshrrev_b32_e32 v12, 24, v10
	v_bfrev_b32_e32 v8, 1
	s_mov_b32 s73, exec_lo
	s_delay_alu instid0(VALU_DEP_2)
	v_cmpx_ne_u32_e32 0x80, v12
	s_cbranch_execz .LBB4_1207
; %bb.1202:                             ;   in Loop: Header=BB4_356 Depth=4
	v_bfe_u32 v13, v10, 24, 7
	v_mov_b32_e32 v8, 0x7f800001
	s_mov_b32 s74, exec_lo
	s_delay_alu instid0(VALU_DEP_2)
	v_cmpx_ne_u32_e32 0x7f, v13
	s_cbranch_execz .LBB4_1206
; %bb.1203:                             ;   in Loop: Header=BB4_356 Depth=4
	v_dual_lshrrev_b32 v8, 3, v13 :: v_dual_bitop2_b32 v2, 7, v12 bitop3:0x40
	s_mov_b32 s75, exec_lo
	v_cmpx_gt_u32_e32 8, v13
; %bb.1204:                             ;   in Loop: Header=BB4_356 Depth=4
	s_delay_alu instid0(VALU_DEP_2) | instskip(NEXT) | instid1(VALU_DEP_1)
	v_clz_i32_u32_e32 v8, v2
	v_min_u32_e32 v8, 32, v8
	s_delay_alu instid0(VALU_DEP_1) | instskip(SKIP_1) | instid1(VALU_DEP_2)
	v_subrev_nc_u32_e32 v13, 28, v8
	v_sub_nc_u32_e32 v8, 29, v8
	v_lshlrev_b64_e32 v[24:25], v13, v[2:3]
	s_delay_alu instid0(VALU_DEP_1)
	v_and_b32_e32 v2, 7, v24
; %bb.1205:                             ;   in Loop: Header=BB4_356 Depth=4
	s_or_b32 exec_lo, exec_lo, s75
	s_delay_alu instid0(VALU_DEP_1) | instskip(SKIP_1) | instid1(VALU_DEP_2)
	v_dual_lshlrev_b32 v12, 24, v12 :: v_dual_lshlrev_b32 v2, 20, v2
	v_lshl_add_u32 v8, v8, 23, 0x3c000000
	v_and_b32_e32 v12, 0x80000000, v12
	s_delay_alu instid0(VALU_DEP_1)
	v_or3_b32 v8, v2, v12, v8
.LBB4_1206:                             ;   in Loop: Header=BB4_356 Depth=4
	s_or_b32 exec_lo, exec_lo, s74
.LBB4_1207:                             ;   in Loop: Header=BB4_356 Depth=4
	s_delay_alu instid0(SALU_CYCLE_1)
	s_or_b32 exec_lo, exec_lo, s73
.LBB4_1208:                             ;   in Loop: Header=BB4_356 Depth=4
	s_delay_alu instid0(SALU_CYCLE_1) | instskip(NEXT) | instid1(VALU_DEP_1)
	s_or_b32 exec_lo, exec_lo, s13
	v_add_f32_e32 v8, v9, v8
                                        ; implicit-def: $vgpr27
	s_mov_b32 s13, exec_lo
	s_delay_alu instid0(VALU_DEP_1) | instskip(SKIP_1) | instid1(VALU_DEP_2)
	v_and_b32_e32 v2, 0x7f800000, v8
	v_lshrrev_b32_e32 v9, 24, v8
	v_cmpx_ne_u64_e32 0x7f800000, v[2:3]
	s_xor_b32 s73, exec_lo, s13
	s_cbranch_execz .LBB4_1222
; %bb.1209:                             ;   in Loop: Header=BB4_356 Depth=4
	v_and_b32_e32 v2, 0x7fffffff, v8
	v_and_b32_e32 v28, 0x80, v9
                                        ; implicit-def: $vgpr27
	s_mov_b32 s13, exec_lo
	s_delay_alu instid0(VALU_DEP_2)
	v_cmpx_gt_u64_e32 0x43e00001, v[2:3]
	s_xor_b32 s74, exec_lo, s13
	s_cbranch_execz .LBB4_1219
; %bb.1210:                             ;   in Loop: Header=BB4_356 Depth=4
	v_mov_b32_e32 v27, 0
	s_mov_b32 s75, exec_lo
	v_cmpx_ne_u32_e32 0, v8
	s_cbranch_execz .LBB4_1218
; %bb.1211:                             ;   in Loop: Header=BB4_356 Depth=4
	v_bfe_u32 v24, v8, 23, 8
	v_and_b32_e32 v2, 0x7fffff, v8
	s_delay_alu instid0(VALU_DEP_2) | instskip(SKIP_2) | instid1(VALU_DEP_4)
	v_cmp_gt_u32_e64 s13, 0x7a, v24
	v_sub_nc_u32_e32 v8, 0x79, v24
	v_cmp_eq_u32_e32 vcc_lo, 0, v24
	v_or_b32_e32 v9, 0x800000, v2
	s_delay_alu instid0(VALU_DEP_1) | instskip(NEXT) | instid1(VALU_DEP_1)
	v_dual_cndmask_b32 v8, 0, v8, s13 :: v_dual_cndmask_b32 v2, v9, v2, vcc_lo
	v_cndmask_b32_e64 v25, v8, 0x78, vcc_lo
	s_delay_alu instid0(VALU_DEP_1) | instskip(NEXT) | instid1(VALU_DEP_1)
	v_dual_add_nc_u32 v8, 20, v25 :: v_dual_add_nc_u32 v12, 19, v25
	v_lshlrev_b64_e64 v[8:9], v8, -1
	s_delay_alu instid0(VALU_DEP_2) | instskip(NEXT) | instid1(VALU_DEP_2)
	v_lshlrev_b64_e64 v[12:13], v12, 1
	v_bfi_b32 v9, v9, 0, 0
	s_delay_alu instid0(VALU_DEP_3) | instskip(NEXT) | instid1(VALU_DEP_1)
	v_bfi_b32 v8, v8, 0, v2
	v_cmp_eq_u64_e64 s13, v[8:9], v[12:13]
	v_lshrrev_b64 v[8:9], v25, v[2:3]
	s_delay_alu instid0(VALU_DEP_1)
	v_mov_b64_e32 v[12:13], v[8:9]
	s_and_saveexec_b32 s76, s13
; %bb.1212:                             ;   in Loop: Header=BB4_356 Depth=4
	v_bfe_u32 v2, v8, 20, 1
	s_delay_alu instid0(VALU_DEP_1) | instskip(NEXT) | instid1(VALU_DEP_1)
	v_add_nc_u64_e32 v[12:13], v[8:9], v[2:3]
	v_add_nc_u64_e32 v[12:13], -1, v[12:13]
; %bb.1213:                             ;   in Loop: Header=BB4_356 Depth=4
	s_or_b32 exec_lo, exec_lo, s76
	v_add_nc_u32_e32 v2, 0xffffff81, v24
	v_lshrrev_b32_e32 v9, 23, v8
	s_mov_b32 s13, exec_lo
	s_delay_alu instid0(VALU_DEP_2) | instskip(NEXT) | instid1(VALU_DEP_1)
	v_cndmask_b32_e64 v2, v2, 0xffffff82, vcc_lo
	v_add3_u32 v13, v25, v2, v9
	v_and_b32_e32 v2, 0xfffff, v12
                                        ; implicit-def: $vgpr12
	s_delay_alu instid0(VALU_DEP_1) | instskip(NEXT) | instid1(VALU_DEP_1)
	v_dual_add_nc_u32 v24, 6, v13 :: v_dual_add_nc_u32 v2, v2, v8
                                        ; implicit-def: $vgpr8_vgpr9
	v_cmpx_ne_u32_e32 0, v24
	s_xor_b32 s13, exec_lo, s13
; %bb.1214:                             ;   in Loop: Header=BB4_356 Depth=4
	s_delay_alu instid0(VALU_DEP_2) | instskip(SKIP_1) | instid1(VALU_DEP_1)
	v_cmp_lt_u64_e32 vcc_lo, 0xffffff, v[2:3]
	v_add_nc_u32_e32 v8, 7, v13
	v_cndmask_b32_e32 v12, v24, v8, vcc_lo
	v_cndmask_b32_e64 v8, 0, 1, vcc_lo
	s_delay_alu instid0(VALU_DEP_1)
	v_lshrrev_b64 v[8:9], v8, v[2:3]
; %bb.1215:                             ;   in Loop: Header=BB4_356 Depth=4
	s_and_not1_saveexec_b32 s13, s13
; %bb.1216:                             ;   in Loop: Header=BB4_356 Depth=4
	v_mov_b64_e32 v[8:9], v[2:3]
	v_bfe_u32 v12, v2, 23, 1
; %bb.1217:                             ;   in Loop: Header=BB4_356 Depth=4
	s_or_b32 exec_lo, exec_lo, s13
	s_delay_alu instid0(VALU_DEP_2) | instskip(NEXT) | instid1(VALU_DEP_2)
	v_lshrrev_b64 v[8:9], 20, v[8:9]
	v_cmp_gt_i32_e32 vcc_lo, 16, v12
	v_min_i32_e32 v2, 15, v12
	v_cmp_eq_u32_e64 s13, 0, v12
	s_delay_alu instid0(VALU_DEP_2) | instskip(SKIP_1) | instid1(VALU_DEP_2)
	v_dual_cndmask_b32 v9, 0, v9 :: v_dual_lshlrev_b32 v2, 3, v2
	v_cndmask_b32_e32 v8, 7, v8, vcc_lo
	v_and_b32_e32 v2, 0xf8, v2
	s_delay_alu instid0(VALU_DEP_2) | instskip(NEXT) | instid1(VALU_DEP_2)
	v_cmp_eq_u64_e32 vcc_lo, 0, v[8:9]
	v_and_or_b32 v2, v8, 7, v2
	s_and_b32 s13, s13, vcc_lo
	s_delay_alu instid0(VALU_DEP_1) | instid1(SALU_CYCLE_1)
	v_cndmask_b32_e64 v2, v2, 0, s13
	s_delay_alu instid0(VALU_DEP_1)
	v_or_b32_e32 v27, v2, v28
.LBB4_1218:                             ;   in Loop: Header=BB4_356 Depth=4
	s_or_b32 exec_lo, exec_lo, s75
                                        ; implicit-def: $vgpr28
.LBB4_1219:                             ;   in Loop: Header=BB4_356 Depth=4
	s_and_not1_saveexec_b32 s13, s74
; %bb.1220:                             ;   in Loop: Header=BB4_356 Depth=4
	v_or_b32_e32 v27, 0x7e, v28
; %bb.1221:                             ;   in Loop: Header=BB4_356 Depth=4
	s_or_b32 exec_lo, exec_lo, s13
                                        ; implicit-def: $vgpr9
.LBB4_1222:                             ;   in Loop: Header=BB4_356 Depth=4
	s_and_not1_saveexec_b32 s13, s73
; %bb.1223:                             ;   in Loop: Header=BB4_356 Depth=4
	v_or_b32_e32 v27, 0x7f, v9
; %bb.1224:                             ;   in Loop: Header=BB4_356 Depth=4
	s_or_b32 exec_lo, exec_lo, s13
	v_and_b32_e32 v12, 0xff, v15
	v_dual_mov_b32 v2, v15 :: v_dual_mov_b32 v9, 0
	v_mov_b32_e32 v8, 0
	s_mov_b32 s13, exec_lo
	s_delay_alu instid0(VALU_DEP_3)
	v_cmpx_ne_u16_e32 0, v12
	s_cbranch_execz .LBB4_1230
; %bb.1225:                             ;   in Loop: Header=BB4_356 Depth=4
	v_bfrev_b32_e32 v8, 1
	s_mov_b32 s73, exec_lo
	v_cmpx_ne_u16_e32 0x80, v12
	s_cbranch_execz .LBB4_1229
; %bb.1226:                             ;   in Loop: Header=BB4_356 Depth=4
	v_and_b32_e32 v12, 0x7f, v15
	v_mov_b32_e32 v8, 0x7f800001
	s_mov_b32 s74, exec_lo
	s_delay_alu instid0(VALU_DEP_2)
	v_cmpx_ne_u32_e32 0x7f, v12
	s_cbranch_execz .LBB4_1228
; %bb.1227:                             ;   in Loop: Header=BB4_356 Depth=4
	v_dual_lshrrev_b32 v13, 3, v12 :: v_dual_bitop2_b32 v8, 7, v15 bitop3:0x40
	v_cmp_gt_u32_e32 vcc_lo, 8, v12
	s_delay_alu instid0(VALU_DEP_2) | instskip(NEXT) | instid1(VALU_DEP_1)
	v_clz_i32_u32_e32 v8, v8
	v_min_u32_e32 v8, 32, v8
	s_delay_alu instid0(VALU_DEP_1) | instskip(SKIP_1) | instid1(VALU_DEP_2)
	v_subrev_nc_u32_e32 v24, 28, v8
	v_sub_nc_u32_e32 v8, 29, v8
	v_cndmask_b32_e32 v12, 0, v24, vcc_lo
	s_delay_alu instid0(VALU_DEP_2) | instskip(NEXT) | instid1(VALU_DEP_2)
	v_cndmask_b32_e32 v8, v13, v8, vcc_lo
	v_lshlrev_b64_e32 v[12:13], v12, v[2:3]
	v_lshlrev_b32_e32 v13, 24, v2
	s_delay_alu instid0(VALU_DEP_3) | instskip(NEXT) | instid1(VALU_DEP_2)
	v_lshl_add_u32 v8, v8, 23, 0x3c000000
	v_and_b32_e32 v13, 0x80000000, v13
	s_delay_alu instid0(VALU_DEP_4) | instskip(NEXT) | instid1(VALU_DEP_1)
	v_lshlrev_b32_e32 v12, 20, v12
	v_and_b32_e32 v12, 0x700000, v12
	s_delay_alu instid0(VALU_DEP_1)
	v_or3_b32 v8, v12, v13, v8
.LBB4_1228:                             ;   in Loop: Header=BB4_356 Depth=4
	s_or_b32 exec_lo, exec_lo, s74
.LBB4_1229:                             ;   in Loop: Header=BB4_356 Depth=4
	s_delay_alu instid0(SALU_CYCLE_1)
	s_or_b32 exec_lo, exec_lo, s73
.LBB4_1230:                             ;   in Loop: Header=BB4_356 Depth=4
	s_delay_alu instid0(SALU_CYCLE_1) | instskip(SKIP_2) | instid1(VALU_DEP_1)
	s_or_b32 exec_lo, exec_lo, s13
	v_and_b32_e32 v12, 0xff, v11
	s_mov_b32 s13, exec_lo
	v_cmpx_ne_u16_e32 0, v12
	s_cbranch_execz .LBB4_1236
; %bb.1231:                             ;   in Loop: Header=BB4_356 Depth=4
	v_bfrev_b32_e32 v9, 1
	s_mov_b32 s73, exec_lo
	v_cmpx_ne_u16_e32 0x80, v12
	s_cbranch_execz .LBB4_1235
; %bb.1232:                             ;   in Loop: Header=BB4_356 Depth=4
	v_and_b32_e32 v12, 0x7f, v11
	v_mov_b32_e32 v9, 0x7f800001
	s_mov_b32 s74, exec_lo
	s_delay_alu instid0(VALU_DEP_2)
	v_cmpx_ne_u32_e32 0x7f, v12
	s_cbranch_execz .LBB4_1234
; %bb.1233:                             ;   in Loop: Header=BB4_356 Depth=4
	v_dual_lshrrev_b32 v24, 3, v12 :: v_dual_bitop2_b32 v9, 7, v11 bitop3:0x40
	v_cmp_gt_u32_e32 vcc_lo, 8, v12
	v_mov_b32_e32 v12, v11
	s_delay_alu instid0(VALU_DEP_3) | instskip(NEXT) | instid1(VALU_DEP_1)
	v_clz_i32_u32_e32 v9, v9
	v_min_u32_e32 v9, 32, v9
	s_delay_alu instid0(VALU_DEP_1) | instskip(SKIP_1) | instid1(VALU_DEP_2)
	v_sub_nc_u32_e32 v25, 29, v9
	v_subrev_nc_u32_e32 v9, 28, v9
	v_dual_mov_b32 v13, v3 :: v_dual_cndmask_b32 v28, v24, v25
	s_delay_alu instid0(VALU_DEP_2) | instskip(NEXT) | instid1(VALU_DEP_1)
	v_cndmask_b32_e32 v9, 0, v9, vcc_lo
	v_lshlrev_b64_e32 v[24:25], v9, v[12:13]
	v_lshlrev_b32_e32 v9, 24, v12
	s_delay_alu instid0(VALU_DEP_4) | instskip(NEXT) | instid1(VALU_DEP_2)
	v_lshl_add_u32 v13, v28, 23, 0x3c000000
	v_and_b32_e32 v9, 0x80000000, v9
	s_delay_alu instid0(VALU_DEP_4) | instskip(NEXT) | instid1(VALU_DEP_1)
	v_lshlrev_b32_e32 v12, 20, v24
	v_and_b32_e32 v12, 0x700000, v12
	s_delay_alu instid0(VALU_DEP_1)
	v_or3_b32 v9, v12, v9, v13
.LBB4_1234:                             ;   in Loop: Header=BB4_356 Depth=4
	s_or_b32 exec_lo, exec_lo, s74
.LBB4_1235:                             ;   in Loop: Header=BB4_356 Depth=4
	s_delay_alu instid0(SALU_CYCLE_1)
	s_or_b32 exec_lo, exec_lo, s73
.LBB4_1236:                             ;   in Loop: Header=BB4_356 Depth=4
	s_delay_alu instid0(SALU_CYCLE_1) | instskip(NEXT) | instid1(VALU_DEP_1)
	s_or_b32 exec_lo, exec_lo, s13
	v_dual_add_f32 v8, v8, v9 :: v_dual_mov_b32 v13, v3
                                        ; implicit-def: $vgpr88
	s_mov_b32 s13, exec_lo
	s_delay_alu instid0(VALU_DEP_1) | instskip(SKIP_1) | instid1(VALU_DEP_2)
	v_and_b32_e32 v12, 0x7f800000, v8
	v_lshrrev_b32_e32 v9, 24, v8
	v_cmpx_ne_u64_e32 0x7f800000, v[12:13]
	s_xor_b32 s73, exec_lo, s13
	s_cbranch_execz .LBB4_1250
; %bb.1237:                             ;   in Loop: Header=BB4_356 Depth=4
	v_and_b32_e32 v12, 0x7fffffff, v8
	v_mov_b32_e32 v13, v3
	v_and_b32_e32 v28, 0x80, v9
                                        ; implicit-def: $vgpr88
	s_mov_b32 s13, exec_lo
	s_delay_alu instid0(VALU_DEP_2)
	v_cmpx_gt_u64_e32 0x43e00001, v[12:13]
	s_xor_b32 s74, exec_lo, s13
	s_cbranch_execz .LBB4_1247
; %bb.1238:                             ;   in Loop: Header=BB4_356 Depth=4
	v_mov_b32_e32 v88, 0
	s_mov_b32 s75, exec_lo
	v_cmpx_ne_u32_e32 0, v8
	s_cbranch_execz .LBB4_1246
; %bb.1239:                             ;   in Loop: Header=BB4_356 Depth=4
	v_bfe_u32 v29, v8, 23, 8
	v_and_b32_e32 v9, 0x7fffff, v8
	s_delay_alu instid0(VALU_DEP_2) | instskip(SKIP_2) | instid1(VALU_DEP_4)
	v_cmp_gt_u32_e64 s13, 0x7a, v29
	v_sub_nc_u32_e32 v8, 0x79, v29
	v_cmp_eq_u32_e32 vcc_lo, 0, v29
	v_or_b32_e32 v12, 0x800000, v9
	s_delay_alu instid0(VALU_DEP_3) | instskip(NEXT) | instid1(VALU_DEP_1)
	v_cndmask_b32_e64 v8, 0, v8, s13
	v_cndmask_b32_e64 v24, v8, 0x78, vcc_lo
	s_delay_alu instid0(VALU_DEP_3) | instskip(NEXT) | instid1(VALU_DEP_2)
	v_dual_cndmask_b32 v8, v12, v9 :: v_dual_mov_b32 v9, v3
	v_dual_add_nc_u32 v12, 20, v24 :: v_dual_add_nc_u32 v25, 19, v24
	s_delay_alu instid0(VALU_DEP_1) | instskip(NEXT) | instid1(VALU_DEP_2)
	v_lshlrev_b64_e64 v[12:13], v12, -1
	v_lshlrev_b64_e64 v[68:69], v25, 1
	s_delay_alu instid0(VALU_DEP_2) | instskip(SKIP_1) | instid1(VALU_DEP_4)
	v_bfi_b32 v12, v12, 0, v8
	v_lshrrev_b64 v[8:9], v24, v[8:9]
	v_bfi_b32 v13, v13, 0, 0
	s_delay_alu instid0(VALU_DEP_1) | instskip(NEXT) | instid1(VALU_DEP_3)
	v_cmp_eq_u64_e64 s13, v[12:13], v[68:69]
	v_mov_b64_e32 v[12:13], v[8:9]
	s_and_saveexec_b32 s76, s13
; %bb.1240:                             ;   in Loop: Header=BB4_356 Depth=4
	v_bfe_u32 v12, v8, 20, 1
	v_mov_b32_e32 v13, v3
	s_delay_alu instid0(VALU_DEP_1) | instskip(NEXT) | instid1(VALU_DEP_1)
	v_add_nc_u64_e32 v[12:13], v[8:9], v[12:13]
	v_add_nc_u64_e32 v[12:13], -1, v[12:13]
; %bb.1241:                             ;   in Loop: Header=BB4_356 Depth=4
	s_or_b32 exec_lo, exec_lo, s76
	v_add_nc_u32_e32 v9, 0xffffff81, v29
	v_lshrrev_b32_e32 v13, 23, v8
	s_mov_b32 s13, exec_lo
	s_delay_alu instid0(VALU_DEP_2) | instskip(NEXT) | instid1(VALU_DEP_1)
	v_cndmask_b32_e64 v9, v9, 0xffffff82, vcc_lo
	v_add3_u32 v13, v24, v9, v13
	v_and_b32_e32 v9, 0xfffff, v12
                                        ; implicit-def: $vgpr12
	s_delay_alu instid0(VALU_DEP_1) | instskip(SKIP_1) | instid1(VALU_DEP_2)
	v_dual_add_nc_u32 v24, 6, v13 :: v_dual_add_nc_u32 v8, v9, v8
	v_mov_b32_e32 v9, v3
	v_cmpx_ne_u32_e32 0, v24
	s_xor_b32 s13, exec_lo, s13
; %bb.1242:                             ;   in Loop: Header=BB4_356 Depth=4
	s_delay_alu instid0(VALU_DEP_2) | instskip(SKIP_2) | instid1(VALU_DEP_2)
	v_cmp_lt_u64_e32 vcc_lo, 0xffffff, v[8:9]
	v_add_nc_u32_e32 v12, 7, v13
	v_cndmask_b32_e64 v13, 0, 1, vcc_lo
	v_cndmask_b32_e32 v12, v24, v12, vcc_lo
	s_delay_alu instid0(VALU_DEP_2)
	v_lshrrev_b64 v[8:9], v13, v[8:9]
; %bb.1243:                             ;   in Loop: Header=BB4_356 Depth=4
	s_and_not1_saveexec_b32 s13, s13
; %bb.1244:                             ;   in Loop: Header=BB4_356 Depth=4
	s_delay_alu instid0(VALU_DEP_1)
	v_bfe_u32 v12, v8, 23, 1
; %bb.1245:                             ;   in Loop: Header=BB4_356 Depth=4
	s_or_b32 exec_lo, exec_lo, s13
	s_delay_alu instid0(VALU_DEP_2) | instskip(NEXT) | instid1(VALU_DEP_2)
	v_lshrrev_b64 v[8:9], 20, v[8:9]
	v_cmp_gt_i32_e32 vcc_lo, 16, v12
	v_min_i32_e32 v13, 15, v12
	v_cmp_eq_u32_e64 s13, 0, v12
	s_delay_alu instid0(VALU_DEP_4) | instskip(NEXT) | instid1(VALU_DEP_3)
	v_cndmask_b32_e32 v9, 0, v9, vcc_lo
	v_dual_cndmask_b32 v8, 7, v8 :: v_dual_lshlrev_b32 v13, 3, v13
	s_delay_alu instid0(VALU_DEP_1) | instskip(NEXT) | instid1(VALU_DEP_2)
	v_and_b32_e32 v13, 0xf8, v13
	v_cmp_eq_u64_e32 vcc_lo, 0, v[8:9]
	s_delay_alu instid0(VALU_DEP_2)
	v_and_or_b32 v8, v8, 7, v13
	s_and_b32 s13, s13, vcc_lo
	s_delay_alu instid0(VALU_DEP_1) | instid1(SALU_CYCLE_1)
	v_cndmask_b32_e64 v8, v8, 0, s13
	s_delay_alu instid0(VALU_DEP_1)
	v_or_b32_e32 v88, v8, v28
.LBB4_1246:                             ;   in Loop: Header=BB4_356 Depth=4
	s_or_b32 exec_lo, exec_lo, s75
                                        ; implicit-def: $vgpr28
.LBB4_1247:                             ;   in Loop: Header=BB4_356 Depth=4
	s_and_not1_saveexec_b32 s13, s74
; %bb.1248:                             ;   in Loop: Header=BB4_356 Depth=4
	v_or_b32_e32 v88, 0x7e, v28
; %bb.1249:                             ;   in Loop: Header=BB4_356 Depth=4
	s_or_b32 exec_lo, exec_lo, s13
                                        ; implicit-def: $vgpr9
.LBB4_1250:                             ;   in Loop: Header=BB4_356 Depth=4
	s_and_not1_saveexec_b32 s13, s73
; %bb.1251:                             ;   in Loop: Header=BB4_356 Depth=4
	v_or_b32_e32 v88, 0x7f, v9
; %bb.1252:                             ;   in Loop: Header=BB4_356 Depth=4
	s_or_b32 exec_lo, exec_lo, s13
	v_lshrrev_b16 v9, 8, v2
	v_dual_mov_b32 v12, 0 :: v_dual_mov_b32 v8, 0
	s_mov_b32 s13, exec_lo
	s_delay_alu instid0(VALU_DEP_2)
	v_cmpx_ne_u16_e32 0, v9
	s_cbranch_execz .LBB4_1260
; %bb.1253:                             ;   in Loop: Header=BB4_356 Depth=4
	v_bfrev_b32_e32 v8, 1
	s_mov_b32 s73, exec_lo
	v_cmpx_ne_u16_e32 0x80, v9
	s_cbranch_execz .LBB4_1259
; %bb.1254:                             ;   in Loop: Header=BB4_356 Depth=4
	v_and_b32_e32 v9, 0xffff, v9
	v_mov_b32_e32 v8, 0x7f800001
	s_mov_b32 s74, exec_lo
	s_delay_alu instid0(VALU_DEP_2) | instskip(NEXT) | instid1(VALU_DEP_1)
	v_and_b32_e32 v24, 0x7f, v9
	v_cmpx_ne_u32_e32 0x7f, v24
	s_cbranch_execz .LBB4_1258
; %bb.1255:                             ;   in Loop: Header=BB4_356 Depth=4
	v_dual_mov_b32 v9, v3 :: v_dual_bitop2_b32 v8, 7, v9 bitop3:0x40
	v_lshrrev_b32_e32 v13, 3, v24
	s_mov_b32 s75, exec_lo
	v_cmpx_gt_u32_e32 8, v24
; %bb.1256:                             ;   in Loop: Header=BB4_356 Depth=4
	s_delay_alu instid0(VALU_DEP_3) | instskip(NEXT) | instid1(VALU_DEP_1)
	v_clz_i32_u32_e32 v13, v8
	v_min_u32_e32 v13, 32, v13
	s_delay_alu instid0(VALU_DEP_1) | instskip(NEXT) | instid1(VALU_DEP_1)
	v_subrev_nc_u32_e32 v24, 28, v13
	v_lshlrev_b64_e32 v[8:9], v24, v[8:9]
	s_delay_alu instid0(VALU_DEP_1)
	v_dual_sub_nc_u32 v13, 29, v13 :: v_dual_bitop2_b32 v8, 7, v8 bitop3:0x40
; %bb.1257:                             ;   in Loop: Header=BB4_356 Depth=4
	s_or_b32 exec_lo, exec_lo, s75
	s_delay_alu instid0(VALU_DEP_1) | instskip(NEXT) | instid1(VALU_DEP_2)
	v_dual_lshlrev_b32 v2, 16, v2 :: v_dual_lshlrev_b32 v8, 20, v8
	v_lshl_add_u32 v9, v13, 23, 0x3c000000
	s_delay_alu instid0(VALU_DEP_2) | instskip(NEXT) | instid1(VALU_DEP_1)
	v_and_b32_e32 v2, 0x80000000, v2
	v_or3_b32 v8, v8, v2, v9
.LBB4_1258:                             ;   in Loop: Header=BB4_356 Depth=4
	s_or_b32 exec_lo, exec_lo, s74
.LBB4_1259:                             ;   in Loop: Header=BB4_356 Depth=4
	s_delay_alu instid0(SALU_CYCLE_1)
	s_or_b32 exec_lo, exec_lo, s73
.LBB4_1260:                             ;   in Loop: Header=BB4_356 Depth=4
	s_delay_alu instid0(SALU_CYCLE_1) | instskip(SKIP_2) | instid1(VALU_DEP_1)
	s_or_b32 exec_lo, exec_lo, s13
	v_lshrrev_b16 v2, 8, v11
	s_mov_b32 s13, exec_lo
	v_cmpx_ne_u16_e32 0, v2
	s_cbranch_execz .LBB4_1268
; %bb.1261:                             ;   in Loop: Header=BB4_356 Depth=4
	v_bfrev_b32_e32 v12, 1
	s_mov_b32 s73, exec_lo
	v_cmpx_ne_u16_e32 0x80, v2
	s_cbranch_execz .LBB4_1267
; %bb.1262:                             ;   in Loop: Header=BB4_356 Depth=4
	v_and_b32_e32 v2, 0xffff, v2
	v_mov_b32_e32 v12, 0x7f800001
	s_mov_b32 s74, exec_lo
	s_delay_alu instid0(VALU_DEP_2) | instskip(NEXT) | instid1(VALU_DEP_1)
	v_and_b32_e32 v13, 0x7f, v2
	v_cmpx_ne_u32_e32 0x7f, v13
	s_cbranch_execz .LBB4_1266
; %bb.1263:                             ;   in Loop: Header=BB4_356 Depth=4
	v_dual_lshrrev_b32 v9, 3, v13 :: v_dual_bitop2_b32 v2, 7, v2 bitop3:0x40
	s_mov_b32 s75, exec_lo
	v_cmpx_gt_u32_e32 8, v13
; %bb.1264:                             ;   in Loop: Header=BB4_356 Depth=4
	s_delay_alu instid0(VALU_DEP_2) | instskip(NEXT) | instid1(VALU_DEP_1)
	v_clz_i32_u32_e32 v9, v2
	v_min_u32_e32 v9, 32, v9
	s_delay_alu instid0(VALU_DEP_1) | instskip(NEXT) | instid1(VALU_DEP_1)
	v_subrev_nc_u32_e32 v12, 28, v9
	v_lshlrev_b64_e32 v[12:13], v12, v[2:3]
	s_delay_alu instid0(VALU_DEP_1)
	v_dual_sub_nc_u32 v9, 29, v9 :: v_dual_bitop2_b32 v2, 7, v12 bitop3:0x40
; %bb.1265:                             ;   in Loop: Header=BB4_356 Depth=4
	s_or_b32 exec_lo, exec_lo, s75
	s_delay_alu instid0(VALU_DEP_1) | instskip(NEXT) | instid1(VALU_DEP_2)
	v_dual_lshlrev_b32 v12, 16, v11 :: v_dual_lshlrev_b32 v2, 20, v2
	v_lshl_add_u32 v9, v9, 23, 0x3c000000
	s_delay_alu instid0(VALU_DEP_2) | instskip(NEXT) | instid1(VALU_DEP_1)
	v_and_b32_e32 v12, 0x80000000, v12
	v_or3_b32 v12, v2, v12, v9
.LBB4_1266:                             ;   in Loop: Header=BB4_356 Depth=4
	s_or_b32 exec_lo, exec_lo, s74
.LBB4_1267:                             ;   in Loop: Header=BB4_356 Depth=4
	s_delay_alu instid0(SALU_CYCLE_1)
	s_or_b32 exec_lo, exec_lo, s73
.LBB4_1268:                             ;   in Loop: Header=BB4_356 Depth=4
	s_delay_alu instid0(SALU_CYCLE_1) | instskip(NEXT) | instid1(VALU_DEP_1)
	s_or_b32 exec_lo, exec_lo, s13
	v_add_f32_e32 v8, v8, v12
                                        ; implicit-def: $vgpr28
	s_mov_b32 s13, exec_lo
	s_delay_alu instid0(VALU_DEP_1) | instskip(SKIP_1) | instid1(VALU_DEP_2)
	v_and_b32_e32 v2, 0x7f800000, v8
	v_lshrrev_b32_e32 v9, 24, v8
	v_cmpx_ne_u64_e32 0x7f800000, v[2:3]
	s_xor_b32 s73, exec_lo, s13
	s_cbranch_execz .LBB4_1282
; %bb.1269:                             ;   in Loop: Header=BB4_356 Depth=4
	v_and_b32_e32 v2, 0x7fffffff, v8
	v_and_b32_e32 v29, 0x80, v9
                                        ; implicit-def: $vgpr28
	s_mov_b32 s13, exec_lo
	s_delay_alu instid0(VALU_DEP_2)
	v_cmpx_gt_u64_e32 0x43e00001, v[2:3]
	s_xor_b32 s74, exec_lo, s13
	s_cbranch_execz .LBB4_1279
; %bb.1270:                             ;   in Loop: Header=BB4_356 Depth=4
	v_mov_b32_e32 v28, 0
	s_mov_b32 s75, exec_lo
	v_cmpx_ne_u32_e32 0, v8
	s_cbranch_execz .LBB4_1278
; %bb.1271:                             ;   in Loop: Header=BB4_356 Depth=4
	v_bfe_u32 v24, v8, 23, 8
	v_and_b32_e32 v2, 0x7fffff, v8
	s_delay_alu instid0(VALU_DEP_2) | instskip(SKIP_2) | instid1(VALU_DEP_4)
	v_cmp_gt_u32_e64 s13, 0x7a, v24
	v_sub_nc_u32_e32 v8, 0x79, v24
	v_cmp_eq_u32_e32 vcc_lo, 0, v24
	v_or_b32_e32 v9, 0x800000, v2
	s_delay_alu instid0(VALU_DEP_1) | instskip(NEXT) | instid1(VALU_DEP_1)
	v_dual_cndmask_b32 v8, 0, v8, s13 :: v_dual_cndmask_b32 v2, v9, v2, vcc_lo
	v_cndmask_b32_e64 v25, v8, 0x78, vcc_lo
	s_delay_alu instid0(VALU_DEP_1) | instskip(NEXT) | instid1(VALU_DEP_1)
	v_dual_add_nc_u32 v8, 20, v25 :: v_dual_add_nc_u32 v12, 19, v25
	v_lshlrev_b64_e64 v[8:9], v8, -1
	s_delay_alu instid0(VALU_DEP_2) | instskip(NEXT) | instid1(VALU_DEP_2)
	v_lshlrev_b64_e64 v[12:13], v12, 1
	v_bfi_b32 v9, v9, 0, 0
	s_delay_alu instid0(VALU_DEP_3) | instskip(NEXT) | instid1(VALU_DEP_1)
	v_bfi_b32 v8, v8, 0, v2
	v_cmp_eq_u64_e64 s13, v[8:9], v[12:13]
	v_lshrrev_b64 v[8:9], v25, v[2:3]
	s_delay_alu instid0(VALU_DEP_1)
	v_mov_b64_e32 v[12:13], v[8:9]
	s_and_saveexec_b32 s76, s13
; %bb.1272:                             ;   in Loop: Header=BB4_356 Depth=4
	v_bfe_u32 v2, v8, 20, 1
	s_delay_alu instid0(VALU_DEP_1) | instskip(NEXT) | instid1(VALU_DEP_1)
	v_add_nc_u64_e32 v[12:13], v[8:9], v[2:3]
	v_add_nc_u64_e32 v[12:13], -1, v[12:13]
; %bb.1273:                             ;   in Loop: Header=BB4_356 Depth=4
	s_or_b32 exec_lo, exec_lo, s76
	v_add_nc_u32_e32 v2, 0xffffff81, v24
	v_lshrrev_b32_e32 v9, 23, v8
	s_mov_b32 s13, exec_lo
	s_delay_alu instid0(VALU_DEP_2) | instskip(NEXT) | instid1(VALU_DEP_1)
	v_cndmask_b32_e64 v2, v2, 0xffffff82, vcc_lo
	v_add3_u32 v13, v25, v2, v9
	v_and_b32_e32 v2, 0xfffff, v12
                                        ; implicit-def: $vgpr12
	s_delay_alu instid0(VALU_DEP_1) | instskip(NEXT) | instid1(VALU_DEP_1)
	v_dual_add_nc_u32 v24, 6, v13 :: v_dual_add_nc_u32 v2, v2, v8
                                        ; implicit-def: $vgpr8_vgpr9
	v_cmpx_ne_u32_e32 0, v24
	s_xor_b32 s13, exec_lo, s13
; %bb.1274:                             ;   in Loop: Header=BB4_356 Depth=4
	s_delay_alu instid0(VALU_DEP_2) | instskip(SKIP_1) | instid1(VALU_DEP_1)
	v_cmp_lt_u64_e32 vcc_lo, 0xffffff, v[2:3]
	v_add_nc_u32_e32 v8, 7, v13
	v_cndmask_b32_e32 v12, v24, v8, vcc_lo
	v_cndmask_b32_e64 v8, 0, 1, vcc_lo
	s_delay_alu instid0(VALU_DEP_1)
	v_lshrrev_b64 v[8:9], v8, v[2:3]
; %bb.1275:                             ;   in Loop: Header=BB4_356 Depth=4
	s_and_not1_saveexec_b32 s13, s13
; %bb.1276:                             ;   in Loop: Header=BB4_356 Depth=4
	v_mov_b64_e32 v[8:9], v[2:3]
	v_bfe_u32 v12, v2, 23, 1
; %bb.1277:                             ;   in Loop: Header=BB4_356 Depth=4
	s_or_b32 exec_lo, exec_lo, s13
	s_delay_alu instid0(VALU_DEP_2) | instskip(NEXT) | instid1(VALU_DEP_2)
	v_lshrrev_b64 v[8:9], 20, v[8:9]
	v_cmp_gt_i32_e32 vcc_lo, 16, v12
	v_min_i32_e32 v2, 15, v12
	v_cmp_eq_u32_e64 s13, 0, v12
	s_delay_alu instid0(VALU_DEP_2) | instskip(SKIP_1) | instid1(VALU_DEP_2)
	v_dual_cndmask_b32 v9, 0, v9 :: v_dual_lshlrev_b32 v2, 3, v2
	v_cndmask_b32_e32 v8, 7, v8, vcc_lo
	v_and_b32_e32 v2, 0xf8, v2
	s_delay_alu instid0(VALU_DEP_2) | instskip(NEXT) | instid1(VALU_DEP_2)
	v_cmp_eq_u64_e32 vcc_lo, 0, v[8:9]
	v_and_or_b32 v2, v8, 7, v2
	s_and_b32 s13, s13, vcc_lo
	s_delay_alu instid0(VALU_DEP_1) | instid1(SALU_CYCLE_1)
	v_cndmask_b32_e64 v2, v2, 0, s13
	s_delay_alu instid0(VALU_DEP_1)
	v_or_b32_e32 v28, v2, v29
.LBB4_1278:                             ;   in Loop: Header=BB4_356 Depth=4
	s_or_b32 exec_lo, exec_lo, s75
                                        ; implicit-def: $vgpr29
.LBB4_1279:                             ;   in Loop: Header=BB4_356 Depth=4
	s_and_not1_saveexec_b32 s13, s74
; %bb.1280:                             ;   in Loop: Header=BB4_356 Depth=4
	v_or_b32_e32 v28, 0x7e, v29
; %bb.1281:                             ;   in Loop: Header=BB4_356 Depth=4
	s_or_b32 exec_lo, exec_lo, s13
                                        ; implicit-def: $vgpr9
.LBB4_1282:                             ;   in Loop: Header=BB4_356 Depth=4
	s_and_not1_saveexec_b32 s13, s73
; %bb.1283:                             ;   in Loop: Header=BB4_356 Depth=4
	v_or_b32_e32 v28, 0x7f, v9
; %bb.1284:                             ;   in Loop: Header=BB4_356 Depth=4
	s_or_b32 exec_lo, exec_lo, s13
	v_dual_lshrrev_b32 v12, 16, v15 :: v_dual_mov_b32 v8, 0
	v_mov_b32_e32 v9, 0
	s_mov_b32 s13, exec_lo
	s_delay_alu instid0(VALU_DEP_2) | instskip(NEXT) | instid1(VALU_DEP_1)
	v_and_b32_e32 v2, 0xff, v12
	v_cmpx_ne_u16_e32 0, v2
	s_cbranch_execz .LBB4_1292
; %bb.1285:                             ;   in Loop: Header=BB4_356 Depth=4
	v_bfrev_b32_e32 v9, 1
	s_mov_b32 s73, exec_lo
	v_cmpx_ne_u16_e32 0x80, v2
	s_cbranch_execz .LBB4_1291
; %bb.1286:                             ;   in Loop: Header=BB4_356 Depth=4
	v_bfe_u32 v13, v15, 16, 7
	v_mov_b32_e32 v9, 0x7f800001
	s_mov_b32 s74, exec_lo
	s_delay_alu instid0(VALU_DEP_2)
	v_cmpx_ne_u32_e32 0x7f, v13
	s_cbranch_execz .LBB4_1290
; %bb.1287:                             ;   in Loop: Header=BB4_356 Depth=4
	v_dual_lshrrev_b32 v9, 3, v13 :: v_dual_bitop2_b32 v2, 7, v12 bitop3:0x40
	s_mov_b32 s75, exec_lo
	v_cmpx_gt_u32_e32 8, v13
; %bb.1288:                             ;   in Loop: Header=BB4_356 Depth=4
	s_delay_alu instid0(VALU_DEP_2) | instskip(NEXT) | instid1(VALU_DEP_1)
	v_clz_i32_u32_e32 v9, v2
	v_min_u32_e32 v9, 32, v9
	s_delay_alu instid0(VALU_DEP_1) | instskip(NEXT) | instid1(VALU_DEP_1)
	v_subrev_nc_u32_e32 v13, 28, v9
	v_lshlrev_b64_e32 v[24:25], v13, v[2:3]
	s_delay_alu instid0(VALU_DEP_1)
	v_dual_sub_nc_u32 v9, 29, v9 :: v_dual_bitop2_b32 v2, 7, v24 bitop3:0x40
; %bb.1289:                             ;   in Loop: Header=BB4_356 Depth=4
	s_or_b32 exec_lo, exec_lo, s75
	s_delay_alu instid0(VALU_DEP_1) | instskip(NEXT) | instid1(VALU_DEP_2)
	v_dual_lshlrev_b32 v12, 24, v12 :: v_dual_lshlrev_b32 v2, 20, v2
	v_lshl_add_u32 v9, v9, 23, 0x3c000000
	s_delay_alu instid0(VALU_DEP_2) | instskip(NEXT) | instid1(VALU_DEP_1)
	v_and_b32_e32 v12, 0x80000000, v12
	v_or3_b32 v9, v2, v12, v9
.LBB4_1290:                             ;   in Loop: Header=BB4_356 Depth=4
	s_or_b32 exec_lo, exec_lo, s74
.LBB4_1291:                             ;   in Loop: Header=BB4_356 Depth=4
	s_delay_alu instid0(SALU_CYCLE_1)
	s_or_b32 exec_lo, exec_lo, s73
.LBB4_1292:                             ;   in Loop: Header=BB4_356 Depth=4
	s_delay_alu instid0(SALU_CYCLE_1) | instskip(SKIP_2) | instid1(VALU_DEP_1)
	s_or_b32 exec_lo, exec_lo, s13
	v_lshrrev_b32_e32 v2, 16, v11
	s_mov_b32 s13, exec_lo
	v_and_b32_e32 v12, 0xff, v2
	s_delay_alu instid0(VALU_DEP_1)
	v_cmpx_ne_u16_e32 0, v12
	s_cbranch_execz .LBB4_1300
; %bb.1293:                             ;   in Loop: Header=BB4_356 Depth=4
	v_bfrev_b32_e32 v8, 1
	s_mov_b32 s73, exec_lo
	v_cmpx_ne_u16_e32 0x80, v12
	s_cbranch_execz .LBB4_1299
; %bb.1294:                             ;   in Loop: Header=BB4_356 Depth=4
	v_bfe_u32 v12, v11, 16, 7
	v_mov_b32_e32 v8, 0x7f800001
	s_mov_b32 s74, exec_lo
	s_delay_alu instid0(VALU_DEP_2)
	v_cmpx_ne_u32_e32 0x7f, v12
	s_cbranch_execz .LBB4_1298
; %bb.1295:                             ;   in Loop: Header=BB4_356 Depth=4
	v_dual_lshrrev_b32 v8, 3, v12 :: v_dual_bitop2_b32 v2, 7, v2 bitop3:0x40
	s_mov_b32 s75, exec_lo
	v_cmpx_gt_u32_e32 8, v12
; %bb.1296:                             ;   in Loop: Header=BB4_356 Depth=4
	s_delay_alu instid0(VALU_DEP_2) | instskip(NEXT) | instid1(VALU_DEP_1)
	v_clz_i32_u32_e32 v8, v2
	v_min_u32_e32 v8, 32, v8
	s_delay_alu instid0(VALU_DEP_1) | instskip(SKIP_1) | instid1(VALU_DEP_2)
	v_subrev_nc_u32_e32 v12, 28, v8
	v_sub_nc_u32_e32 v8, 29, v8
	v_lshlrev_b64_e32 v[12:13], v12, v[2:3]
	s_delay_alu instid0(VALU_DEP_1)
	v_and_b32_e32 v2, 7, v12
; %bb.1297:                             ;   in Loop: Header=BB4_356 Depth=4
	s_or_b32 exec_lo, exec_lo, s75
	s_delay_alu instid0(VALU_DEP_1) | instskip(SKIP_1) | instid1(VALU_DEP_2)
	v_dual_lshlrev_b32 v12, 8, v11 :: v_dual_lshlrev_b32 v2, 20, v2
	v_lshl_add_u32 v8, v8, 23, 0x3c000000
	v_and_b32_e32 v12, 0x80000000, v12
	s_delay_alu instid0(VALU_DEP_1)
	v_or3_b32 v8, v2, v12, v8
.LBB4_1298:                             ;   in Loop: Header=BB4_356 Depth=4
	s_or_b32 exec_lo, exec_lo, s74
.LBB4_1299:                             ;   in Loop: Header=BB4_356 Depth=4
	s_delay_alu instid0(SALU_CYCLE_1)
	s_or_b32 exec_lo, exec_lo, s73
.LBB4_1300:                             ;   in Loop: Header=BB4_356 Depth=4
	s_delay_alu instid0(SALU_CYCLE_1) | instskip(NEXT) | instid1(VALU_DEP_1)
	s_or_b32 exec_lo, exec_lo, s13
	v_add_f32_e32 v8, v9, v8
                                        ; implicit-def: $vgpr12
	s_mov_b32 s13, exec_lo
	s_delay_alu instid0(VALU_DEP_1) | instskip(SKIP_1) | instid1(VALU_DEP_2)
	v_and_b32_e32 v2, 0x7f800000, v8
	v_lshrrev_b32_e32 v9, 24, v8
	v_cmpx_ne_u64_e32 0x7f800000, v[2:3]
	s_xor_b32 s73, exec_lo, s13
	s_cbranch_execz .LBB4_1314
; %bb.1301:                             ;   in Loop: Header=BB4_356 Depth=4
	v_and_b32_e32 v2, 0x7fffffff, v8
	v_and_b32_e32 v29, 0x80, v9
                                        ; implicit-def: $vgpr12
	s_mov_b32 s13, exec_lo
	s_delay_alu instid0(VALU_DEP_2)
	v_cmpx_gt_u64_e32 0x43e00001, v[2:3]
	s_xor_b32 s74, exec_lo, s13
	s_cbranch_execz .LBB4_1311
; %bb.1302:                             ;   in Loop: Header=BB4_356 Depth=4
	v_mov_b32_e32 v12, 0
	s_mov_b32 s75, exec_lo
	v_cmpx_ne_u32_e32 0, v8
	s_cbranch_execz .LBB4_1310
; %bb.1303:                             ;   in Loop: Header=BB4_356 Depth=4
	v_bfe_u32 v24, v8, 23, 8
	v_and_b32_e32 v2, 0x7fffff, v8
	s_delay_alu instid0(VALU_DEP_2) | instskip(SKIP_2) | instid1(VALU_DEP_4)
	v_cmp_gt_u32_e64 s13, 0x7a, v24
	v_sub_nc_u32_e32 v8, 0x79, v24
	v_cmp_eq_u32_e32 vcc_lo, 0, v24
	v_or_b32_e32 v9, 0x800000, v2
	s_delay_alu instid0(VALU_DEP_1) | instskip(NEXT) | instid1(VALU_DEP_1)
	v_dual_cndmask_b32 v8, 0, v8, s13 :: v_dual_cndmask_b32 v2, v9, v2, vcc_lo
	v_cndmask_b32_e64 v25, v8, 0x78, vcc_lo
	s_delay_alu instid0(VALU_DEP_1) | instskip(NEXT) | instid1(VALU_DEP_1)
	v_dual_add_nc_u32 v8, 20, v25 :: v_dual_add_nc_u32 v12, 19, v25
	v_lshlrev_b64_e64 v[8:9], v8, -1
	s_delay_alu instid0(VALU_DEP_2) | instskip(NEXT) | instid1(VALU_DEP_2)
	v_lshlrev_b64_e64 v[12:13], v12, 1
	v_bfi_b32 v9, v9, 0, 0
	s_delay_alu instid0(VALU_DEP_3) | instskip(NEXT) | instid1(VALU_DEP_1)
	v_bfi_b32 v8, v8, 0, v2
	v_cmp_eq_u64_e64 s13, v[8:9], v[12:13]
	v_lshrrev_b64 v[8:9], v25, v[2:3]
	s_delay_alu instid0(VALU_DEP_1)
	v_mov_b64_e32 v[12:13], v[8:9]
	s_and_saveexec_b32 s76, s13
; %bb.1304:                             ;   in Loop: Header=BB4_356 Depth=4
	v_bfe_u32 v2, v8, 20, 1
	s_delay_alu instid0(VALU_DEP_1) | instskip(NEXT) | instid1(VALU_DEP_1)
	v_add_nc_u64_e32 v[12:13], v[8:9], v[2:3]
	v_add_nc_u64_e32 v[12:13], -1, v[12:13]
; %bb.1305:                             ;   in Loop: Header=BB4_356 Depth=4
	s_or_b32 exec_lo, exec_lo, s76
	v_add_nc_u32_e32 v2, 0xffffff81, v24
	v_lshrrev_b32_e32 v9, 23, v8
	s_mov_b32 s13, exec_lo
	s_delay_alu instid0(VALU_DEP_2) | instskip(NEXT) | instid1(VALU_DEP_1)
	v_cndmask_b32_e64 v2, v2, 0xffffff82, vcc_lo
	v_add3_u32 v24, v25, v2, v9
	v_and_b32_e32 v2, 0xfffff, v12
                                        ; implicit-def: $vgpr12
	s_delay_alu instid0(VALU_DEP_2) | instskip(NEXT) | instid1(VALU_DEP_2)
	v_add_nc_u32_e32 v13, 6, v24
	v_add_nc_u32_e32 v2, v2, v8
                                        ; implicit-def: $vgpr8_vgpr9
	s_delay_alu instid0(VALU_DEP_2)
	v_cmpx_ne_u32_e32 0, v13
	s_xor_b32 s13, exec_lo, s13
; %bb.1306:                             ;   in Loop: Header=BB4_356 Depth=4
	s_delay_alu instid0(VALU_DEP_2) | instskip(SKIP_1) | instid1(VALU_DEP_1)
	v_cmp_lt_u64_e32 vcc_lo, 0xffffff, v[2:3]
	v_add_nc_u32_e32 v8, 7, v24
	v_cndmask_b32_e32 v12, v13, v8, vcc_lo
	v_cndmask_b32_e64 v8, 0, 1, vcc_lo
	s_delay_alu instid0(VALU_DEP_1)
	v_lshrrev_b64 v[8:9], v8, v[2:3]
; %bb.1307:                             ;   in Loop: Header=BB4_356 Depth=4
	s_and_not1_saveexec_b32 s13, s13
; %bb.1308:                             ;   in Loop: Header=BB4_356 Depth=4
	v_mov_b64_e32 v[8:9], v[2:3]
	v_bfe_u32 v12, v2, 23, 1
; %bb.1309:                             ;   in Loop: Header=BB4_356 Depth=4
	s_or_b32 exec_lo, exec_lo, s13
	s_delay_alu instid0(VALU_DEP_2) | instskip(NEXT) | instid1(VALU_DEP_2)
	v_lshrrev_b64 v[8:9], 20, v[8:9]
	v_cmp_gt_i32_e32 vcc_lo, 16, v12
	v_min_i32_e32 v2, 15, v12
	v_cmp_eq_u32_e64 s13, 0, v12
	s_delay_alu instid0(VALU_DEP_2) | instskip(SKIP_1) | instid1(VALU_DEP_2)
	v_dual_cndmask_b32 v9, 0, v9 :: v_dual_lshlrev_b32 v2, 3, v2
	v_cndmask_b32_e32 v8, 7, v8, vcc_lo
	v_and_b32_e32 v2, 0xf8, v2
	s_delay_alu instid0(VALU_DEP_2) | instskip(NEXT) | instid1(VALU_DEP_2)
	v_cmp_eq_u64_e32 vcc_lo, 0, v[8:9]
	v_and_or_b32 v2, v8, 7, v2
	s_and_b32 s13, s13, vcc_lo
	s_delay_alu instid0(VALU_DEP_1) | instid1(SALU_CYCLE_1)
	v_cndmask_b32_e64 v2, v2, 0, s13
	s_delay_alu instid0(VALU_DEP_1)
	v_or_b32_e32 v12, v2, v29
.LBB4_1310:                             ;   in Loop: Header=BB4_356 Depth=4
	s_or_b32 exec_lo, exec_lo, s75
                                        ; implicit-def: $vgpr29
.LBB4_1311:                             ;   in Loop: Header=BB4_356 Depth=4
	s_and_not1_saveexec_b32 s13, s74
; %bb.1312:                             ;   in Loop: Header=BB4_356 Depth=4
	v_or_b32_e32 v12, 0x7e, v29
; %bb.1313:                             ;   in Loop: Header=BB4_356 Depth=4
	s_or_b32 exec_lo, exec_lo, s13
                                        ; implicit-def: $vgpr9
.LBB4_1314:                             ;   in Loop: Header=BB4_356 Depth=4
	s_and_not1_saveexec_b32 s13, s73
; %bb.1315:                             ;   in Loop: Header=BB4_356 Depth=4
	v_or_b32_e32 v12, 0x7f, v9
; %bb.1316:                             ;   in Loop: Header=BB4_356 Depth=4
	s_or_b32 exec_lo, exec_lo, s13
	v_dual_mov_b32 v8, 0 :: v_dual_mov_b32 v9, 0
	s_mov_b32 s13, exec_lo
	v_cmpx_lt_u64_e64 s[22:23], v[14:15]
	s_cbranch_execz .LBB4_1324
; %bb.1317:                             ;   in Loop: Header=BB4_356 Depth=4
	v_lshrrev_b32_e32 v13, 24, v15
	v_bfrev_b32_e32 v9, 1
	s_mov_b32 s73, exec_lo
	s_delay_alu instid0(VALU_DEP_2)
	v_cmpx_ne_u32_e32 0x80, v13
	s_cbranch_execz .LBB4_1323
; %bb.1318:                             ;   in Loop: Header=BB4_356 Depth=4
	v_bfe_u32 v14, v15, 24, 7
	v_mov_b32_e32 v9, 0x7f800001
	s_mov_b32 s74, exec_lo
	s_delay_alu instid0(VALU_DEP_2)
	v_cmpx_ne_u32_e32 0x7f, v14
	s_cbranch_execz .LBB4_1322
; %bb.1319:                             ;   in Loop: Header=BB4_356 Depth=4
	v_dual_lshrrev_b32 v9, 3, v14 :: v_dual_bitop2_b32 v2, 7, v13 bitop3:0x40
	s_mov_b32 s75, exec_lo
	v_cmpx_gt_u32_e32 8, v14
; %bb.1320:                             ;   in Loop: Header=BB4_356 Depth=4
	s_delay_alu instid0(VALU_DEP_2) | instskip(NEXT) | instid1(VALU_DEP_1)
	v_clz_i32_u32_e32 v9, v2
	v_min_u32_e32 v9, 32, v9
	s_delay_alu instid0(VALU_DEP_1) | instskip(NEXT) | instid1(VALU_DEP_1)
	v_subrev_nc_u32_e32 v14, 28, v9
	v_lshlrev_b64_e32 v[14:15], v14, v[2:3]
	s_delay_alu instid0(VALU_DEP_1)
	v_dual_sub_nc_u32 v9, 29, v9 :: v_dual_bitop2_b32 v2, 7, v14 bitop3:0x40
; %bb.1321:                             ;   in Loop: Header=BB4_356 Depth=4
	s_or_b32 exec_lo, exec_lo, s75
	s_delay_alu instid0(VALU_DEP_1) | instskip(NEXT) | instid1(VALU_DEP_2)
	v_dual_lshlrev_b32 v13, 24, v13 :: v_dual_lshlrev_b32 v2, 20, v2
	v_lshl_add_u32 v9, v9, 23, 0x3c000000
	s_delay_alu instid0(VALU_DEP_2) | instskip(NEXT) | instid1(VALU_DEP_1)
	v_and_b32_e32 v13, 0x80000000, v13
	v_or3_b32 v9, v2, v13, v9
.LBB4_1322:                             ;   in Loop: Header=BB4_356 Depth=4
	s_or_b32 exec_lo, exec_lo, s74
.LBB4_1323:                             ;   in Loop: Header=BB4_356 Depth=4
	s_delay_alu instid0(SALU_CYCLE_1)
	s_or_b32 exec_lo, exec_lo, s73
.LBB4_1324:                             ;   in Loop: Header=BB4_356 Depth=4
	s_delay_alu instid0(SALU_CYCLE_1) | instskip(NEXT) | instid1(SALU_CYCLE_1)
	s_or_b32 exec_lo, exec_lo, s13
	s_mov_b32 s13, exec_lo
	v_cmpx_lt_u64_e64 s[22:23], v[10:11]
	s_cbranch_execz .LBB4_1332
; %bb.1325:                             ;   in Loop: Header=BB4_356 Depth=4
	v_lshrrev_b32_e32 v10, 24, v11
	v_bfrev_b32_e32 v8, 1
	s_mov_b32 s73, exec_lo
	s_delay_alu instid0(VALU_DEP_2)
	v_cmpx_ne_u32_e32 0x80, v10
	s_cbranch_execz .LBB4_1331
; %bb.1326:                             ;   in Loop: Header=BB4_356 Depth=4
	v_bfe_u32 v11, v11, 24, 7
	v_mov_b32_e32 v8, 0x7f800001
	s_mov_b32 s74, exec_lo
	s_delay_alu instid0(VALU_DEP_2)
	v_cmpx_ne_u32_e32 0x7f, v11
	s_cbranch_execz .LBB4_1330
; %bb.1327:                             ;   in Loop: Header=BB4_356 Depth=4
	v_dual_lshrrev_b32 v8, 3, v11 :: v_dual_bitop2_b32 v2, 7, v10 bitop3:0x40
	s_mov_b32 s75, exec_lo
	v_cmpx_gt_u32_e32 8, v11
; %bb.1328:                             ;   in Loop: Header=BB4_356 Depth=4
	s_delay_alu instid0(VALU_DEP_2) | instskip(NEXT) | instid1(VALU_DEP_1)
	v_clz_i32_u32_e32 v8, v2
	v_min_u32_e32 v8, 32, v8
	s_delay_alu instid0(VALU_DEP_1) | instskip(NEXT) | instid1(VALU_DEP_1)
	v_subrev_nc_u32_e32 v11, 28, v8
	v_lshlrev_b64_e32 v[14:15], v11, v[2:3]
	s_delay_alu instid0(VALU_DEP_1)
	v_dual_sub_nc_u32 v8, 29, v8 :: v_dual_bitop2_b32 v2, 7, v14 bitop3:0x40
; %bb.1329:                             ;   in Loop: Header=BB4_356 Depth=4
	s_or_b32 exec_lo, exec_lo, s75
	v_lshlrev_b32_e32 v10, 24, v10
	s_delay_alu instid0(VALU_DEP_2) | instskip(NEXT) | instid1(VALU_DEP_3)
	v_lshlrev_b32_e32 v2, 20, v2
	v_lshl_add_u32 v8, v8, 23, 0x3c000000
	s_delay_alu instid0(VALU_DEP_3) | instskip(NEXT) | instid1(VALU_DEP_1)
	v_and_b32_e32 v10, 0x80000000, v10
	v_or3_b32 v8, v2, v10, v8
.LBB4_1330:                             ;   in Loop: Header=BB4_356 Depth=4
	s_or_b32 exec_lo, exec_lo, s74
.LBB4_1331:                             ;   in Loop: Header=BB4_356 Depth=4
	s_delay_alu instid0(SALU_CYCLE_1)
	s_or_b32 exec_lo, exec_lo, s73
.LBB4_1332:                             ;   in Loop: Header=BB4_356 Depth=4
	s_delay_alu instid0(SALU_CYCLE_1) | instskip(NEXT) | instid1(VALU_DEP_1)
	s_or_b32 exec_lo, exec_lo, s13
	v_add_f32_e32 v8, v9, v8
	s_delay_alu instid0(VALU_DEP_1) | instskip(SKIP_1) | instid1(VALU_DEP_2)
	v_and_b32_e32 v2, 0x7f800000, v8
	v_lshrrev_b32_e32 v9, 24, v8
	v_cmp_ne_u64_e32 vcc_lo, 0x7f800000, v[2:3]
                                        ; implicit-def: $vgpr2
	s_and_saveexec_b32 s13, vcc_lo
	s_delay_alu instid0(SALU_CYCLE_1)
	s_xor_b32 s73, exec_lo, s13
	s_cbranch_execz .LBB4_1346
; %bb.1333:                             ;   in Loop: Header=BB4_356 Depth=4
	v_and_b32_e32 v2, 0x7fffffff, v8
	v_and_b32_e32 v13, 0x80, v9
	s_delay_alu instid0(VALU_DEP_2) | instskip(SKIP_1) | instid1(SALU_CYCLE_1)
	v_cmp_gt_u64_e32 vcc_lo, 0x43e00001, v[2:3]
                                        ; implicit-def: $vgpr2
	s_and_saveexec_b32 s13, vcc_lo
	s_xor_b32 s74, exec_lo, s13
	s_cbranch_execz .LBB4_1343
; %bb.1334:                             ;   in Loop: Header=BB4_356 Depth=4
	v_mov_b32_e32 v2, 0
	s_mov_b32 s75, exec_lo
	v_cmpx_ne_u32_e32 0, v8
	s_cbranch_execz .LBB4_1342
; %bb.1335:                             ;   in Loop: Header=BB4_356 Depth=4
	v_bfe_u32 v14, v8, 23, 8
	v_and_b32_e32 v2, 0x7fffff, v8
	s_delay_alu instid0(VALU_DEP_2) | instskip(SKIP_2) | instid1(VALU_DEP_4)
	v_cmp_gt_u32_e64 s13, 0x7a, v14
	v_sub_nc_u32_e32 v8, 0x79, v14
	v_cmp_eq_u32_e32 vcc_lo, 0, v14
	v_or_b32_e32 v9, 0x800000, v2
	s_delay_alu instid0(VALU_DEP_1) | instskip(NEXT) | instid1(VALU_DEP_1)
	v_dual_cndmask_b32 v8, 0, v8, s13 :: v_dual_cndmask_b32 v2, v9, v2, vcc_lo
	v_cndmask_b32_e64 v15, v8, 0x78, vcc_lo
	s_delay_alu instid0(VALU_DEP_1) | instskip(NEXT) | instid1(VALU_DEP_1)
	v_dual_add_nc_u32 v8, 20, v15 :: v_dual_add_nc_u32 v10, 19, v15
	v_lshlrev_b64_e64 v[8:9], v8, -1
	s_delay_alu instid0(VALU_DEP_2) | instskip(NEXT) | instid1(VALU_DEP_2)
	v_lshlrev_b64_e64 v[10:11], v10, 1
	v_bfi_b32 v9, v9, 0, 0
	s_delay_alu instid0(VALU_DEP_3) | instskip(NEXT) | instid1(VALU_DEP_1)
	v_bfi_b32 v8, v8, 0, v2
	v_cmp_eq_u64_e64 s13, v[8:9], v[10:11]
	v_lshrrev_b64 v[8:9], v15, v[2:3]
	s_delay_alu instid0(VALU_DEP_1)
	v_mov_b64_e32 v[10:11], v[8:9]
	s_and_saveexec_b32 s76, s13
; %bb.1336:                             ;   in Loop: Header=BB4_356 Depth=4
	v_bfe_u32 v2, v8, 20, 1
	s_delay_alu instid0(VALU_DEP_1) | instskip(NEXT) | instid1(VALU_DEP_1)
	v_add_nc_u64_e32 v[10:11], v[8:9], v[2:3]
	v_add_nc_u64_e32 v[10:11], -1, v[10:11]
; %bb.1337:                             ;   in Loop: Header=BB4_356 Depth=4
	s_or_b32 exec_lo, exec_lo, s76
	v_add_nc_u32_e32 v2, 0xffffff81, v14
	v_lshrrev_b32_e32 v9, 23, v8
	s_mov_b32 s13, exec_lo
	s_delay_alu instid0(VALU_DEP_2) | instskip(NEXT) | instid1(VALU_DEP_1)
	v_cndmask_b32_e64 v2, v2, 0xffffff82, vcc_lo
	v_add3_u32 v11, v15, v2, v9
	v_and_b32_e32 v2, 0xfffff, v10
                                        ; implicit-def: $vgpr10
	s_delay_alu instid0(VALU_DEP_1) | instskip(NEXT) | instid1(VALU_DEP_1)
	v_dual_add_nc_u32 v14, 6, v11 :: v_dual_add_nc_u32 v2, v2, v8
                                        ; implicit-def: $vgpr8_vgpr9
	v_cmpx_ne_u32_e32 0, v14
	s_xor_b32 s13, exec_lo, s13
; %bb.1338:                             ;   in Loop: Header=BB4_356 Depth=4
	s_delay_alu instid0(VALU_DEP_2) | instskip(SKIP_1) | instid1(VALU_DEP_1)
	v_cmp_lt_u64_e32 vcc_lo, 0xffffff, v[2:3]
	v_add_nc_u32_e32 v8, 7, v11
	v_cndmask_b32_e32 v10, v14, v8, vcc_lo
	v_cndmask_b32_e64 v8, 0, 1, vcc_lo
	s_delay_alu instid0(VALU_DEP_1)
	v_lshrrev_b64 v[8:9], v8, v[2:3]
; %bb.1339:                             ;   in Loop: Header=BB4_356 Depth=4
	s_and_not1_saveexec_b32 s13, s13
; %bb.1340:                             ;   in Loop: Header=BB4_356 Depth=4
	v_mov_b64_e32 v[8:9], v[2:3]
	v_bfe_u32 v10, v2, 23, 1
; %bb.1341:                             ;   in Loop: Header=BB4_356 Depth=4
	s_or_b32 exec_lo, exec_lo, s13
	s_delay_alu instid0(VALU_DEP_2) | instskip(NEXT) | instid1(VALU_DEP_2)
	v_lshrrev_b64 v[8:9], 20, v[8:9]
	v_cmp_gt_i32_e32 vcc_lo, 16, v10
	v_min_i32_e32 v2, 15, v10
	v_cmp_eq_u32_e64 s13, 0, v10
	s_delay_alu instid0(VALU_DEP_2) | instskip(SKIP_1) | instid1(VALU_DEP_2)
	v_dual_cndmask_b32 v9, 0, v9 :: v_dual_lshlrev_b32 v2, 3, v2
	v_cndmask_b32_e32 v8, 7, v8, vcc_lo
	v_and_b32_e32 v2, 0xf8, v2
	s_delay_alu instid0(VALU_DEP_2) | instskip(NEXT) | instid1(VALU_DEP_2)
	v_cmp_eq_u64_e32 vcc_lo, 0, v[8:9]
	v_and_or_b32 v2, v8, 7, v2
	s_and_b32 s13, s13, vcc_lo
	s_delay_alu instid0(VALU_DEP_1) | instid1(SALU_CYCLE_1)
	v_cndmask_b32_e64 v2, v2, 0, s13
	s_delay_alu instid0(VALU_DEP_1)
	v_or_b32_e32 v2, v2, v13
.LBB4_1342:                             ;   in Loop: Header=BB4_356 Depth=4
	s_or_b32 exec_lo, exec_lo, s75
                                        ; implicit-def: $vgpr13
.LBB4_1343:                             ;   in Loop: Header=BB4_356 Depth=4
	s_and_not1_saveexec_b32 s13, s74
; %bb.1344:                             ;   in Loop: Header=BB4_356 Depth=4
	v_or_b32_e32 v2, 0x7e, v13
; %bb.1345:                             ;   in Loop: Header=BB4_356 Depth=4
	s_or_b32 exec_lo, exec_lo, s13
                                        ; implicit-def: $vgpr9
.LBB4_1346:                             ;   in Loop: Header=BB4_356 Depth=4
	s_and_not1_saveexec_b32 s13, s73
	s_cbranch_execz .LBB4_355
; %bb.1347:                             ;   in Loop: Header=BB4_356 Depth=4
	v_or_b32_e32 v2, 0x7f, v9
	s_branch .LBB4_355
.LBB4_1348:                             ;   in Loop: Header=BB4_274 Depth=3
	s_or_b32 exec_lo, exec_lo, s15
.LBB4_1349:                             ;   in Loop: Header=BB4_274 Depth=3
	s_delay_alu instid0(SALU_CYCLE_1) | instskip(SKIP_3) | instid1(VALU_DEP_1)
	s_or_b32 exec_lo, exec_lo, s14
	v_dual_lshlrev_b32 v62, 10, v77 :: v_dual_mov_b32 v18, 0
	s_mov_b32 s13, 0
	s_mov_b32 s73, exec_lo
                                        ; implicit-def: $vgpr19
                                        ; implicit-def: $vgpr20
                                        ; implicit-def: $vgpr2
	v_cmpx_ne_u32_e64 v41, v62
	s_cbranch_execz .LBB4_1853
; %bb.1350:                             ;   in Loop: Header=BB4_274 Depth=3
	v_dual_lshlrev_b32 v2, 5, v43 :: v_dual_sub_nc_u32 v9, v41, v62
	s_mov_b32 s74, exec_lo
	s_delay_alu instid0(VALU_DEP_1) | instskip(NEXT) | instid1(VALU_DEP_1)
	v_dual_sub_nc_u32 v2, v94, v2 :: v_dual_ashrrev_i32 v10, 31, v9
	v_ashrrev_i32_e32 v8, 31, v2
	s_delay_alu instid0(VALU_DEP_1) | instskip(NEXT) | instid1(VALU_DEP_1)
	v_dual_lshrrev_b32 v10, 23, v10 :: v_dual_lshrrev_b32 v8, 27, v8
	v_add_nc_u32_e32 v8, v2, v8
	s_delay_alu instid0(VALU_DEP_1) | instskip(NEXT) | instid1(VALU_DEP_1)
	v_and_b32_e32 v11, 0xffffffe0, v8
	v_dual_add_nc_u32 v10, v9, v10 :: v_dual_sub_nc_u32 v63, v2, v11
	s_delay_alu instid0(VALU_DEP_1) | instskip(SKIP_1) | instid1(VALU_DEP_3)
	v_and_b32_e32 v43, 0xfffffe00, v10
	v_dual_ashrrev_i32 v8, 5, v8 :: v_dual_ashrrev_i32 v10, 9, v10
	v_lshlrev_b32_e32 v2, 4, v63
	s_delay_alu instid0(VALU_DEP_3) | instskip(NEXT) | instid1(VALU_DEP_2)
	v_sub_nc_u32_e32 v72, v9, v43
	v_lshl_add_u32 v2, v8, 9, v2
	s_delay_alu instid0(VALU_DEP_2) | instskip(SKIP_1) | instid1(VALU_DEP_1)
	v_cmp_lt_i32_e32 vcc_lo, 15, v72
	v_add_co_ci_u32_e64 v10, null, 0, v10, vcc_lo
	v_dual_sub_nc_u32 v74, v9, v2 :: v_dual_sub_nc_u32 v73, v10, v8
	s_delay_alu instid0(VALU_DEP_1)
	v_cmpx_lt_i32_e32 15, v74
	s_cbranch_execz .LBB4_1850
; %bb.1351:                             ;   in Loop: Header=BB4_274 Depth=3
	s_trap 2
	ds_load_b64 v[8:9], v0
	v_add_nc_u32_e32 v10, v2, v62
	s_mov_b32 s75, 0
	s_delay_alu instid0(VALU_DEP_1) | instskip(NEXT) | instid1(VALU_DEP_1)
	v_ashrrev_i32_e32 v11, 31, v10
	v_add_nc_u64_e32 v[16:17], v[10:11], v[46:47]
	v_add_nc_u64_e32 v[20:21], v[10:11], v[56:57]
	s_wait_dscnt 0x0
	v_add_nc_u64_e32 v[18:19], v[8:9], v[10:11]
	s_branch .LBB4_1353
.LBB4_1352:                             ;   in Loop: Header=BB4_1353 Depth=4
	s_or_b32 exec_lo, exec_lo, s13
	v_lshl_or_b32 v8, v61, 8, v60
	v_dual_lshlrev_b32 v9, 16, v58 :: v_dual_lshlrev_b32 v10, 24, v59
	v_lshl_or_b32 v11, v77, 8, v75
	v_dual_lshlrev_b32 v13, 16, v78 :: v_dual_lshlrev_b32 v14, 24, v79
	;; [unrolled: 2-line block ×3, first 2 shown]
	v_dual_lshlrev_b32 v2, 24, v2 :: v_dual_lshlrev_b32 v12, 16, v12
	v_lshl_or_b32 v22, v23, 8, v22
	v_or3_b32 v9, v8, v9, v10
	v_or3_b32 v8, v11, v13, v14
	;; [unrolled: 1-line block ×3, first 2 shown]
	v_sub_nc_u32_e32 v74, v74, v80
	v_or3_b32 v11, v22, v12, v2
	v_add_nc_u64_e32 v[16:17], v[16:17], v[80:81]
	v_add_nc_u64_e32 v[18:19], v[18:19], v[80:81]
	v_sub_nc_u32_e32 v73, v73, v52
	v_cmp_gt_i32_e64 s13, 16, v74
	global_store_b128 v[20:21], v[8:11], off th:TH_STORE_NT
	s_wait_xcnt 0x0
	v_add_nc_u64_e32 v[20:21], v[20:21], v[80:81]
	s_or_b32 s75, s13, s75
	s_delay_alu instid0(SALU_CYCLE_1)
	s_and_not1_b32 exec_lo, exec_lo, s75
	s_cbranch_execz .LBB4_1849
.LBB4_1353:                             ;   Parent Loop BB4_47 Depth=1
                                        ;     Parent Loop BB4_271 Depth=2
                                        ;       Parent Loop BB4_274 Depth=3
                                        ; =>      This Inner Loop Header: Depth=4
	global_load_b128 v[12:15], v[16:17], off th:TH_LOAD_NT
	global_load_b128 v[8:11], v[18:19], off th:TH_LOAD_NT
	v_mov_b32_e32 v2, 0
	s_mov_b32 s14, exec_lo
	s_wait_loadcnt 0x1
	v_and_b32_e32 v22, 0xff, v12
	s_wait_xcnt 0x0
	s_delay_alu instid0(VALU_DEP_1)
	v_cmpx_ne_u16_e32 0, v22
	s_cbranch_execz .LBB4_1359
; %bb.1354:                             ;   in Loop: Header=BB4_1353 Depth=4
	v_bfrev_b32_e32 v2, 1
	s_mov_b32 s15, exec_lo
	v_cmpx_ne_u16_e32 0x80, v22
	s_cbranch_execz .LBB4_1358
; %bb.1355:                             ;   in Loop: Header=BB4_1353 Depth=4
	v_and_b32_e32 v22, 0x7f, v12
	v_mov_b32_e32 v2, 0x7f800001
	s_mov_b32 s76, exec_lo
	s_delay_alu instid0(VALU_DEP_2)
	v_cmpx_ne_u32_e32 0x7f, v22
	s_cbranch_execz .LBB4_1357
; %bb.1356:                             ;   in Loop: Header=BB4_1353 Depth=4
	v_dual_lshrrev_b32 v23, 3, v22 :: v_dual_bitop2_b32 v2, 7, v12 bitop3:0x40
	v_cmp_gt_u32_e64 s13, 8, v22
	s_delay_alu instid0(VALU_DEP_2) | instskip(NEXT) | instid1(VALU_DEP_1)
	v_clz_i32_u32_e32 v2, v2
	v_min_u32_e32 v2, 32, v2
	s_delay_alu instid0(VALU_DEP_1) | instskip(NEXT) | instid1(VALU_DEP_1)
	v_subrev_nc_u32_e32 v24, 28, v2
	v_dual_sub_nc_u32 v2, 29, v2 :: v_dual_cndmask_b32 v22, 0, v24, s13
	s_delay_alu instid0(VALU_DEP_1) | instskip(NEXT) | instid1(VALU_DEP_2)
	v_cndmask_b32_e64 v2, v23, v2, s13
	v_lshlrev_b64_e32 v[22:23], v22, v[12:13]
	v_lshlrev_b32_e32 v23, 24, v12
	s_delay_alu instid0(VALU_DEP_3) | instskip(NEXT) | instid1(VALU_DEP_2)
	v_lshl_add_u32 v2, v2, 23, 0x3c000000
	v_and_b32_e32 v23, 0x80000000, v23
	s_delay_alu instid0(VALU_DEP_4) | instskip(NEXT) | instid1(VALU_DEP_1)
	v_lshlrev_b32_e32 v22, 20, v22
	v_and_b32_e32 v22, 0x700000, v22
	s_delay_alu instid0(VALU_DEP_1)
	v_or3_b32 v2, v22, v23, v2
.LBB4_1357:                             ;   in Loop: Header=BB4_1353 Depth=4
	s_or_b32 exec_lo, exec_lo, s76
.LBB4_1358:                             ;   in Loop: Header=BB4_1353 Depth=4
	s_delay_alu instid0(SALU_CYCLE_1)
	s_or_b32 exec_lo, exec_lo, s15
.LBB4_1359:                             ;   in Loop: Header=BB4_1353 Depth=4
	s_delay_alu instid0(SALU_CYCLE_1) | instskip(SKIP_4) | instid1(VALU_DEP_1)
	s_or_b32 exec_lo, exec_lo, s14
	s_wait_loadcnt 0x0
	v_and_b32_e32 v23, 0xff, v8
	s_mov_b32 s14, 0
	s_mov_b32 s15, exec_lo
	v_cmpx_lt_i16_e32 0x7f, v23
	s_xor_b32 s15, exec_lo, s15
	s_cbranch_execz .LBB4_1394
; %bb.1360:                             ;   in Loop: Header=BB4_1353 Depth=4
	s_mov_b32 s14, -1
	s_mov_b32 s76, exec_lo
	v_cmpx_eq_u16_e32 0x80, v23
; %bb.1361:                             ;   in Loop: Header=BB4_1353 Depth=4
	s_xor_b32 s14, exec_lo, -1
; %bb.1362:                             ;   in Loop: Header=BB4_1353 Depth=4
	s_or_b32 exec_lo, exec_lo, s76
	s_delay_alu instid0(SALU_CYCLE_1)
	s_and_b32 s14, s14, exec_lo
                                        ; implicit-def: $vgpr23
	s_or_saveexec_b32 s15, s15
	v_bfrev_b32_e32 v22, 1
	s_xor_b32 exec_lo, exec_lo, s15
	s_cbranch_execnz .LBB4_1395
.LBB4_1363:                             ;   in Loop: Header=BB4_1353 Depth=4
	s_or_b32 exec_lo, exec_lo, s15
	s_and_saveexec_b32 s15, s14
	s_cbranch_execz .LBB4_1365
.LBB4_1364:                             ;   in Loop: Header=BB4_1353 Depth=4
	v_and_b32_e32 v22, 7, v8
	v_and_b32_e32 v24, 0x7f, v8
	v_bfe_u32 v23, v8, 3, 4
	s_delay_alu instid0(VALU_DEP_3) | instskip(NEXT) | instid1(VALU_DEP_3)
	v_clz_i32_u32_e32 v22, v22
	v_cmp_gt_u32_e64 s13, 8, v24
	s_delay_alu instid0(VALU_DEP_2) | instskip(NEXT) | instid1(VALU_DEP_1)
	v_min_u32_e32 v22, 32, v22
	v_subrev_nc_u32_e32 v25, 28, v22
	v_sub_nc_u32_e32 v22, 29, v22
	s_delay_alu instid0(VALU_DEP_1) | instskip(SKIP_1) | instid1(VALU_DEP_2)
	v_dual_cndmask_b32 v26, v23, v22, s13 :: v_dual_cndmask_b32 v22, 0, v25, s13
	v_cmp_ne_u32_e64 s13, 0x7f, v24
	v_lshl_add_u32 v25, v26, 23, 0x3c000000
	s_delay_alu instid0(VALU_DEP_3) | instskip(SKIP_1) | instid1(VALU_DEP_1)
	v_lshlrev_b64_e32 v[22:23], v22, v[8:9]
	v_lshlrev_b32_e32 v23, 24, v8
	v_and_b32_e32 v23, 0x80000000, v23
	s_delay_alu instid0(VALU_DEP_3) | instskip(NEXT) | instid1(VALU_DEP_1)
	v_lshlrev_b32_e32 v22, 20, v22
	v_and_b32_e32 v22, 0x700000, v22
	s_delay_alu instid0(VALU_DEP_1) | instskip(NEXT) | instid1(VALU_DEP_1)
	v_or3_b32 v22, v22, v23, v25
	v_cndmask_b32_e64 v22, 0x7f800001, v22, s13
.LBB4_1365:                             ;   in Loop: Header=BB4_1353 Depth=4
	s_or_b32 exec_lo, exec_lo, s15
	s_delay_alu instid0(VALU_DEP_1) | instskip(SKIP_1) | instid1(VALU_DEP_1)
	v_add_f32_e32 v22, v2, v22
                                        ; implicit-def: $vgpr75
	s_mov_b32 s14, exec_lo
	v_and_b32_e32 v2, 0x7f800000, v22
	v_lshrrev_b32_e32 v23, 24, v22
	s_delay_alu instid0(VALU_DEP_2)
	v_cmpx_ne_u64_e32 0x7f800000, v[2:3]
	s_xor_b32 s15, exec_lo, s14
	s_cbranch_execz .LBB4_1379
; %bb.1366:                             ;   in Loop: Header=BB4_1353 Depth=4
	v_and_b32_e32 v2, 0x7fffffff, v22
	v_and_b32_e32 v26, 0x80, v23
                                        ; implicit-def: $vgpr75
	s_mov_b32 s14, exec_lo
	s_delay_alu instid0(VALU_DEP_2)
	v_cmpx_gt_u64_e32 0x43e00001, v[2:3]
	s_xor_b32 s76, exec_lo, s14
	s_cbranch_execz .LBB4_1376
; %bb.1367:                             ;   in Loop: Header=BB4_1353 Depth=4
	v_mov_b32_e32 v75, 0
	s_mov_b32 s77, exec_lo
	v_cmpx_ne_u32_e32 0, v22
	s_cbranch_execz .LBB4_1375
; %bb.1368:                             ;   in Loop: Header=BB4_1353 Depth=4
	v_bfe_u32 v24, v22, 23, 8
	s_mov_b32 s78, exec_lo
	s_delay_alu instid0(VALU_DEP_1) | instskip(SKIP_1) | instid1(VALU_DEP_1)
	v_sub_nc_u32_e32 v2, 0x79, v24
	v_cmp_gt_u32_e64 s13, 0x7a, v24
	v_cndmask_b32_e64 v2, 0, v2, s13
	v_cmp_eq_u32_e64 s13, 0, v24
	s_delay_alu instid0(VALU_DEP_1) | instskip(SKIP_1) | instid1(VALU_DEP_2)
	v_cndmask_b32_e64 v25, v2, 0x78, s13
	v_and_b32_e32 v2, 0x7fffff, v22
	v_add_nc_u32_e32 v22, 20, v25
	s_delay_alu instid0(VALU_DEP_2) | instskip(SKIP_1) | instid1(VALU_DEP_3)
	v_or_b32_e32 v27, 0x800000, v2
	v_add_nc_u32_e32 v28, 19, v25
	v_lshlrev_b64_e64 v[22:23], v22, -1
	s_delay_alu instid0(VALU_DEP_3) | instskip(NEXT) | instid1(VALU_DEP_3)
	v_cndmask_b32_e64 v2, v27, v2, s13
	v_lshlrev_b64_e64 v[28:29], v28, 1
	s_delay_alu instid0(VALU_DEP_3) | instskip(NEXT) | instid1(VALU_DEP_3)
	v_bfi_b32 v69, v23, 0, 0
	v_bfi_b32 v68, v22, 0, v2
	v_lshrrev_b64 v[22:23], v25, v[2:3]
	s_delay_alu instid0(VALU_DEP_1) | instskip(NEXT) | instid1(VALU_DEP_3)
	v_mov_b64_e32 v[58:59], v[22:23]
	v_cmpx_eq_u64_e64 v[68:69], v[28:29]
; %bb.1369:                             ;   in Loop: Header=BB4_1353 Depth=4
	v_bfe_u32 v2, v22, 20, 1
	s_delay_alu instid0(VALU_DEP_1) | instskip(NEXT) | instid1(VALU_DEP_1)
	v_add_nc_u64_e32 v[28:29], v[22:23], v[2:3]
	v_add_nc_u64_e32 v[58:59], -1, v[28:29]
; %bb.1370:                             ;   in Loop: Header=BB4_1353 Depth=4
	s_or_b32 exec_lo, exec_lo, s78
	v_add_nc_u32_e32 v2, 0xffffff81, v24
	v_lshrrev_b32_e32 v23, 23, v22
	s_mov_b32 s14, exec_lo
                                        ; implicit-def: $vgpr24
	s_delay_alu instid0(VALU_DEP_2) | instskip(NEXT) | instid1(VALU_DEP_1)
	v_cndmask_b32_e64 v2, v2, 0xffffff82, s13
	v_add3_u32 v25, v25, v2, v23
	v_and_b32_e32 v2, 0xfffff, v58
	s_delay_alu instid0(VALU_DEP_1) | instskip(NEXT) | instid1(VALU_DEP_1)
	v_dual_add_nc_u32 v27, 6, v25 :: v_dual_add_nc_u32 v2, v2, v22
                                        ; implicit-def: $vgpr22_vgpr23
	v_cmpx_ne_u32_e32 0, v27
	s_xor_b32 s14, exec_lo, s14
; %bb.1371:                             ;   in Loop: Header=BB4_1353 Depth=4
	s_delay_alu instid0(VALU_DEP_2) | instskip(SKIP_1) | instid1(VALU_DEP_1)
	v_cmp_lt_u64_e64 s13, 0xffffff, v[2:3]
	v_add_nc_u32_e32 v22, 7, v25
	v_cndmask_b32_e64 v24, v27, v22, s13
	v_cndmask_b32_e64 v22, 0, 1, s13
	s_delay_alu instid0(VALU_DEP_1)
	v_lshrrev_b64 v[22:23], v22, v[2:3]
; %bb.1372:                             ;   in Loop: Header=BB4_1353 Depth=4
	s_and_not1_saveexec_b32 s13, s14
; %bb.1373:                             ;   in Loop: Header=BB4_1353 Depth=4
	v_mov_b64_e32 v[22:23], v[2:3]
	v_bfe_u32 v24, v2, 23, 1
; %bb.1374:                             ;   in Loop: Header=BB4_1353 Depth=4
	s_or_b32 exec_lo, exec_lo, s13
	s_delay_alu instid0(VALU_DEP_2) | instskip(NEXT) | instid1(VALU_DEP_2)
	v_lshrrev_b64 v[22:23], 20, v[22:23]
	v_cmp_gt_i32_e64 s13, 16, v24
	v_min_i32_e32 v2, 15, v24
	v_cmp_eq_u32_e64 s14, 0, v24
	s_delay_alu instid0(VALU_DEP_2) | instskip(SKIP_1) | instid1(VALU_DEP_2)
	v_dual_cndmask_b32 v23, 0, v23, s13 :: v_dual_lshlrev_b32 v2, 3, v2
	v_cndmask_b32_e64 v22, 7, v22, s13
	v_and_b32_e32 v2, 0xf8, v2
	s_delay_alu instid0(VALU_DEP_2) | instskip(NEXT) | instid1(VALU_DEP_2)
	v_cmp_eq_u64_e64 s13, 0, v[22:23]
	v_and_or_b32 v2, v22, 7, v2
	s_and_b32 s13, s14, s13
	s_delay_alu instid0(VALU_DEP_1) | instid1(SALU_CYCLE_1)
	v_cndmask_b32_e64 v2, v2, 0, s13
	s_delay_alu instid0(VALU_DEP_1)
	v_or_b32_e32 v75, v2, v26
.LBB4_1375:                             ;   in Loop: Header=BB4_1353 Depth=4
	s_or_b32 exec_lo, exec_lo, s77
                                        ; implicit-def: $vgpr26
.LBB4_1376:                             ;   in Loop: Header=BB4_1353 Depth=4
	s_and_not1_saveexec_b32 s13, s76
; %bb.1377:                             ;   in Loop: Header=BB4_1353 Depth=4
	v_or_b32_e32 v75, 0x7e, v26
; %bb.1378:                             ;   in Loop: Header=BB4_1353 Depth=4
	s_or_b32 exec_lo, exec_lo, s13
                                        ; implicit-def: $vgpr23
.LBB4_1379:                             ;   in Loop: Header=BB4_1353 Depth=4
	s_and_not1_saveexec_b32 s13, s15
; %bb.1380:                             ;   in Loop: Header=BB4_1353 Depth=4
	v_or_b32_e32 v75, 0x7f, v23
; %bb.1381:                             ;   in Loop: Header=BB4_1353 Depth=4
	s_or_b32 exec_lo, exec_lo, s13
	v_lshrrev_b16 v2, 8, v12
	v_mov_b32_e32 v22, 0
	s_mov_b32 s14, exec_lo
	s_delay_alu instid0(VALU_DEP_2)
	v_cmpx_ne_u16_e32 0, v2
	s_cbranch_execz .LBB4_1389
; %bb.1382:                             ;   in Loop: Header=BB4_1353 Depth=4
	v_bfrev_b32_e32 v22, 1
	s_mov_b32 s15, exec_lo
	v_cmpx_ne_u16_e32 0x80, v2
	s_cbranch_execz .LBB4_1388
; %bb.1383:                             ;   in Loop: Header=BB4_1353 Depth=4
	v_and_b32_e32 v2, 0xffff, v2
	v_mov_b32_e32 v22, 0x7f800001
	s_mov_b32 s76, exec_lo
	s_delay_alu instid0(VALU_DEP_2) | instskip(NEXT) | instid1(VALU_DEP_1)
	v_and_b32_e32 v23, 0x7f, v2
	v_cmpx_ne_u32_e32 0x7f, v23
	s_cbranch_execz .LBB4_1387
; %bb.1384:                             ;   in Loop: Header=BB4_1353 Depth=4
	v_dual_lshrrev_b32 v22, 3, v23 :: v_dual_bitop2_b32 v2, 7, v2 bitop3:0x40
	s_mov_b32 s77, exec_lo
	v_cmpx_gt_u32_e32 8, v23
; %bb.1385:                             ;   in Loop: Header=BB4_1353 Depth=4
	s_delay_alu instid0(VALU_DEP_2) | instskip(NEXT) | instid1(VALU_DEP_1)
	v_clz_i32_u32_e32 v22, v2
	v_min_u32_e32 v22, 32, v22
	s_delay_alu instid0(VALU_DEP_1) | instskip(NEXT) | instid1(VALU_DEP_1)
	v_subrev_nc_u32_e32 v23, 28, v22
	v_lshlrev_b64_e32 v[24:25], v23, v[2:3]
	s_delay_alu instid0(VALU_DEP_1)
	v_dual_sub_nc_u32 v22, 29, v22 :: v_dual_bitop2_b32 v2, 7, v24 bitop3:0x40
; %bb.1386:                             ;   in Loop: Header=BB4_1353 Depth=4
	s_or_b32 exec_lo, exec_lo, s77
	s_delay_alu instid0(VALU_DEP_1) | instskip(NEXT) | instid1(VALU_DEP_2)
	v_dual_lshlrev_b32 v23, 16, v12 :: v_dual_lshlrev_b32 v2, 20, v2
	v_lshl_add_u32 v22, v22, 23, 0x3c000000
	s_delay_alu instid0(VALU_DEP_2) | instskip(NEXT) | instid1(VALU_DEP_1)
	v_and_b32_e32 v23, 0x80000000, v23
	v_or3_b32 v22, v2, v23, v22
.LBB4_1387:                             ;   in Loop: Header=BB4_1353 Depth=4
	s_or_b32 exec_lo, exec_lo, s76
.LBB4_1388:                             ;   in Loop: Header=BB4_1353 Depth=4
	s_delay_alu instid0(SALU_CYCLE_1)
	s_or_b32 exec_lo, exec_lo, s15
.LBB4_1389:                             ;   in Loop: Header=BB4_1353 Depth=4
	s_delay_alu instid0(SALU_CYCLE_1) | instskip(SKIP_3) | instid1(VALU_DEP_1)
	s_or_b32 exec_lo, exec_lo, s14
	v_lshrrev_b16 v23, 8, v8
	s_mov_b32 s15, 0
	s_mov_b32 s14, exec_lo
	v_cmpx_lt_i16_e32 0x7f, v23
	s_xor_b32 s14, exec_lo, s14
	s_cbranch_execz .LBB4_1396
; %bb.1390:                             ;   in Loop: Header=BB4_1353 Depth=4
	s_mov_b32 s15, -1
	s_mov_b32 s76, exec_lo
	v_cmpx_eq_u16_e32 0x80, v23
; %bb.1391:                             ;   in Loop: Header=BB4_1353 Depth=4
	s_xor_b32 s15, exec_lo, -1
; %bb.1392:                             ;   in Loop: Header=BB4_1353 Depth=4
	s_or_b32 exec_lo, exec_lo, s76
	s_delay_alu instid0(SALU_CYCLE_1)
	s_and_b32 s15, s15, exec_lo
	s_or_saveexec_b32 s14, s14
	v_bfrev_b32_e32 v24, 1
	s_xor_b32 exec_lo, exec_lo, s14
	s_cbranch_execnz .LBB4_1397
.LBB4_1393:                             ;   in Loop: Header=BB4_1353 Depth=4
	s_or_b32 exec_lo, exec_lo, s14
	s_and_saveexec_b32 s14, s15
	s_cbranch_execnz .LBB4_1398
	s_branch .LBB4_1401
.LBB4_1394:                             ;   in Loop: Header=BB4_1353 Depth=4
	s_or_saveexec_b32 s15, s15
	v_bfrev_b32_e32 v22, 1
	s_xor_b32 exec_lo, exec_lo, s15
	s_cbranch_execz .LBB4_1363
.LBB4_1395:                             ;   in Loop: Header=BB4_1353 Depth=4
	v_cmp_ne_u16_e64 s13, 0, v23
	v_mov_b32_e32 v22, 0
	s_and_not1_b32 s14, s14, exec_lo
	s_and_b32 s13, s13, exec_lo
	s_delay_alu instid0(SALU_CYCLE_1)
	s_or_b32 s14, s14, s13
	s_or_b32 exec_lo, exec_lo, s15
	s_and_saveexec_b32 s15, s14
	s_cbranch_execnz .LBB4_1364
	s_branch .LBB4_1365
.LBB4_1396:                             ;   in Loop: Header=BB4_1353 Depth=4
	s_or_saveexec_b32 s14, s14
	v_bfrev_b32_e32 v24, 1
	s_xor_b32 exec_lo, exec_lo, s14
	s_cbranch_execz .LBB4_1393
.LBB4_1397:                             ;   in Loop: Header=BB4_1353 Depth=4
	v_cmp_ne_u16_e64 s13, 0, v23
	v_mov_b32_e32 v24, 0
	s_and_not1_b32 s15, s15, exec_lo
	s_and_b32 s13, s13, exec_lo
	s_delay_alu instid0(SALU_CYCLE_1)
	s_or_b32 s15, s15, s13
	s_or_b32 exec_lo, exec_lo, s14
	s_and_saveexec_b32 s14, s15
	s_cbranch_execz .LBB4_1401
.LBB4_1398:                             ;   in Loop: Header=BB4_1353 Depth=4
	v_and_b32_e32 v2, 0xffff, v23
	v_mov_b32_e32 v24, 0x7f800001
	s_mov_b32 s15, exec_lo
	s_delay_alu instid0(VALU_DEP_2) | instskip(NEXT) | instid1(VALU_DEP_1)
	v_and_b32_e32 v25, 0x7f, v2
	v_cmpx_ne_u32_e32 0x7f, v25
	s_cbranch_execz .LBB4_1400
; %bb.1399:                             ;   in Loop: Header=BB4_1353 Depth=4
	v_and_b32_e32 v24, 7, v2
	v_cmp_gt_u32_e64 s13, 8, v25
	s_delay_alu instid0(VALU_DEP_2) | instskip(NEXT) | instid1(VALU_DEP_1)
	v_clz_i32_u32_e32 v26, v24
	v_min_u32_e32 v28, 32, v26
	s_delay_alu instid0(VALU_DEP_1) | instskip(NEXT) | instid1(VALU_DEP_1)
	v_subrev_nc_u32_e32 v26, 28, v28
	v_lshlrev_b64_e32 v[26:27], v26, v[2:3]
	v_dual_lshrrev_b32 v2, 3, v25 :: v_dual_sub_nc_u32 v27, 29, v28
	s_delay_alu instid0(VALU_DEP_2) | instskip(NEXT) | instid1(VALU_DEP_1)
	v_dual_lshlrev_b32 v23, 24, v23 :: v_dual_bitop2_b32 v25, 7, v26 bitop3:0x40
	v_dual_cndmask_b32 v24, v24, v25, s13 :: v_dual_cndmask_b32 v2, v2, v27, s13
	s_delay_alu instid0(VALU_DEP_2) | instskip(NEXT) | instid1(VALU_DEP_2)
	v_and_b32_e32 v23, 0x80000000, v23
	v_lshlrev_b32_e32 v24, 20, v24
	s_delay_alu instid0(VALU_DEP_3) | instskip(NEXT) | instid1(VALU_DEP_1)
	v_lshl_add_u32 v2, v2, 23, 0x3c000000
	v_or3_b32 v24, v24, v23, v2
.LBB4_1400:                             ;   in Loop: Header=BB4_1353 Depth=4
	s_or_b32 exec_lo, exec_lo, s15
.LBB4_1401:                             ;   in Loop: Header=BB4_1353 Depth=4
	s_delay_alu instid0(SALU_CYCLE_1) | instskip(NEXT) | instid1(VALU_DEP_1)
	s_or_b32 exec_lo, exec_lo, s14
	v_add_f32_e32 v22, v22, v24
                                        ; implicit-def: $vgpr77
	s_mov_b32 s14, exec_lo
	s_delay_alu instid0(VALU_DEP_1) | instskip(SKIP_1) | instid1(VALU_DEP_2)
	v_and_b32_e32 v2, 0x7f800000, v22
	v_lshrrev_b32_e32 v23, 24, v22
	v_cmpx_ne_u64_e32 0x7f800000, v[2:3]
	s_xor_b32 s15, exec_lo, s14
	s_cbranch_execz .LBB4_1415
; %bb.1402:                             ;   in Loop: Header=BB4_1353 Depth=4
	v_and_b32_e32 v2, 0x7fffffff, v22
	v_and_b32_e32 v26, 0x80, v23
                                        ; implicit-def: $vgpr77
	s_mov_b32 s14, exec_lo
	s_delay_alu instid0(VALU_DEP_2)
	v_cmpx_gt_u64_e32 0x43e00001, v[2:3]
	s_xor_b32 s76, exec_lo, s14
	s_cbranch_execz .LBB4_1412
; %bb.1403:                             ;   in Loop: Header=BB4_1353 Depth=4
	v_mov_b32_e32 v77, 0
	s_mov_b32 s77, exec_lo
	v_cmpx_ne_u32_e32 0, v22
	s_cbranch_execz .LBB4_1411
; %bb.1404:                             ;   in Loop: Header=BB4_1353 Depth=4
	v_bfe_u32 v24, v22, 23, 8
	s_mov_b32 s78, exec_lo
	s_delay_alu instid0(VALU_DEP_1) | instskip(SKIP_1) | instid1(VALU_DEP_1)
	v_sub_nc_u32_e32 v2, 0x79, v24
	v_cmp_gt_u32_e64 s13, 0x7a, v24
	v_cndmask_b32_e64 v2, 0, v2, s13
	v_cmp_eq_u32_e64 s13, 0, v24
	s_delay_alu instid0(VALU_DEP_1) | instskip(SKIP_1) | instid1(VALU_DEP_2)
	v_cndmask_b32_e64 v25, v2, 0x78, s13
	v_and_b32_e32 v2, 0x7fffff, v22
	v_add_nc_u32_e32 v22, 20, v25
	s_delay_alu instid0(VALU_DEP_2) | instskip(SKIP_1) | instid1(VALU_DEP_3)
	v_or_b32_e32 v27, 0x800000, v2
	v_add_nc_u32_e32 v28, 19, v25
	v_lshlrev_b64_e64 v[22:23], v22, -1
	s_delay_alu instid0(VALU_DEP_3) | instskip(NEXT) | instid1(VALU_DEP_3)
	v_cndmask_b32_e64 v2, v27, v2, s13
	v_lshlrev_b64_e64 v[28:29], v28, 1
	s_delay_alu instid0(VALU_DEP_3) | instskip(NEXT) | instid1(VALU_DEP_3)
	v_bfi_b32 v69, v23, 0, 0
	v_bfi_b32 v68, v22, 0, v2
	v_lshrrev_b64 v[22:23], v25, v[2:3]
	s_delay_alu instid0(VALU_DEP_1) | instskip(NEXT) | instid1(VALU_DEP_3)
	v_mov_b64_e32 v[58:59], v[22:23]
	v_cmpx_eq_u64_e64 v[68:69], v[28:29]
; %bb.1405:                             ;   in Loop: Header=BB4_1353 Depth=4
	v_bfe_u32 v2, v22, 20, 1
	s_delay_alu instid0(VALU_DEP_1) | instskip(NEXT) | instid1(VALU_DEP_1)
	v_add_nc_u64_e32 v[28:29], v[22:23], v[2:3]
	v_add_nc_u64_e32 v[58:59], -1, v[28:29]
; %bb.1406:                             ;   in Loop: Header=BB4_1353 Depth=4
	s_or_b32 exec_lo, exec_lo, s78
	v_add_nc_u32_e32 v2, 0xffffff81, v24
	v_lshrrev_b32_e32 v23, 23, v22
	s_mov_b32 s14, exec_lo
                                        ; implicit-def: $vgpr24
	s_delay_alu instid0(VALU_DEP_2) | instskip(NEXT) | instid1(VALU_DEP_1)
	v_cndmask_b32_e64 v2, v2, 0xffffff82, s13
	v_add3_u32 v25, v25, v2, v23
	v_and_b32_e32 v2, 0xfffff, v58
	s_delay_alu instid0(VALU_DEP_1) | instskip(NEXT) | instid1(VALU_DEP_1)
	v_dual_add_nc_u32 v27, 6, v25 :: v_dual_add_nc_u32 v2, v2, v22
                                        ; implicit-def: $vgpr22_vgpr23
	v_cmpx_ne_u32_e32 0, v27
	s_xor_b32 s14, exec_lo, s14
; %bb.1407:                             ;   in Loop: Header=BB4_1353 Depth=4
	s_delay_alu instid0(VALU_DEP_2) | instskip(SKIP_1) | instid1(VALU_DEP_1)
	v_cmp_lt_u64_e64 s13, 0xffffff, v[2:3]
	v_add_nc_u32_e32 v22, 7, v25
	v_cndmask_b32_e64 v24, v27, v22, s13
	v_cndmask_b32_e64 v22, 0, 1, s13
	s_delay_alu instid0(VALU_DEP_1)
	v_lshrrev_b64 v[22:23], v22, v[2:3]
; %bb.1408:                             ;   in Loop: Header=BB4_1353 Depth=4
	s_and_not1_saveexec_b32 s13, s14
; %bb.1409:                             ;   in Loop: Header=BB4_1353 Depth=4
	v_mov_b64_e32 v[22:23], v[2:3]
	v_bfe_u32 v24, v2, 23, 1
; %bb.1410:                             ;   in Loop: Header=BB4_1353 Depth=4
	s_or_b32 exec_lo, exec_lo, s13
	s_delay_alu instid0(VALU_DEP_2) | instskip(NEXT) | instid1(VALU_DEP_2)
	v_lshrrev_b64 v[22:23], 20, v[22:23]
	v_cmp_gt_i32_e64 s13, 16, v24
	v_min_i32_e32 v2, 15, v24
	v_cmp_eq_u32_e64 s14, 0, v24
	s_delay_alu instid0(VALU_DEP_2) | instskip(SKIP_1) | instid1(VALU_DEP_2)
	v_dual_cndmask_b32 v23, 0, v23, s13 :: v_dual_lshlrev_b32 v2, 3, v2
	v_cndmask_b32_e64 v22, 7, v22, s13
	v_and_b32_e32 v2, 0xf8, v2
	s_delay_alu instid0(VALU_DEP_2) | instskip(NEXT) | instid1(VALU_DEP_2)
	v_cmp_eq_u64_e64 s13, 0, v[22:23]
	v_and_or_b32 v2, v22, 7, v2
	s_and_b32 s13, s14, s13
	s_delay_alu instid0(VALU_DEP_1) | instid1(SALU_CYCLE_1)
	v_cndmask_b32_e64 v2, v2, 0, s13
	s_delay_alu instid0(VALU_DEP_1)
	v_or_b32_e32 v77, v2, v26
.LBB4_1411:                             ;   in Loop: Header=BB4_1353 Depth=4
	s_or_b32 exec_lo, exec_lo, s77
                                        ; implicit-def: $vgpr26
.LBB4_1412:                             ;   in Loop: Header=BB4_1353 Depth=4
	s_and_not1_saveexec_b32 s13, s76
; %bb.1413:                             ;   in Loop: Header=BB4_1353 Depth=4
	v_or_b32_e32 v77, 0x7e, v26
; %bb.1414:                             ;   in Loop: Header=BB4_1353 Depth=4
	s_or_b32 exec_lo, exec_lo, s13
                                        ; implicit-def: $vgpr23
.LBB4_1415:                             ;   in Loop: Header=BB4_1353 Depth=4
	s_and_not1_saveexec_b32 s13, s15
; %bb.1416:                             ;   in Loop: Header=BB4_1353 Depth=4
	v_or_b32_e32 v77, 0x7f, v23
; %bb.1417:                             ;   in Loop: Header=BB4_1353 Depth=4
	s_or_b32 exec_lo, exec_lo, s13
	v_dual_mov_b32 v22, 0 :: v_dual_lshrrev_b32 v23, 16, v12
	s_mov_b32 s14, exec_lo
	s_delay_alu instid0(VALU_DEP_1) | instskip(NEXT) | instid1(VALU_DEP_1)
	v_and_b32_e32 v2, 0xff, v23
	v_cmpx_ne_u16_e32 0, v2
	s_cbranch_execz .LBB4_1425
; %bb.1418:                             ;   in Loop: Header=BB4_1353 Depth=4
	v_bfrev_b32_e32 v22, 1
	s_mov_b32 s15, exec_lo
	v_cmpx_ne_u16_e32 0x80, v2
	s_cbranch_execz .LBB4_1424
; %bb.1419:                             ;   in Loop: Header=BB4_1353 Depth=4
	v_bfe_u32 v24, v12, 16, 7
	v_mov_b32_e32 v22, 0x7f800001
	s_mov_b32 s76, exec_lo
	s_delay_alu instid0(VALU_DEP_2)
	v_cmpx_ne_u32_e32 0x7f, v24
	s_cbranch_execz .LBB4_1423
; %bb.1420:                             ;   in Loop: Header=BB4_1353 Depth=4
	v_dual_lshrrev_b32 v22, 3, v24 :: v_dual_bitop2_b32 v2, 7, v23 bitop3:0x40
	s_mov_b32 s77, exec_lo
	v_cmpx_gt_u32_e32 8, v24
; %bb.1421:                             ;   in Loop: Header=BB4_1353 Depth=4
	s_delay_alu instid0(VALU_DEP_2) | instskip(NEXT) | instid1(VALU_DEP_1)
	v_clz_i32_u32_e32 v22, v2
	v_min_u32_e32 v22, 32, v22
	s_delay_alu instid0(VALU_DEP_1) | instskip(NEXT) | instid1(VALU_DEP_1)
	v_subrev_nc_u32_e32 v24, 28, v22
	v_lshlrev_b64_e32 v[24:25], v24, v[2:3]
	s_delay_alu instid0(VALU_DEP_1)
	v_dual_sub_nc_u32 v22, 29, v22 :: v_dual_bitop2_b32 v2, 7, v24 bitop3:0x40
; %bb.1422:                             ;   in Loop: Header=BB4_1353 Depth=4
	s_or_b32 exec_lo, exec_lo, s77
	s_delay_alu instid0(VALU_DEP_1) | instskip(NEXT) | instid1(VALU_DEP_2)
	v_dual_lshlrev_b32 v23, 24, v23 :: v_dual_lshlrev_b32 v2, 20, v2
	v_lshl_add_u32 v22, v22, 23, 0x3c000000
	s_delay_alu instid0(VALU_DEP_2) | instskip(NEXT) | instid1(VALU_DEP_1)
	v_and_b32_e32 v23, 0x80000000, v23
	v_or3_b32 v22, v2, v23, v22
.LBB4_1423:                             ;   in Loop: Header=BB4_1353 Depth=4
	s_or_b32 exec_lo, exec_lo, s76
.LBB4_1424:                             ;   in Loop: Header=BB4_1353 Depth=4
	s_delay_alu instid0(SALU_CYCLE_1)
	s_or_b32 exec_lo, exec_lo, s15
.LBB4_1425:                             ;   in Loop: Header=BB4_1353 Depth=4
	s_delay_alu instid0(SALU_CYCLE_1) | instskip(SKIP_3) | instid1(VALU_DEP_1)
	s_or_b32 exec_lo, exec_lo, s14
	v_lshrrev_b32_e32 v2, 16, v8
	s_mov_b32 s15, 0
	s_mov_b32 s14, exec_lo
	v_and_b32_e32 v24, 0xff, v2
	s_delay_alu instid0(VALU_DEP_1)
	v_cmpx_lt_i16_e32 0x7f, v24
	s_xor_b32 s14, exec_lo, s14
	s_cbranch_execz .LBB4_1430
; %bb.1426:                             ;   in Loop: Header=BB4_1353 Depth=4
	s_mov_b32 s15, -1
	s_mov_b32 s76, exec_lo
	v_cmpx_eq_u16_e32 0x80, v24
; %bb.1427:                             ;   in Loop: Header=BB4_1353 Depth=4
	s_xor_b32 s15, exec_lo, -1
; %bb.1428:                             ;   in Loop: Header=BB4_1353 Depth=4
	s_or_b32 exec_lo, exec_lo, s76
	s_delay_alu instid0(SALU_CYCLE_1)
	s_and_b32 s15, s15, exec_lo
                                        ; implicit-def: $vgpr24
	s_or_saveexec_b32 s14, s14
	v_bfrev_b32_e32 v23, 1
	s_xor_b32 exec_lo, exec_lo, s14
	s_cbranch_execnz .LBB4_1431
.LBB4_1429:                             ;   in Loop: Header=BB4_1353 Depth=4
	s_or_b32 exec_lo, exec_lo, s14
	s_and_saveexec_b32 s14, s15
	s_cbranch_execnz .LBB4_1432
	s_branch .LBB4_1435
.LBB4_1430:                             ;   in Loop: Header=BB4_1353 Depth=4
	s_or_saveexec_b32 s14, s14
	v_bfrev_b32_e32 v23, 1
	s_xor_b32 exec_lo, exec_lo, s14
	s_cbranch_execz .LBB4_1429
.LBB4_1431:                             ;   in Loop: Header=BB4_1353 Depth=4
	v_cmp_ne_u16_e64 s13, 0, v24
	v_mov_b32_e32 v23, 0
	s_and_not1_b32 s15, s15, exec_lo
	s_and_b32 s13, s13, exec_lo
	s_delay_alu instid0(SALU_CYCLE_1)
	s_or_b32 s15, s15, s13
	s_or_b32 exec_lo, exec_lo, s14
	s_and_saveexec_b32 s14, s15
	s_cbranch_execz .LBB4_1435
.LBB4_1432:                             ;   in Loop: Header=BB4_1353 Depth=4
	v_and_b32_e32 v24, 0x7f, v2
	v_mov_b32_e32 v23, 0x7f800001
	s_mov_b32 s15, exec_lo
	s_delay_alu instid0(VALU_DEP_2)
	v_cmpx_ne_u32_e32 0x7f, v24
	s_cbranch_execz .LBB4_1434
; %bb.1433:                             ;   in Loop: Header=BB4_1353 Depth=4
	v_and_b32_e32 v23, 7, v2
	v_cmp_gt_u32_e64 s13, 8, v24
	s_delay_alu instid0(VALU_DEP_2) | instskip(NEXT) | instid1(VALU_DEP_1)
	v_clz_i32_u32_e32 v25, v23
	v_min_u32_e32 v25, 32, v25
	s_delay_alu instid0(VALU_DEP_1) | instskip(NEXT) | instid1(VALU_DEP_1)
	v_subrev_nc_u32_e32 v26, 28, v25
	v_lshlrev_b64_e32 v[26:27], v26, v[2:3]
	v_dual_lshrrev_b32 v27, 3, v24 :: v_dual_sub_nc_u32 v25, 29, v25
	s_delay_alu instid0(VALU_DEP_2) | instskip(NEXT) | instid1(VALU_DEP_2)
	v_and_b32_e32 v24, 7, v26
	v_dual_lshlrev_b32 v2, 24, v2 :: v_dual_cndmask_b32 v25, v27, v25, s13
	s_delay_alu instid0(VALU_DEP_2) | instskip(NEXT) | instid1(VALU_DEP_2)
	v_cndmask_b32_e64 v23, v23, v24, s13
	v_and_b32_e32 v2, 0x80000000, v2
	s_delay_alu instid0(VALU_DEP_3) | instskip(NEXT) | instid1(VALU_DEP_3)
	v_lshl_add_u32 v24, v25, 23, 0x3c000000
	v_lshlrev_b32_e32 v23, 20, v23
	s_delay_alu instid0(VALU_DEP_1)
	v_or3_b32 v23, v23, v2, v24
.LBB4_1434:                             ;   in Loop: Header=BB4_1353 Depth=4
	s_or_b32 exec_lo, exec_lo, s15
.LBB4_1435:                             ;   in Loop: Header=BB4_1353 Depth=4
	s_delay_alu instid0(SALU_CYCLE_1) | instskip(NEXT) | instid1(VALU_DEP_1)
	s_or_b32 exec_lo, exec_lo, s14
	v_add_f32_e32 v22, v22, v23
                                        ; implicit-def: $vgpr78
	s_mov_b32 s14, exec_lo
	s_delay_alu instid0(VALU_DEP_1) | instskip(SKIP_1) | instid1(VALU_DEP_2)
	v_and_b32_e32 v2, 0x7f800000, v22
	v_lshrrev_b32_e32 v23, 24, v22
	v_cmpx_ne_u64_e32 0x7f800000, v[2:3]
	s_xor_b32 s15, exec_lo, s14
	s_cbranch_execz .LBB4_1449
; %bb.1436:                             ;   in Loop: Header=BB4_1353 Depth=4
	v_and_b32_e32 v2, 0x7fffffff, v22
	v_and_b32_e32 v26, 0x80, v23
                                        ; implicit-def: $vgpr78
	s_mov_b32 s14, exec_lo
	s_delay_alu instid0(VALU_DEP_2)
	v_cmpx_gt_u64_e32 0x43e00001, v[2:3]
	s_xor_b32 s76, exec_lo, s14
	s_cbranch_execz .LBB4_1446
; %bb.1437:                             ;   in Loop: Header=BB4_1353 Depth=4
	v_mov_b32_e32 v78, 0
	s_mov_b32 s77, exec_lo
	v_cmpx_ne_u32_e32 0, v22
	s_cbranch_execz .LBB4_1445
; %bb.1438:                             ;   in Loop: Header=BB4_1353 Depth=4
	v_bfe_u32 v24, v22, 23, 8
	s_mov_b32 s78, exec_lo
	s_delay_alu instid0(VALU_DEP_1) | instskip(SKIP_1) | instid1(VALU_DEP_1)
	v_sub_nc_u32_e32 v2, 0x79, v24
	v_cmp_gt_u32_e64 s13, 0x7a, v24
	v_cndmask_b32_e64 v2, 0, v2, s13
	v_cmp_eq_u32_e64 s13, 0, v24
	s_delay_alu instid0(VALU_DEP_1) | instskip(SKIP_1) | instid1(VALU_DEP_2)
	v_cndmask_b32_e64 v25, v2, 0x78, s13
	v_and_b32_e32 v2, 0x7fffff, v22
	v_add_nc_u32_e32 v22, 20, v25
	s_delay_alu instid0(VALU_DEP_2) | instskip(SKIP_1) | instid1(VALU_DEP_3)
	v_or_b32_e32 v27, 0x800000, v2
	v_add_nc_u32_e32 v28, 19, v25
	v_lshlrev_b64_e64 v[22:23], v22, -1
	s_delay_alu instid0(VALU_DEP_3) | instskip(NEXT) | instid1(VALU_DEP_3)
	v_cndmask_b32_e64 v2, v27, v2, s13
	v_lshlrev_b64_e64 v[28:29], v28, 1
	s_delay_alu instid0(VALU_DEP_3) | instskip(NEXT) | instid1(VALU_DEP_3)
	v_bfi_b32 v69, v23, 0, 0
	v_bfi_b32 v68, v22, 0, v2
	v_lshrrev_b64 v[22:23], v25, v[2:3]
	s_delay_alu instid0(VALU_DEP_1) | instskip(NEXT) | instid1(VALU_DEP_3)
	v_mov_b64_e32 v[58:59], v[22:23]
	v_cmpx_eq_u64_e64 v[68:69], v[28:29]
; %bb.1439:                             ;   in Loop: Header=BB4_1353 Depth=4
	v_bfe_u32 v2, v22, 20, 1
	s_delay_alu instid0(VALU_DEP_1) | instskip(NEXT) | instid1(VALU_DEP_1)
	v_add_nc_u64_e32 v[28:29], v[22:23], v[2:3]
	v_add_nc_u64_e32 v[58:59], -1, v[28:29]
; %bb.1440:                             ;   in Loop: Header=BB4_1353 Depth=4
	s_or_b32 exec_lo, exec_lo, s78
	v_add_nc_u32_e32 v2, 0xffffff81, v24
	v_lshrrev_b32_e32 v23, 23, v22
	s_mov_b32 s14, exec_lo
                                        ; implicit-def: $vgpr24
	s_delay_alu instid0(VALU_DEP_2) | instskip(NEXT) | instid1(VALU_DEP_1)
	v_cndmask_b32_e64 v2, v2, 0xffffff82, s13
	v_add3_u32 v25, v25, v2, v23
	v_and_b32_e32 v2, 0xfffff, v58
	s_delay_alu instid0(VALU_DEP_1) | instskip(NEXT) | instid1(VALU_DEP_1)
	v_dual_add_nc_u32 v27, 6, v25 :: v_dual_add_nc_u32 v2, v2, v22
                                        ; implicit-def: $vgpr22_vgpr23
	v_cmpx_ne_u32_e32 0, v27
	s_xor_b32 s14, exec_lo, s14
; %bb.1441:                             ;   in Loop: Header=BB4_1353 Depth=4
	s_delay_alu instid0(VALU_DEP_2) | instskip(SKIP_1) | instid1(VALU_DEP_1)
	v_cmp_lt_u64_e64 s13, 0xffffff, v[2:3]
	v_add_nc_u32_e32 v22, 7, v25
	v_cndmask_b32_e64 v24, v27, v22, s13
	v_cndmask_b32_e64 v22, 0, 1, s13
	s_delay_alu instid0(VALU_DEP_1)
	v_lshrrev_b64 v[22:23], v22, v[2:3]
; %bb.1442:                             ;   in Loop: Header=BB4_1353 Depth=4
	s_and_not1_saveexec_b32 s13, s14
; %bb.1443:                             ;   in Loop: Header=BB4_1353 Depth=4
	v_mov_b64_e32 v[22:23], v[2:3]
	v_bfe_u32 v24, v2, 23, 1
; %bb.1444:                             ;   in Loop: Header=BB4_1353 Depth=4
	s_or_b32 exec_lo, exec_lo, s13
	s_delay_alu instid0(VALU_DEP_2) | instskip(NEXT) | instid1(VALU_DEP_2)
	v_lshrrev_b64 v[22:23], 20, v[22:23]
	v_cmp_gt_i32_e64 s13, 16, v24
	v_min_i32_e32 v2, 15, v24
	v_cmp_eq_u32_e64 s14, 0, v24
	s_delay_alu instid0(VALU_DEP_2) | instskip(SKIP_1) | instid1(VALU_DEP_2)
	v_dual_cndmask_b32 v23, 0, v23, s13 :: v_dual_lshlrev_b32 v2, 3, v2
	v_cndmask_b32_e64 v22, 7, v22, s13
	v_and_b32_e32 v2, 0xf8, v2
	s_delay_alu instid0(VALU_DEP_2) | instskip(NEXT) | instid1(VALU_DEP_2)
	v_cmp_eq_u64_e64 s13, 0, v[22:23]
	v_and_or_b32 v2, v22, 7, v2
	s_and_b32 s13, s14, s13
	s_delay_alu instid0(VALU_DEP_1) | instid1(SALU_CYCLE_1)
	v_cndmask_b32_e64 v2, v2, 0, s13
	s_delay_alu instid0(VALU_DEP_1)
	v_or_b32_e32 v78, v2, v26
.LBB4_1445:                             ;   in Loop: Header=BB4_1353 Depth=4
	s_or_b32 exec_lo, exec_lo, s77
                                        ; implicit-def: $vgpr26
.LBB4_1446:                             ;   in Loop: Header=BB4_1353 Depth=4
	s_and_not1_saveexec_b32 s13, s76
; %bb.1447:                             ;   in Loop: Header=BB4_1353 Depth=4
	v_or_b32_e32 v78, 0x7e, v26
; %bb.1448:                             ;   in Loop: Header=BB4_1353 Depth=4
	s_or_b32 exec_lo, exec_lo, s13
                                        ; implicit-def: $vgpr23
.LBB4_1449:                             ;   in Loop: Header=BB4_1353 Depth=4
	s_and_not1_saveexec_b32 s13, s15
; %bb.1450:                             ;   in Loop: Header=BB4_1353 Depth=4
	v_or_b32_e32 v78, 0x7f, v23
; %bb.1451:                             ;   in Loop: Header=BB4_1353 Depth=4
	s_or_b32 exec_lo, exec_lo, s13
	v_mov_b32_e32 v22, 0
	s_mov_b32 s14, exec_lo
	v_cmpx_lt_u32_e32 0xffffff, v12
	s_cbranch_execz .LBB4_1459
; %bb.1452:                             ;   in Loop: Header=BB4_1353 Depth=4
	v_lshrrev_b32_e32 v23, 24, v12
	v_bfrev_b32_e32 v22, 1
	s_mov_b32 s15, exec_lo
	s_delay_alu instid0(VALU_DEP_2)
	v_cmpx_ne_u32_e32 0x80, v23
	s_cbranch_execz .LBB4_1458
; %bb.1453:                             ;   in Loop: Header=BB4_1353 Depth=4
	v_bfe_u32 v24, v12, 24, 7
	v_mov_b32_e32 v22, 0x7f800001
	s_mov_b32 s76, exec_lo
	s_delay_alu instid0(VALU_DEP_2)
	v_cmpx_ne_u32_e32 0x7f, v24
	s_cbranch_execz .LBB4_1457
; %bb.1454:                             ;   in Loop: Header=BB4_1353 Depth=4
	v_dual_lshrrev_b32 v22, 3, v24 :: v_dual_bitop2_b32 v2, 7, v23 bitop3:0x40
	s_mov_b32 s77, exec_lo
	v_cmpx_gt_u32_e32 8, v24
; %bb.1455:                             ;   in Loop: Header=BB4_1353 Depth=4
	s_delay_alu instid0(VALU_DEP_2) | instskip(NEXT) | instid1(VALU_DEP_1)
	v_clz_i32_u32_e32 v22, v2
	v_min_u32_e32 v22, 32, v22
	s_delay_alu instid0(VALU_DEP_1) | instskip(NEXT) | instid1(VALU_DEP_1)
	v_subrev_nc_u32_e32 v24, 28, v22
	v_lshlrev_b64_e32 v[24:25], v24, v[2:3]
	s_delay_alu instid0(VALU_DEP_1)
	v_dual_sub_nc_u32 v22, 29, v22 :: v_dual_bitop2_b32 v2, 7, v24 bitop3:0x40
; %bb.1456:                             ;   in Loop: Header=BB4_1353 Depth=4
	s_or_b32 exec_lo, exec_lo, s77
	s_delay_alu instid0(VALU_DEP_1) | instskip(NEXT) | instid1(VALU_DEP_2)
	v_dual_lshlrev_b32 v23, 24, v23 :: v_dual_lshlrev_b32 v2, 20, v2
	v_lshl_add_u32 v22, v22, 23, 0x3c000000
	s_delay_alu instid0(VALU_DEP_2) | instskip(NEXT) | instid1(VALU_DEP_1)
	v_and_b32_e32 v23, 0x80000000, v23
	v_or3_b32 v22, v2, v23, v22
.LBB4_1457:                             ;   in Loop: Header=BB4_1353 Depth=4
	s_or_b32 exec_lo, exec_lo, s76
.LBB4_1458:                             ;   in Loop: Header=BB4_1353 Depth=4
	s_delay_alu instid0(SALU_CYCLE_1)
	s_or_b32 exec_lo, exec_lo, s15
.LBB4_1459:                             ;   in Loop: Header=BB4_1353 Depth=4
	s_delay_alu instid0(SALU_CYCLE_1) | instskip(SKIP_3) | instid1(VALU_DEP_3)
	s_or_b32 exec_lo, exec_lo, s14
	v_lshrrev_b32_e32 v2, 24, v8
	v_bfe_u32 v23, v8, 24, 7
	v_cmp_gt_u32_e64 s15, 0x1000000, v8
	v_cmp_eq_u32_e64 s13, 0x80, v2
	s_delay_alu instid0(VALU_DEP_3) | instskip(NEXT) | instid1(VALU_DEP_2)
	v_cmp_eq_u32_e64 s14, 0x7f, v23
	v_cndmask_b32_e64 v24, 0x7f800001, v91, s13
	s_or_b32 s13, s13, s14
	s_delay_alu instid0(SALU_CYCLE_1) | instskip(NEXT) | instid1(VALU_DEP_1)
	s_nor_b32 s13, s15, s13
	v_cndmask_b32_e64 v24, v24, 0, s15
	s_and_saveexec_b32 s14, s13
	s_cbranch_execz .LBB4_1461
; %bb.1460:                             ;   in Loop: Header=BB4_1353 Depth=4
	v_and_b32_e32 v26, 7, v2
	v_cmp_gt_u32_e64 s13, 8, v23
	s_delay_alu instid0(VALU_DEP_2) | instskip(NEXT) | instid1(VALU_DEP_1)
	v_clz_i32_u32_e32 v24, v26
	v_min_u32_e32 v27, 32, v24
	s_delay_alu instid0(VALU_DEP_1) | instskip(NEXT) | instid1(VALU_DEP_1)
	v_subrev_nc_u32_e32 v24, 28, v27
	v_lshlrev_b64_e32 v[24:25], v24, v[2:3]
	v_lshrrev_b32_e32 v25, 3, v23
	v_dual_sub_nc_u32 v27, 29, v27 :: v_dual_lshlrev_b32 v2, 24, v2
	s_delay_alu instid0(VALU_DEP_1) | instskip(NEXT) | instid1(VALU_DEP_2)
	v_dual_cndmask_b32 v24, v25, v27, s13 :: v_dual_bitop2_b32 v23, 7, v24 bitop3:0x40
	v_and_b32_e32 v2, 0x80000000, v2
	s_delay_alu instid0(VALU_DEP_2) | instskip(NEXT) | instid1(VALU_DEP_3)
	v_cndmask_b32_e64 v23, v26, v23, s13
	v_lshl_add_u32 v24, v24, 23, 0x3c000000
	s_delay_alu instid0(VALU_DEP_2) | instskip(NEXT) | instid1(VALU_DEP_1)
	v_lshlrev_b32_e32 v23, 20, v23
	v_or3_b32 v24, v23, v2, v24
.LBB4_1461:                             ;   in Loop: Header=BB4_1353 Depth=4
	s_or_b32 exec_lo, exec_lo, s14
	s_delay_alu instid0(VALU_DEP_1) | instskip(SKIP_1) | instid1(VALU_DEP_1)
	v_add_f32_e32 v22, v22, v24
                                        ; implicit-def: $vgpr79
	s_mov_b32 s14, exec_lo
	v_and_b32_e32 v2, 0x7f800000, v22
	v_lshrrev_b32_e32 v23, 24, v22
	s_delay_alu instid0(VALU_DEP_2)
	v_cmpx_ne_u64_e32 0x7f800000, v[2:3]
	s_xor_b32 s15, exec_lo, s14
	s_cbranch_execz .LBB4_1475
; %bb.1462:                             ;   in Loop: Header=BB4_1353 Depth=4
	v_and_b32_e32 v2, 0x7fffffff, v22
	v_and_b32_e32 v26, 0x80, v23
                                        ; implicit-def: $vgpr79
	s_mov_b32 s14, exec_lo
	s_delay_alu instid0(VALU_DEP_2)
	v_cmpx_gt_u64_e32 0x43e00001, v[2:3]
	s_xor_b32 s76, exec_lo, s14
	s_cbranch_execz .LBB4_1472
; %bb.1463:                             ;   in Loop: Header=BB4_1353 Depth=4
	v_mov_b32_e32 v79, 0
	s_mov_b32 s77, exec_lo
	v_cmpx_ne_u32_e32 0, v22
	s_cbranch_execz .LBB4_1471
; %bb.1464:                             ;   in Loop: Header=BB4_1353 Depth=4
	v_bfe_u32 v24, v22, 23, 8
	s_mov_b32 s78, exec_lo
	s_delay_alu instid0(VALU_DEP_1) | instskip(SKIP_1) | instid1(VALU_DEP_1)
	v_sub_nc_u32_e32 v2, 0x79, v24
	v_cmp_gt_u32_e64 s13, 0x7a, v24
	v_cndmask_b32_e64 v2, 0, v2, s13
	v_cmp_eq_u32_e64 s13, 0, v24
	s_delay_alu instid0(VALU_DEP_1) | instskip(SKIP_1) | instid1(VALU_DEP_2)
	v_cndmask_b32_e64 v25, v2, 0x78, s13
	v_and_b32_e32 v2, 0x7fffff, v22
	v_add_nc_u32_e32 v22, 20, v25
	s_delay_alu instid0(VALU_DEP_2) | instskip(SKIP_1) | instid1(VALU_DEP_3)
	v_or_b32_e32 v27, 0x800000, v2
	v_add_nc_u32_e32 v28, 19, v25
	v_lshlrev_b64_e64 v[22:23], v22, -1
	s_delay_alu instid0(VALU_DEP_3) | instskip(NEXT) | instid1(VALU_DEP_3)
	v_cndmask_b32_e64 v2, v27, v2, s13
	v_lshlrev_b64_e64 v[28:29], v28, 1
	s_delay_alu instid0(VALU_DEP_3) | instskip(NEXT) | instid1(VALU_DEP_3)
	v_bfi_b32 v69, v23, 0, 0
	v_bfi_b32 v68, v22, 0, v2
	v_lshrrev_b64 v[22:23], v25, v[2:3]
	s_delay_alu instid0(VALU_DEP_1) | instskip(NEXT) | instid1(VALU_DEP_3)
	v_mov_b64_e32 v[58:59], v[22:23]
	v_cmpx_eq_u64_e64 v[68:69], v[28:29]
; %bb.1465:                             ;   in Loop: Header=BB4_1353 Depth=4
	v_bfe_u32 v2, v22, 20, 1
	s_delay_alu instid0(VALU_DEP_1) | instskip(NEXT) | instid1(VALU_DEP_1)
	v_add_nc_u64_e32 v[28:29], v[22:23], v[2:3]
	v_add_nc_u64_e32 v[58:59], -1, v[28:29]
; %bb.1466:                             ;   in Loop: Header=BB4_1353 Depth=4
	s_or_b32 exec_lo, exec_lo, s78
	v_add_nc_u32_e32 v2, 0xffffff81, v24
	v_lshrrev_b32_e32 v23, 23, v22
	s_mov_b32 s14, exec_lo
                                        ; implicit-def: $vgpr24
	s_delay_alu instid0(VALU_DEP_2) | instskip(NEXT) | instid1(VALU_DEP_1)
	v_cndmask_b32_e64 v2, v2, 0xffffff82, s13
	v_add3_u32 v25, v25, v2, v23
	v_and_b32_e32 v2, 0xfffff, v58
	s_delay_alu instid0(VALU_DEP_1) | instskip(NEXT) | instid1(VALU_DEP_1)
	v_dual_add_nc_u32 v27, 6, v25 :: v_dual_add_nc_u32 v2, v2, v22
                                        ; implicit-def: $vgpr22_vgpr23
	v_cmpx_ne_u32_e32 0, v27
	s_xor_b32 s14, exec_lo, s14
; %bb.1467:                             ;   in Loop: Header=BB4_1353 Depth=4
	s_delay_alu instid0(VALU_DEP_2) | instskip(SKIP_1) | instid1(VALU_DEP_1)
	v_cmp_lt_u64_e64 s13, 0xffffff, v[2:3]
	v_add_nc_u32_e32 v22, 7, v25
	v_cndmask_b32_e64 v24, v27, v22, s13
	v_cndmask_b32_e64 v22, 0, 1, s13
	s_delay_alu instid0(VALU_DEP_1)
	v_lshrrev_b64 v[22:23], v22, v[2:3]
; %bb.1468:                             ;   in Loop: Header=BB4_1353 Depth=4
	s_and_not1_saveexec_b32 s13, s14
; %bb.1469:                             ;   in Loop: Header=BB4_1353 Depth=4
	v_mov_b64_e32 v[22:23], v[2:3]
	v_bfe_u32 v24, v2, 23, 1
; %bb.1470:                             ;   in Loop: Header=BB4_1353 Depth=4
	s_or_b32 exec_lo, exec_lo, s13
	s_delay_alu instid0(VALU_DEP_2) | instskip(NEXT) | instid1(VALU_DEP_2)
	v_lshrrev_b64 v[22:23], 20, v[22:23]
	v_cmp_gt_i32_e64 s13, 16, v24
	v_min_i32_e32 v2, 15, v24
	v_cmp_eq_u32_e64 s14, 0, v24
	s_delay_alu instid0(VALU_DEP_2) | instskip(SKIP_1) | instid1(VALU_DEP_2)
	v_dual_cndmask_b32 v23, 0, v23, s13 :: v_dual_lshlrev_b32 v2, 3, v2
	v_cndmask_b32_e64 v22, 7, v22, s13
	v_and_b32_e32 v2, 0xf8, v2
	s_delay_alu instid0(VALU_DEP_2) | instskip(NEXT) | instid1(VALU_DEP_2)
	v_cmp_eq_u64_e64 s13, 0, v[22:23]
	v_and_or_b32 v2, v22, 7, v2
	s_and_b32 s13, s14, s13
	s_delay_alu instid0(VALU_DEP_1) | instid1(SALU_CYCLE_1)
	v_cndmask_b32_e64 v2, v2, 0, s13
	s_delay_alu instid0(VALU_DEP_1)
	v_or_b32_e32 v79, v2, v26
.LBB4_1471:                             ;   in Loop: Header=BB4_1353 Depth=4
	s_or_b32 exec_lo, exec_lo, s77
                                        ; implicit-def: $vgpr26
.LBB4_1472:                             ;   in Loop: Header=BB4_1353 Depth=4
	s_and_not1_saveexec_b32 s13, s76
; %bb.1473:                             ;   in Loop: Header=BB4_1353 Depth=4
	v_or_b32_e32 v79, 0x7e, v26
; %bb.1474:                             ;   in Loop: Header=BB4_1353 Depth=4
	s_or_b32 exec_lo, exec_lo, s13
                                        ; implicit-def: $vgpr23
.LBB4_1475:                             ;   in Loop: Header=BB4_1353 Depth=4
	s_and_not1_saveexec_b32 s13, s15
; %bb.1476:                             ;   in Loop: Header=BB4_1353 Depth=4
	v_or_b32_e32 v79, 0x7f, v23
; %bb.1477:                             ;   in Loop: Header=BB4_1353 Depth=4
	s_or_b32 exec_lo, exec_lo, s13
	v_and_b32_e32 v22, 0xff, v13
	v_dual_mov_b32 v2, v13 :: v_dual_mov_b32 v26, 0
	s_mov_b32 s14, exec_lo
	s_delay_alu instid0(VALU_DEP_2)
	v_cmpx_ne_u16_e32 0, v22
	s_cbranch_execz .LBB4_1483
; %bb.1478:                             ;   in Loop: Header=BB4_1353 Depth=4
	v_bfrev_b32_e32 v26, 1
	s_mov_b32 s15, exec_lo
	v_cmpx_ne_u16_e32 0x80, v22
	s_cbranch_execz .LBB4_1482
; %bb.1479:                             ;   in Loop: Header=BB4_1353 Depth=4
	v_and_b32_e32 v22, 0x7f, v13
	v_mov_b32_e32 v26, 0x7f800001
	s_mov_b32 s76, exec_lo
	s_delay_alu instid0(VALU_DEP_2)
	v_cmpx_ne_u32_e32 0x7f, v22
	s_cbranch_execz .LBB4_1481
; %bb.1480:                             ;   in Loop: Header=BB4_1353 Depth=4
	v_dual_lshrrev_b32 v24, 3, v22 :: v_dual_bitop2_b32 v23, 7, v13 bitop3:0x40
	v_cmp_gt_u32_e64 s13, 8, v22
	s_delay_alu instid0(VALU_DEP_2) | instskip(NEXT) | instid1(VALU_DEP_1)
	v_clz_i32_u32_e32 v23, v23
	v_min_u32_e32 v23, 32, v23
	s_delay_alu instid0(VALU_DEP_1) | instskip(NEXT) | instid1(VALU_DEP_1)
	v_subrev_nc_u32_e32 v25, 28, v23
	v_dual_sub_nc_u32 v23, 29, v23 :: v_dual_cndmask_b32 v22, 0, v25, s13
	s_delay_alu instid0(VALU_DEP_1) | instskip(NEXT) | instid1(VALU_DEP_2)
	v_cndmask_b32_e64 v24, v24, v23, s13
	v_lshlrev_b64_e32 v[22:23], v22, v[2:3]
	v_lshlrev_b32_e32 v23, 24, v2
	s_delay_alu instid0(VALU_DEP_3) | instskip(NEXT) | instid1(VALU_DEP_2)
	v_lshl_add_u32 v24, v24, 23, 0x3c000000
	v_and_b32_e32 v23, 0x80000000, v23
	s_delay_alu instid0(VALU_DEP_4) | instskip(NEXT) | instid1(VALU_DEP_1)
	v_lshlrev_b32_e32 v22, 20, v22
	v_and_b32_e32 v22, 0x700000, v22
	s_delay_alu instid0(VALU_DEP_1)
	v_or3_b32 v26, v22, v23, v24
.LBB4_1481:                             ;   in Loop: Header=BB4_1353 Depth=4
	s_or_b32 exec_lo, exec_lo, s76
.LBB4_1482:                             ;   in Loop: Header=BB4_1353 Depth=4
	s_delay_alu instid0(SALU_CYCLE_1)
	s_or_b32 exec_lo, exec_lo, s15
.LBB4_1483:                             ;   in Loop: Header=BB4_1353 Depth=4
	s_delay_alu instid0(SALU_CYCLE_1) | instskip(SKIP_4) | instid1(VALU_DEP_2)
	s_or_b32 exec_lo, exec_lo, s14
	v_and_b32_e32 v23, 0xff, v9
	v_mov_b32_e32 v22, v9
	s_mov_b32 s14, 0
	s_mov_b32 s15, exec_lo
	v_cmpx_lt_i16_e32 0x7f, v23
	s_xor_b32 s15, exec_lo, s15
	s_cbranch_execz .LBB4_1518
; %bb.1484:                             ;   in Loop: Header=BB4_1353 Depth=4
	s_mov_b32 s14, -1
	s_mov_b32 s76, exec_lo
	v_cmpx_eq_u16_e32 0x80, v23
; %bb.1485:                             ;   in Loop: Header=BB4_1353 Depth=4
	s_xor_b32 s14, exec_lo, -1
; %bb.1486:                             ;   in Loop: Header=BB4_1353 Depth=4
	s_or_b32 exec_lo, exec_lo, s76
	s_delay_alu instid0(SALU_CYCLE_1)
	s_and_b32 s14, s14, exec_lo
                                        ; implicit-def: $vgpr23
	s_or_saveexec_b32 s15, s15
	v_bfrev_b32_e32 v24, 1
	s_xor_b32 exec_lo, exec_lo, s15
	s_cbranch_execnz .LBB4_1519
.LBB4_1487:                             ;   in Loop: Header=BB4_1353 Depth=4
	s_or_b32 exec_lo, exec_lo, s15
	v_mov_b32_e32 v23, v3
	s_and_saveexec_b32 s15, s14
	s_cbranch_execz .LBB4_1489
.LBB4_1488:                             ;   in Loop: Header=BB4_1353 Depth=4
	v_and_b32_e32 v24, 7, v9
	v_and_b32_e32 v27, 0x7f, v9
	v_bfe_u32 v25, v9, 3, 4
	s_delay_alu instid0(VALU_DEP_3) | instskip(NEXT) | instid1(VALU_DEP_3)
	v_clz_i32_u32_e32 v24, v24
	v_cmp_gt_u32_e64 s13, 8, v27
	s_delay_alu instid0(VALU_DEP_2) | instskip(NEXT) | instid1(VALU_DEP_1)
	v_min_u32_e32 v24, 32, v24
	v_subrev_nc_u32_e32 v28, 28, v24
	v_sub_nc_u32_e32 v24, 29, v24
	s_delay_alu instid0(VALU_DEP_1) | instskip(NEXT) | instid1(VALU_DEP_3)
	v_cndmask_b32_e64 v29, v25, v24, s13
	v_cndmask_b32_e64 v24, 0, v28, s13
	v_cmp_ne_u32_e64 s13, 0x7f, v27
	s_delay_alu instid0(VALU_DEP_2) | instskip(SKIP_1) | instid1(VALU_DEP_1)
	v_lshlrev_b64_e32 v[24:25], v24, v[22:23]
	v_lshlrev_b32_e32 v23, 24, v22
	v_and_b32_e32 v23, 0x80000000, v23
	s_delay_alu instid0(VALU_DEP_3) | instskip(SKIP_1) | instid1(VALU_DEP_2)
	v_lshlrev_b32_e32 v24, 20, v24
	v_lshl_add_u32 v25, v29, 23, 0x3c000000
	v_and_b32_e32 v24, 0x700000, v24
	s_delay_alu instid0(VALU_DEP_1) | instskip(NEXT) | instid1(VALU_DEP_1)
	v_or3_b32 v23, v24, v23, v25
	v_cndmask_b32_e64 v24, 0x7f800001, v23, s13
.LBB4_1489:                             ;   in Loop: Header=BB4_1353 Depth=4
	s_or_b32 exec_lo, exec_lo, s15
	s_delay_alu instid0(VALU_DEP_1) | instskip(SKIP_1) | instid1(VALU_DEP_1)
	v_dual_add_f32 v24, v26, v24 :: v_dual_mov_b32 v27, v3
                                        ; implicit-def: $vgpr60
	s_mov_b32 s14, exec_lo
	v_and_b32_e32 v26, 0x7f800000, v24
	v_lshrrev_b32_e32 v23, 24, v24
	s_delay_alu instid0(VALU_DEP_2)
	v_cmpx_ne_u64_e32 0x7f800000, v[26:27]
	s_xor_b32 s15, exec_lo, s14
	s_cbranch_execz .LBB4_1503
; %bb.1490:                             ;   in Loop: Header=BB4_1353 Depth=4
	v_and_b32_e32 v26, 0x7fffffff, v24
	v_mov_b32_e32 v27, v3
	v_and_b32_e32 v23, 0x80, v23
                                        ; implicit-def: $vgpr60
	s_mov_b32 s14, exec_lo
	s_delay_alu instid0(VALU_DEP_2)
	v_cmpx_gt_u64_e32 0x43e00001, v[26:27]
	s_xor_b32 s76, exec_lo, s14
	s_cbranch_execz .LBB4_1500
; %bb.1491:                             ;   in Loop: Header=BB4_1353 Depth=4
	v_mov_b32_e32 v60, 0
	s_mov_b32 s77, exec_lo
	v_cmpx_ne_u32_e32 0, v24
	s_cbranch_execz .LBB4_1499
; %bb.1492:                             ;   in Loop: Header=BB4_1353 Depth=4
	v_bfe_u32 v25, v24, 23, 8
	v_and_b32_e32 v24, 0x7fffff, v24
	s_delay_alu instid0(VALU_DEP_2) | instskip(SKIP_1) | instid1(VALU_DEP_3)
	v_dual_mov_b32 v69, v3 :: v_dual_sub_nc_u32 v26, 0x79, v25
	v_cmp_gt_u32_e64 s13, 0x7a, v25
	v_or_b32_e32 v68, 0x800000, v24
	s_delay_alu instid0(VALU_DEP_2) | instskip(SKIP_1) | instid1(VALU_DEP_1)
	v_cndmask_b32_e64 v26, 0, v26, s13
	v_cmp_eq_u32_e64 s13, 0, v25
	v_cndmask_b32_e64 v68, v68, v24, s13
	s_delay_alu instid0(VALU_DEP_3) | instskip(NEXT) | instid1(VALU_DEP_1)
	v_cndmask_b32_e64 v26, v26, 0x78, s13
	v_add_nc_u32_e32 v27, 20, v26
	s_delay_alu instid0(VALU_DEP_3) | instskip(NEXT) | instid1(VALU_DEP_2)
	v_lshrrev_b64 v[58:59], v26, v[68:69]
	v_lshlrev_b64_e64 v[28:29], v27, -1
	v_add_nc_u32_e32 v27, 19, v26
	s_delay_alu instid0(VALU_DEP_1) | instskip(NEXT) | instid1(VALU_DEP_3)
	v_lshlrev_b64_e64 v[60:61], v27, 1
	v_bfi_b32 v29, v29, 0, 0
	s_delay_alu instid0(VALU_DEP_4) | instskip(NEXT) | instid1(VALU_DEP_1)
	v_bfi_b32 v28, v28, 0, v68
	v_cmp_eq_u64_e64 s14, v[28:29], v[60:61]
	v_mov_b64_e32 v[60:61], v[58:59]
	s_and_saveexec_b32 s78, s14
; %bb.1493:                             ;   in Loop: Header=BB4_1353 Depth=4
	v_bfe_u32 v28, v58, 20, 1
	v_mov_b32_e32 v29, v3
	s_delay_alu instid0(VALU_DEP_1) | instskip(NEXT) | instid1(VALU_DEP_1)
	v_add_nc_u64_e32 v[28:29], v[58:59], v[28:29]
	v_add_nc_u64_e32 v[60:61], -1, v[28:29]
; %bb.1494:                             ;   in Loop: Header=BB4_1353 Depth=4
	s_or_b32 exec_lo, exec_lo, s78
	v_dual_mov_b32 v59, v3 :: v_dual_add_nc_u32 v24, 0xffffff81, v25
	v_lshrrev_b32_e32 v25, 23, v58
	s_mov_b32 s14, exec_lo
	s_delay_alu instid0(VALU_DEP_2) | instskip(NEXT) | instid1(VALU_DEP_1)
	v_cndmask_b32_e64 v24, v24, 0xffffff82, s13
	v_add3_u32 v25, v26, v24, v25
	v_and_b32_e32 v24, 0xfffff, v60
	s_delay_alu instid0(VALU_DEP_1) | instskip(NEXT) | instid1(VALU_DEP_1)
	v_dual_add_nc_u32 v26, 6, v25 :: v_dual_add_nc_u32 v58, v24, v58
                                        ; implicit-def: $vgpr24
	v_cmpx_ne_u32_e32 0, v26
	s_xor_b32 s14, exec_lo, s14
; %bb.1495:                             ;   in Loop: Header=BB4_1353 Depth=4
	s_delay_alu instid0(VALU_DEP_2) | instskip(SKIP_1) | instid1(VALU_DEP_2)
	v_cmp_lt_u64_e64 s13, 0xffffff, v[58:59]
	v_add_nc_u32_e32 v24, 7, v25
	v_cndmask_b32_e64 v25, 0, 1, s13
	s_delay_alu instid0(VALU_DEP_2) | instskip(NEXT) | instid1(VALU_DEP_2)
	v_cndmask_b32_e64 v24, v26, v24, s13
	v_lshrrev_b64 v[58:59], v25, v[58:59]
; %bb.1496:                             ;   in Loop: Header=BB4_1353 Depth=4
	s_and_not1_saveexec_b32 s13, s14
; %bb.1497:                             ;   in Loop: Header=BB4_1353 Depth=4
	s_delay_alu instid0(VALU_DEP_1)
	v_bfe_u32 v24, v58, 23, 1
; %bb.1498:                             ;   in Loop: Header=BB4_1353 Depth=4
	s_or_b32 exec_lo, exec_lo, s13
	s_delay_alu instid0(VALU_DEP_2) | instskip(NEXT) | instid1(VALU_DEP_2)
	v_lshrrev_b64 v[26:27], 20, v[58:59]
	v_cmp_gt_i32_e64 s13, 16, v24
	v_min_i32_e32 v25, 15, v24
	v_cmp_eq_u32_e64 s14, 0, v24
	s_delay_alu instid0(VALU_DEP_2) | instskip(SKIP_1) | instid1(VALU_DEP_2)
	v_dual_cndmask_b32 v27, 0, v27, s13 :: v_dual_lshlrev_b32 v25, 3, v25
	v_cndmask_b32_e64 v26, 7, v26, s13
	v_and_b32_e32 v25, 0xf8, v25
	s_delay_alu instid0(VALU_DEP_2) | instskip(NEXT) | instid1(VALU_DEP_2)
	v_cmp_eq_u64_e64 s13, 0, v[26:27]
	v_and_or_b32 v24, v26, 7, v25
	s_and_b32 s13, s14, s13
	s_delay_alu instid0(VALU_DEP_1) | instid1(SALU_CYCLE_1)
	v_cndmask_b32_e64 v24, v24, 0, s13
	s_delay_alu instid0(VALU_DEP_1)
	v_or_b32_e32 v60, v24, v23
.LBB4_1499:                             ;   in Loop: Header=BB4_1353 Depth=4
	s_or_b32 exec_lo, exec_lo, s77
                                        ; implicit-def: $vgpr23
.LBB4_1500:                             ;   in Loop: Header=BB4_1353 Depth=4
	s_and_not1_saveexec_b32 s13, s76
; %bb.1501:                             ;   in Loop: Header=BB4_1353 Depth=4
	v_or_b32_e32 v60, 0x7e, v23
; %bb.1502:                             ;   in Loop: Header=BB4_1353 Depth=4
	s_or_b32 exec_lo, exec_lo, s13
                                        ; implicit-def: $vgpr23
.LBB4_1503:                             ;   in Loop: Header=BB4_1353 Depth=4
	s_and_not1_saveexec_b32 s13, s15
; %bb.1504:                             ;   in Loop: Header=BB4_1353 Depth=4
	v_or_b32_e32 v60, 0x7f, v23
; %bb.1505:                             ;   in Loop: Header=BB4_1353 Depth=4
	s_or_b32 exec_lo, exec_lo, s13
	v_lshrrev_b16 v24, 8, v2
	v_mov_b32_e32 v23, 0
	s_mov_b32 s14, exec_lo
	s_delay_alu instid0(VALU_DEP_2)
	v_cmpx_ne_u16_e32 0, v24
	s_cbranch_execz .LBB4_1513
; %bb.1506:                             ;   in Loop: Header=BB4_1353 Depth=4
	v_bfrev_b32_e32 v23, 1
	s_mov_b32 s15, exec_lo
	v_cmpx_ne_u16_e32 0x80, v24
	s_cbranch_execz .LBB4_1512
; %bb.1507:                             ;   in Loop: Header=BB4_1353 Depth=4
	v_and_b32_e32 v25, 0xffff, v24
	v_mov_b32_e32 v23, 0x7f800001
	s_mov_b32 s76, exec_lo
	s_delay_alu instid0(VALU_DEP_2) | instskip(NEXT) | instid1(VALU_DEP_1)
	v_and_b32_e32 v24, 0x7f, v25
	v_cmpx_ne_u32_e32 0x7f, v24
	s_cbranch_execz .LBB4_1511
; %bb.1508:                             ;   in Loop: Header=BB4_1353 Depth=4
	v_dual_mov_b32 v59, v3 :: v_dual_bitop2_b32 v58, 7, v25 bitop3:0x40
	v_lshrrev_b32_e32 v23, 3, v24
	s_mov_b32 s77, exec_lo
	v_cmpx_gt_u32_e32 8, v24
; %bb.1509:                             ;   in Loop: Header=BB4_1353 Depth=4
	s_delay_alu instid0(VALU_DEP_3) | instskip(NEXT) | instid1(VALU_DEP_1)
	v_clz_i32_u32_e32 v23, v58
	v_min_u32_e32 v23, 32, v23
	s_delay_alu instid0(VALU_DEP_1) | instskip(NEXT) | instid1(VALU_DEP_1)
	v_subrev_nc_u32_e32 v24, 28, v23
	v_lshlrev_b64_e32 v[24:25], v24, v[58:59]
	s_delay_alu instid0(VALU_DEP_1)
	v_dual_sub_nc_u32 v23, 29, v23 :: v_dual_bitop2_b32 v58, 7, v24 bitop3:0x40
; %bb.1510:                             ;   in Loop: Header=BB4_1353 Depth=4
	s_or_b32 exec_lo, exec_lo, s77
	v_lshlrev_b32_e32 v2, 16, v2
	s_delay_alu instid0(VALU_DEP_2) | instskip(NEXT) | instid1(VALU_DEP_3)
	v_lshlrev_b32_e32 v24, 20, v58
	v_lshl_add_u32 v23, v23, 23, 0x3c000000
	s_delay_alu instid0(VALU_DEP_3) | instskip(NEXT) | instid1(VALU_DEP_1)
	v_and_b32_e32 v2, 0x80000000, v2
	v_or3_b32 v23, v24, v2, v23
.LBB4_1511:                             ;   in Loop: Header=BB4_1353 Depth=4
	s_or_b32 exec_lo, exec_lo, s76
.LBB4_1512:                             ;   in Loop: Header=BB4_1353 Depth=4
	s_delay_alu instid0(SALU_CYCLE_1)
	s_or_b32 exec_lo, exec_lo, s15
.LBB4_1513:                             ;   in Loop: Header=BB4_1353 Depth=4
	s_delay_alu instid0(SALU_CYCLE_1) | instskip(SKIP_3) | instid1(VALU_DEP_1)
	s_or_b32 exec_lo, exec_lo, s14
	v_lshrrev_b16 v22, 8, v22
	s_mov_b32 s15, 0
	s_mov_b32 s14, exec_lo
	v_cmpx_lt_i16_e32 0x7f, v22
	s_xor_b32 s14, exec_lo, s14
	s_cbranch_execz .LBB4_1520
; %bb.1514:                             ;   in Loop: Header=BB4_1353 Depth=4
	s_mov_b32 s15, -1
	s_mov_b32 s76, exec_lo
	v_cmpx_eq_u16_e32 0x80, v22
; %bb.1515:                             ;   in Loop: Header=BB4_1353 Depth=4
	s_xor_b32 s15, exec_lo, -1
; %bb.1516:                             ;   in Loop: Header=BB4_1353 Depth=4
	s_or_b32 exec_lo, exec_lo, s76
	s_delay_alu instid0(SALU_CYCLE_1)
	s_and_b32 s15, s15, exec_lo
	s_or_saveexec_b32 s14, s14
	v_bfrev_b32_e32 v24, 1
	s_xor_b32 exec_lo, exec_lo, s14
	s_cbranch_execnz .LBB4_1521
.LBB4_1517:                             ;   in Loop: Header=BB4_1353 Depth=4
	s_or_b32 exec_lo, exec_lo, s14
	s_and_saveexec_b32 s14, s15
	s_cbranch_execnz .LBB4_1522
	s_branch .LBB4_1525
.LBB4_1518:                             ;   in Loop: Header=BB4_1353 Depth=4
	s_or_saveexec_b32 s15, s15
	v_bfrev_b32_e32 v24, 1
	s_xor_b32 exec_lo, exec_lo, s15
	s_cbranch_execz .LBB4_1487
.LBB4_1519:                             ;   in Loop: Header=BB4_1353 Depth=4
	v_cmp_ne_u16_e64 s13, 0, v23
	v_mov_b32_e32 v24, 0
	s_and_not1_b32 s14, s14, exec_lo
	s_and_b32 s13, s13, exec_lo
	s_delay_alu instid0(SALU_CYCLE_1)
	s_or_b32 s14, s14, s13
	s_or_b32 exec_lo, exec_lo, s15
	v_mov_b32_e32 v23, v3
	s_and_saveexec_b32 s15, s14
	s_cbranch_execnz .LBB4_1488
	s_branch .LBB4_1489
.LBB4_1520:                             ;   in Loop: Header=BB4_1353 Depth=4
	s_or_saveexec_b32 s14, s14
	v_bfrev_b32_e32 v24, 1
	s_xor_b32 exec_lo, exec_lo, s14
	s_cbranch_execz .LBB4_1517
.LBB4_1521:                             ;   in Loop: Header=BB4_1353 Depth=4
	v_cmp_ne_u16_e64 s13, 0, v22
	v_mov_b32_e32 v24, 0
	s_and_not1_b32 s15, s15, exec_lo
	s_and_b32 s13, s13, exec_lo
	s_delay_alu instid0(SALU_CYCLE_1)
	s_or_b32 s15, s15, s13
	s_or_b32 exec_lo, exec_lo, s14
	s_and_saveexec_b32 s14, s15
	s_cbranch_execz .LBB4_1525
.LBB4_1522:                             ;   in Loop: Header=BB4_1353 Depth=4
	v_and_b32_e32 v2, 0xffff, v22
	v_mov_b32_e32 v24, 0x7f800001
	s_mov_b32 s15, exec_lo
	s_delay_alu instid0(VALU_DEP_2) | instskip(NEXT) | instid1(VALU_DEP_1)
	v_and_b32_e32 v25, 0x7f, v2
	v_cmpx_ne_u32_e32 0x7f, v25
	s_cbranch_execz .LBB4_1524
; %bb.1523:                             ;   in Loop: Header=BB4_1353 Depth=4
	v_and_b32_e32 v24, 7, v2
	v_cmp_gt_u32_e64 s13, 8, v25
	s_delay_alu instid0(VALU_DEP_2) | instskip(NEXT) | instid1(VALU_DEP_1)
	v_clz_i32_u32_e32 v26, v24
	v_min_u32_e32 v28, 32, v26
	s_delay_alu instid0(VALU_DEP_1) | instskip(NEXT) | instid1(VALU_DEP_1)
	v_subrev_nc_u32_e32 v26, 28, v28
	v_lshlrev_b64_e32 v[26:27], v26, v[2:3]
	v_dual_lshrrev_b32 v2, 3, v25 :: v_dual_sub_nc_u32 v27, 29, v28
	s_delay_alu instid0(VALU_DEP_2) | instskip(NEXT) | instid1(VALU_DEP_2)
	v_and_b32_e32 v25, 7, v26
	v_dual_lshlrev_b32 v22, 24, v22 :: v_dual_cndmask_b32 v2, v2, v27, s13
	s_delay_alu instid0(VALU_DEP_2) | instskip(NEXT) | instid1(VALU_DEP_2)
	v_cndmask_b32_e64 v24, v24, v25, s13
	v_and_b32_e32 v22, 0x80000000, v22
	s_delay_alu instid0(VALU_DEP_3) | instskip(NEXT) | instid1(VALU_DEP_3)
	v_lshl_add_u32 v2, v2, 23, 0x3c000000
	v_lshlrev_b32_e32 v24, 20, v24
	s_delay_alu instid0(VALU_DEP_1)
	v_or3_b32 v24, v24, v22, v2
.LBB4_1524:                             ;   in Loop: Header=BB4_1353 Depth=4
	s_or_b32 exec_lo, exec_lo, s15
.LBB4_1525:                             ;   in Loop: Header=BB4_1353 Depth=4
	s_delay_alu instid0(SALU_CYCLE_1) | instskip(NEXT) | instid1(VALU_DEP_1)
	s_or_b32 exec_lo, exec_lo, s14
	v_add_f32_e32 v22, v23, v24
                                        ; implicit-def: $vgpr61
	s_mov_b32 s14, exec_lo
	s_delay_alu instid0(VALU_DEP_1) | instskip(SKIP_1) | instid1(VALU_DEP_2)
	v_and_b32_e32 v2, 0x7f800000, v22
	v_lshrrev_b32_e32 v23, 24, v22
	v_cmpx_ne_u64_e32 0x7f800000, v[2:3]
	s_xor_b32 s15, exec_lo, s14
	s_cbranch_execz .LBB4_1539
; %bb.1526:                             ;   in Loop: Header=BB4_1353 Depth=4
	v_and_b32_e32 v2, 0x7fffffff, v22
	v_and_b32_e32 v26, 0x80, v23
                                        ; implicit-def: $vgpr61
	s_mov_b32 s14, exec_lo
	s_delay_alu instid0(VALU_DEP_2)
	v_cmpx_gt_u64_e32 0x43e00001, v[2:3]
	s_xor_b32 s76, exec_lo, s14
	s_cbranch_execz .LBB4_1536
; %bb.1527:                             ;   in Loop: Header=BB4_1353 Depth=4
	v_mov_b32_e32 v61, 0
	s_mov_b32 s77, exec_lo
	v_cmpx_ne_u32_e32 0, v22
	s_cbranch_execz .LBB4_1535
; %bb.1528:                             ;   in Loop: Header=BB4_1353 Depth=4
	v_bfe_u32 v24, v22, 23, 8
	s_mov_b32 s78, exec_lo
	s_delay_alu instid0(VALU_DEP_1) | instskip(SKIP_1) | instid1(VALU_DEP_1)
	v_sub_nc_u32_e32 v2, 0x79, v24
	v_cmp_gt_u32_e64 s13, 0x7a, v24
	v_cndmask_b32_e64 v2, 0, v2, s13
	v_cmp_eq_u32_e64 s13, 0, v24
	s_delay_alu instid0(VALU_DEP_1) | instskip(SKIP_1) | instid1(VALU_DEP_2)
	v_cndmask_b32_e64 v25, v2, 0x78, s13
	v_and_b32_e32 v2, 0x7fffff, v22
	v_add_nc_u32_e32 v22, 20, v25
	s_delay_alu instid0(VALU_DEP_2) | instskip(SKIP_1) | instid1(VALU_DEP_3)
	v_or_b32_e32 v27, 0x800000, v2
	v_add_nc_u32_e32 v28, 19, v25
	v_lshlrev_b64_e64 v[22:23], v22, -1
	s_delay_alu instid0(VALU_DEP_3) | instskip(NEXT) | instid1(VALU_DEP_3)
	v_cndmask_b32_e64 v2, v27, v2, s13
	v_lshlrev_b64_e64 v[28:29], v28, 1
	s_delay_alu instid0(VALU_DEP_3) | instskip(NEXT) | instid1(VALU_DEP_3)
	v_bfi_b32 v69, v23, 0, 0
	v_bfi_b32 v68, v22, 0, v2
	v_lshrrev_b64 v[22:23], v25, v[2:3]
	s_delay_alu instid0(VALU_DEP_1) | instskip(NEXT) | instid1(VALU_DEP_3)
	v_mov_b64_e32 v[58:59], v[22:23]
	v_cmpx_eq_u64_e64 v[68:69], v[28:29]
; %bb.1529:                             ;   in Loop: Header=BB4_1353 Depth=4
	v_bfe_u32 v2, v22, 20, 1
	s_delay_alu instid0(VALU_DEP_1) | instskip(NEXT) | instid1(VALU_DEP_1)
	v_add_nc_u64_e32 v[28:29], v[22:23], v[2:3]
	v_add_nc_u64_e32 v[58:59], -1, v[28:29]
; %bb.1530:                             ;   in Loop: Header=BB4_1353 Depth=4
	s_or_b32 exec_lo, exec_lo, s78
	v_add_nc_u32_e32 v2, 0xffffff81, v24
	v_lshrrev_b32_e32 v23, 23, v22
	s_mov_b32 s14, exec_lo
                                        ; implicit-def: $vgpr24
	s_delay_alu instid0(VALU_DEP_2) | instskip(NEXT) | instid1(VALU_DEP_1)
	v_cndmask_b32_e64 v2, v2, 0xffffff82, s13
	v_add3_u32 v25, v25, v2, v23
	v_and_b32_e32 v2, 0xfffff, v58
	s_delay_alu instid0(VALU_DEP_1) | instskip(NEXT) | instid1(VALU_DEP_1)
	v_dual_add_nc_u32 v27, 6, v25 :: v_dual_add_nc_u32 v2, v2, v22
                                        ; implicit-def: $vgpr22_vgpr23
	v_cmpx_ne_u32_e32 0, v27
	s_xor_b32 s14, exec_lo, s14
; %bb.1531:                             ;   in Loop: Header=BB4_1353 Depth=4
	s_delay_alu instid0(VALU_DEP_2) | instskip(SKIP_1) | instid1(VALU_DEP_1)
	v_cmp_lt_u64_e64 s13, 0xffffff, v[2:3]
	v_add_nc_u32_e32 v22, 7, v25
	v_cndmask_b32_e64 v24, v27, v22, s13
	v_cndmask_b32_e64 v22, 0, 1, s13
	s_delay_alu instid0(VALU_DEP_1)
	v_lshrrev_b64 v[22:23], v22, v[2:3]
; %bb.1532:                             ;   in Loop: Header=BB4_1353 Depth=4
	s_and_not1_saveexec_b32 s13, s14
; %bb.1533:                             ;   in Loop: Header=BB4_1353 Depth=4
	v_mov_b64_e32 v[22:23], v[2:3]
	v_bfe_u32 v24, v2, 23, 1
; %bb.1534:                             ;   in Loop: Header=BB4_1353 Depth=4
	s_or_b32 exec_lo, exec_lo, s13
	s_delay_alu instid0(VALU_DEP_2) | instskip(NEXT) | instid1(VALU_DEP_2)
	v_lshrrev_b64 v[22:23], 20, v[22:23]
	v_cmp_gt_i32_e64 s13, 16, v24
	v_min_i32_e32 v2, 15, v24
	v_cmp_eq_u32_e64 s14, 0, v24
	s_delay_alu instid0(VALU_DEP_2) | instskip(SKIP_1) | instid1(VALU_DEP_2)
	v_dual_cndmask_b32 v23, 0, v23, s13 :: v_dual_lshlrev_b32 v2, 3, v2
	v_cndmask_b32_e64 v22, 7, v22, s13
	v_and_b32_e32 v2, 0xf8, v2
	s_delay_alu instid0(VALU_DEP_2) | instskip(NEXT) | instid1(VALU_DEP_2)
	v_cmp_eq_u64_e64 s13, 0, v[22:23]
	v_and_or_b32 v2, v22, 7, v2
	s_and_b32 s13, s14, s13
	s_delay_alu instid0(VALU_DEP_1) | instid1(SALU_CYCLE_1)
	v_cndmask_b32_e64 v2, v2, 0, s13
	s_delay_alu instid0(VALU_DEP_1)
	v_or_b32_e32 v61, v2, v26
.LBB4_1535:                             ;   in Loop: Header=BB4_1353 Depth=4
	s_or_b32 exec_lo, exec_lo, s77
                                        ; implicit-def: $vgpr26
.LBB4_1536:                             ;   in Loop: Header=BB4_1353 Depth=4
	s_and_not1_saveexec_b32 s13, s76
; %bb.1537:                             ;   in Loop: Header=BB4_1353 Depth=4
	v_or_b32_e32 v61, 0x7e, v26
; %bb.1538:                             ;   in Loop: Header=BB4_1353 Depth=4
	s_or_b32 exec_lo, exec_lo, s13
                                        ; implicit-def: $vgpr23
.LBB4_1539:                             ;   in Loop: Header=BB4_1353 Depth=4
	s_and_not1_saveexec_b32 s13, s15
; %bb.1540:                             ;   in Loop: Header=BB4_1353 Depth=4
	v_or_b32_e32 v61, 0x7f, v23
; %bb.1541:                             ;   in Loop: Header=BB4_1353 Depth=4
	s_or_b32 exec_lo, exec_lo, s13
	v_dual_mov_b32 v22, 0 :: v_dual_lshrrev_b32 v23, 16, v13
	s_mov_b32 s14, exec_lo
	s_delay_alu instid0(VALU_DEP_1) | instskip(NEXT) | instid1(VALU_DEP_1)
	v_and_b32_e32 v2, 0xff, v23
	v_cmpx_ne_u16_e32 0, v2
	s_cbranch_execz .LBB4_1549
; %bb.1542:                             ;   in Loop: Header=BB4_1353 Depth=4
	v_bfrev_b32_e32 v22, 1
	s_mov_b32 s15, exec_lo
	v_cmpx_ne_u16_e32 0x80, v2
	s_cbranch_execz .LBB4_1548
; %bb.1543:                             ;   in Loop: Header=BB4_1353 Depth=4
	v_bfe_u32 v24, v13, 16, 7
	v_mov_b32_e32 v22, 0x7f800001
	s_mov_b32 s76, exec_lo
	s_delay_alu instid0(VALU_DEP_2)
	v_cmpx_ne_u32_e32 0x7f, v24
	s_cbranch_execz .LBB4_1547
; %bb.1544:                             ;   in Loop: Header=BB4_1353 Depth=4
	v_dual_lshrrev_b32 v22, 3, v24 :: v_dual_bitop2_b32 v2, 7, v23 bitop3:0x40
	s_mov_b32 s77, exec_lo
	v_cmpx_gt_u32_e32 8, v24
; %bb.1545:                             ;   in Loop: Header=BB4_1353 Depth=4
	s_delay_alu instid0(VALU_DEP_2) | instskip(NEXT) | instid1(VALU_DEP_1)
	v_clz_i32_u32_e32 v22, v2
	v_min_u32_e32 v22, 32, v22
	s_delay_alu instid0(VALU_DEP_1) | instskip(NEXT) | instid1(VALU_DEP_1)
	v_subrev_nc_u32_e32 v24, 28, v22
	v_lshlrev_b64_e32 v[24:25], v24, v[2:3]
	s_delay_alu instid0(VALU_DEP_1)
	v_dual_sub_nc_u32 v22, 29, v22 :: v_dual_bitop2_b32 v2, 7, v24 bitop3:0x40
; %bb.1546:                             ;   in Loop: Header=BB4_1353 Depth=4
	s_or_b32 exec_lo, exec_lo, s77
	s_delay_alu instid0(VALU_DEP_1) | instskip(NEXT) | instid1(VALU_DEP_2)
	v_dual_lshlrev_b32 v23, 24, v23 :: v_dual_lshlrev_b32 v2, 20, v2
	v_lshl_add_u32 v22, v22, 23, 0x3c000000
	s_delay_alu instid0(VALU_DEP_2) | instskip(NEXT) | instid1(VALU_DEP_1)
	v_and_b32_e32 v23, 0x80000000, v23
	v_or3_b32 v22, v2, v23, v22
.LBB4_1547:                             ;   in Loop: Header=BB4_1353 Depth=4
	s_or_b32 exec_lo, exec_lo, s76
.LBB4_1548:                             ;   in Loop: Header=BB4_1353 Depth=4
	s_delay_alu instid0(SALU_CYCLE_1)
	s_or_b32 exec_lo, exec_lo, s15
.LBB4_1549:                             ;   in Loop: Header=BB4_1353 Depth=4
	s_delay_alu instid0(SALU_CYCLE_1) | instskip(SKIP_3) | instid1(VALU_DEP_1)
	s_or_b32 exec_lo, exec_lo, s14
	v_lshrrev_b32_e32 v2, 16, v9
	s_mov_b32 s15, 0
	s_mov_b32 s14, exec_lo
	v_and_b32_e32 v24, 0xff, v2
	s_delay_alu instid0(VALU_DEP_1)
	v_cmpx_lt_i16_e32 0x7f, v24
	s_xor_b32 s14, exec_lo, s14
	s_cbranch_execz .LBB4_1554
; %bb.1550:                             ;   in Loop: Header=BB4_1353 Depth=4
	s_mov_b32 s15, -1
	s_mov_b32 s76, exec_lo
	v_cmpx_eq_u16_e32 0x80, v24
; %bb.1551:                             ;   in Loop: Header=BB4_1353 Depth=4
	s_xor_b32 s15, exec_lo, -1
; %bb.1552:                             ;   in Loop: Header=BB4_1353 Depth=4
	s_or_b32 exec_lo, exec_lo, s76
	s_delay_alu instid0(SALU_CYCLE_1)
	s_and_b32 s15, s15, exec_lo
                                        ; implicit-def: $vgpr24
	s_or_saveexec_b32 s14, s14
	v_bfrev_b32_e32 v23, 1
	s_xor_b32 exec_lo, exec_lo, s14
	s_cbranch_execnz .LBB4_1555
.LBB4_1553:                             ;   in Loop: Header=BB4_1353 Depth=4
	s_or_b32 exec_lo, exec_lo, s14
	s_and_saveexec_b32 s14, s15
	s_cbranch_execnz .LBB4_1556
	s_branch .LBB4_1559
.LBB4_1554:                             ;   in Loop: Header=BB4_1353 Depth=4
	s_or_saveexec_b32 s14, s14
	v_bfrev_b32_e32 v23, 1
	s_xor_b32 exec_lo, exec_lo, s14
	s_cbranch_execz .LBB4_1553
.LBB4_1555:                             ;   in Loop: Header=BB4_1353 Depth=4
	v_cmp_ne_u16_e64 s13, 0, v24
	v_mov_b32_e32 v23, 0
	s_and_not1_b32 s15, s15, exec_lo
	s_and_b32 s13, s13, exec_lo
	s_delay_alu instid0(SALU_CYCLE_1)
	s_or_b32 s15, s15, s13
	s_or_b32 exec_lo, exec_lo, s14
	s_and_saveexec_b32 s14, s15
	s_cbranch_execz .LBB4_1559
.LBB4_1556:                             ;   in Loop: Header=BB4_1353 Depth=4
	v_and_b32_e32 v24, 0x7f, v2
	v_mov_b32_e32 v23, 0x7f800001
	s_mov_b32 s15, exec_lo
	s_delay_alu instid0(VALU_DEP_2)
	v_cmpx_ne_u32_e32 0x7f, v24
	s_cbranch_execz .LBB4_1558
; %bb.1557:                             ;   in Loop: Header=BB4_1353 Depth=4
	v_and_b32_e32 v23, 7, v2
	v_cmp_gt_u32_e64 s13, 8, v24
	s_delay_alu instid0(VALU_DEP_2) | instskip(NEXT) | instid1(VALU_DEP_1)
	v_clz_i32_u32_e32 v25, v23
	v_min_u32_e32 v25, 32, v25
	s_delay_alu instid0(VALU_DEP_1) | instskip(NEXT) | instid1(VALU_DEP_1)
	v_subrev_nc_u32_e32 v26, 28, v25
	v_lshlrev_b64_e32 v[26:27], v26, v[2:3]
	v_dual_lshrrev_b32 v27, 3, v24 :: v_dual_sub_nc_u32 v25, 29, v25
	s_delay_alu instid0(VALU_DEP_2) | instskip(NEXT) | instid1(VALU_DEP_2)
	v_and_b32_e32 v24, 7, v26
	v_dual_lshlrev_b32 v2, 24, v2 :: v_dual_cndmask_b32 v25, v27, v25, s13
	s_delay_alu instid0(VALU_DEP_2) | instskip(NEXT) | instid1(VALU_DEP_2)
	v_cndmask_b32_e64 v23, v23, v24, s13
	v_and_b32_e32 v2, 0x80000000, v2
	s_delay_alu instid0(VALU_DEP_3) | instskip(NEXT) | instid1(VALU_DEP_3)
	v_lshl_add_u32 v24, v25, 23, 0x3c000000
	v_lshlrev_b32_e32 v23, 20, v23
	s_delay_alu instid0(VALU_DEP_1)
	v_or3_b32 v23, v23, v2, v24
.LBB4_1558:                             ;   in Loop: Header=BB4_1353 Depth=4
	s_or_b32 exec_lo, exec_lo, s15
.LBB4_1559:                             ;   in Loop: Header=BB4_1353 Depth=4
	s_delay_alu instid0(SALU_CYCLE_1) | instskip(NEXT) | instid1(VALU_DEP_1)
	s_or_b32 exec_lo, exec_lo, s14
	v_add_f32_e32 v22, v22, v23
                                        ; implicit-def: $vgpr58
	s_mov_b32 s14, exec_lo
	s_delay_alu instid0(VALU_DEP_1) | instskip(SKIP_1) | instid1(VALU_DEP_2)
	v_and_b32_e32 v2, 0x7f800000, v22
	v_lshrrev_b32_e32 v23, 24, v22
	v_cmpx_ne_u64_e32 0x7f800000, v[2:3]
	s_xor_b32 s15, exec_lo, s14
	s_cbranch_execz .LBB4_1573
; %bb.1560:                             ;   in Loop: Header=BB4_1353 Depth=4
	v_and_b32_e32 v2, 0x7fffffff, v22
	v_and_b32_e32 v26, 0x80, v23
                                        ; implicit-def: $vgpr58
	s_mov_b32 s14, exec_lo
	s_delay_alu instid0(VALU_DEP_2)
	v_cmpx_gt_u64_e32 0x43e00001, v[2:3]
	s_xor_b32 s76, exec_lo, s14
	s_cbranch_execz .LBB4_1570
; %bb.1561:                             ;   in Loop: Header=BB4_1353 Depth=4
	v_mov_b32_e32 v58, 0
	s_mov_b32 s77, exec_lo
	v_cmpx_ne_u32_e32 0, v22
	s_cbranch_execz .LBB4_1569
; %bb.1562:                             ;   in Loop: Header=BB4_1353 Depth=4
	v_bfe_u32 v24, v22, 23, 8
	s_mov_b32 s78, exec_lo
	s_delay_alu instid0(VALU_DEP_1) | instskip(SKIP_1) | instid1(VALU_DEP_1)
	v_sub_nc_u32_e32 v2, 0x79, v24
	v_cmp_gt_u32_e64 s13, 0x7a, v24
	v_cndmask_b32_e64 v2, 0, v2, s13
	v_cmp_eq_u32_e64 s13, 0, v24
	s_delay_alu instid0(VALU_DEP_1) | instskip(SKIP_1) | instid1(VALU_DEP_2)
	v_cndmask_b32_e64 v25, v2, 0x78, s13
	v_and_b32_e32 v2, 0x7fffff, v22
	v_add_nc_u32_e32 v22, 20, v25
	s_delay_alu instid0(VALU_DEP_2) | instskip(SKIP_1) | instid1(VALU_DEP_3)
	v_or_b32_e32 v27, 0x800000, v2
	v_add_nc_u32_e32 v28, 19, v25
	v_lshlrev_b64_e64 v[22:23], v22, -1
	s_delay_alu instid0(VALU_DEP_3) | instskip(NEXT) | instid1(VALU_DEP_3)
	v_cndmask_b32_e64 v2, v27, v2, s13
	v_lshlrev_b64_e64 v[28:29], v28, 1
	s_delay_alu instid0(VALU_DEP_3) | instskip(NEXT) | instid1(VALU_DEP_3)
	v_bfi_b32 v69, v23, 0, 0
	v_bfi_b32 v68, v22, 0, v2
	v_lshrrev_b64 v[22:23], v25, v[2:3]
	s_delay_alu instid0(VALU_DEP_1) | instskip(NEXT) | instid1(VALU_DEP_3)
	v_mov_b64_e32 v[58:59], v[22:23]
	v_cmpx_eq_u64_e64 v[68:69], v[28:29]
; %bb.1563:                             ;   in Loop: Header=BB4_1353 Depth=4
	v_bfe_u32 v2, v22, 20, 1
	s_delay_alu instid0(VALU_DEP_1) | instskip(NEXT) | instid1(VALU_DEP_1)
	v_add_nc_u64_e32 v[28:29], v[22:23], v[2:3]
	v_add_nc_u64_e32 v[58:59], -1, v[28:29]
; %bb.1564:                             ;   in Loop: Header=BB4_1353 Depth=4
	s_or_b32 exec_lo, exec_lo, s78
	v_add_nc_u32_e32 v2, 0xffffff81, v24
	v_lshrrev_b32_e32 v23, 23, v22
	s_mov_b32 s14, exec_lo
                                        ; implicit-def: $vgpr24
	s_delay_alu instid0(VALU_DEP_2) | instskip(NEXT) | instid1(VALU_DEP_1)
	v_cndmask_b32_e64 v2, v2, 0xffffff82, s13
	v_add3_u32 v25, v25, v2, v23
	v_and_b32_e32 v2, 0xfffff, v58
	s_delay_alu instid0(VALU_DEP_1) | instskip(NEXT) | instid1(VALU_DEP_1)
	v_dual_add_nc_u32 v27, 6, v25 :: v_dual_add_nc_u32 v2, v2, v22
                                        ; implicit-def: $vgpr22_vgpr23
	v_cmpx_ne_u32_e32 0, v27
	s_xor_b32 s14, exec_lo, s14
; %bb.1565:                             ;   in Loop: Header=BB4_1353 Depth=4
	s_delay_alu instid0(VALU_DEP_2) | instskip(SKIP_1) | instid1(VALU_DEP_1)
	v_cmp_lt_u64_e64 s13, 0xffffff, v[2:3]
	v_add_nc_u32_e32 v22, 7, v25
	v_cndmask_b32_e64 v24, v27, v22, s13
	v_cndmask_b32_e64 v22, 0, 1, s13
	s_delay_alu instid0(VALU_DEP_1)
	v_lshrrev_b64 v[22:23], v22, v[2:3]
; %bb.1566:                             ;   in Loop: Header=BB4_1353 Depth=4
	s_and_not1_saveexec_b32 s13, s14
; %bb.1567:                             ;   in Loop: Header=BB4_1353 Depth=4
	v_mov_b64_e32 v[22:23], v[2:3]
	v_bfe_u32 v24, v2, 23, 1
; %bb.1568:                             ;   in Loop: Header=BB4_1353 Depth=4
	s_or_b32 exec_lo, exec_lo, s13
	s_delay_alu instid0(VALU_DEP_2) | instskip(NEXT) | instid1(VALU_DEP_2)
	v_lshrrev_b64 v[22:23], 20, v[22:23]
	v_cmp_gt_i32_e64 s13, 16, v24
	v_min_i32_e32 v2, 15, v24
	v_cmp_eq_u32_e64 s14, 0, v24
	s_delay_alu instid0(VALU_DEP_2) | instskip(SKIP_1) | instid1(VALU_DEP_2)
	v_dual_cndmask_b32 v23, 0, v23, s13 :: v_dual_lshlrev_b32 v2, 3, v2
	v_cndmask_b32_e64 v22, 7, v22, s13
	v_and_b32_e32 v2, 0xf8, v2
	s_delay_alu instid0(VALU_DEP_2) | instskip(NEXT) | instid1(VALU_DEP_2)
	v_cmp_eq_u64_e64 s13, 0, v[22:23]
	v_and_or_b32 v2, v22, 7, v2
	s_and_b32 s13, s14, s13
	s_delay_alu instid0(VALU_DEP_1) | instid1(SALU_CYCLE_1)
	v_cndmask_b32_e64 v2, v2, 0, s13
	s_delay_alu instid0(VALU_DEP_1)
	v_or_b32_e32 v58, v2, v26
.LBB4_1569:                             ;   in Loop: Header=BB4_1353 Depth=4
	s_or_b32 exec_lo, exec_lo, s77
                                        ; implicit-def: $vgpr26
.LBB4_1570:                             ;   in Loop: Header=BB4_1353 Depth=4
	s_and_not1_saveexec_b32 s13, s76
; %bb.1571:                             ;   in Loop: Header=BB4_1353 Depth=4
	v_or_b32_e32 v58, 0x7e, v26
; %bb.1572:                             ;   in Loop: Header=BB4_1353 Depth=4
	s_or_b32 exec_lo, exec_lo, s13
                                        ; implicit-def: $vgpr23
.LBB4_1573:                             ;   in Loop: Header=BB4_1353 Depth=4
	s_and_not1_saveexec_b32 s13, s15
; %bb.1574:                             ;   in Loop: Header=BB4_1353 Depth=4
	v_or_b32_e32 v58, 0x7f, v23
; %bb.1575:                             ;   in Loop: Header=BB4_1353 Depth=4
	s_or_b32 exec_lo, exec_lo, s13
	v_cmp_lt_u64_e64 s13, s[22:23], v[12:13]
	v_mov_b32_e32 v12, 0
	s_and_saveexec_b32 s14, s13
	s_cbranch_execz .LBB4_1583
; %bb.1576:                             ;   in Loop: Header=BB4_1353 Depth=4
	v_lshrrev_b32_e32 v22, 24, v13
	v_bfrev_b32_e32 v12, 1
	s_mov_b32 s15, exec_lo
	s_delay_alu instid0(VALU_DEP_2)
	v_cmpx_ne_u32_e32 0x80, v22
	s_cbranch_execz .LBB4_1582
; %bb.1577:                             ;   in Loop: Header=BB4_1353 Depth=4
	v_bfe_u32 v13, v13, 24, 7
	v_mov_b32_e32 v12, 0x7f800001
	s_mov_b32 s76, exec_lo
	s_delay_alu instid0(VALU_DEP_2)
	v_cmpx_ne_u32_e32 0x7f, v13
	s_cbranch_execz .LBB4_1581
; %bb.1578:                             ;   in Loop: Header=BB4_1353 Depth=4
	v_dual_lshrrev_b32 v12, 3, v13 :: v_dual_bitop2_b32 v2, 7, v22 bitop3:0x40
	s_mov_b32 s77, exec_lo
	v_cmpx_gt_u32_e32 8, v13
; %bb.1579:                             ;   in Loop: Header=BB4_1353 Depth=4
	s_delay_alu instid0(VALU_DEP_2) | instskip(NEXT) | instid1(VALU_DEP_1)
	v_clz_i32_u32_e32 v12, v2
	v_min_u32_e32 v12, 32, v12
	s_delay_alu instid0(VALU_DEP_1) | instskip(SKIP_1) | instid1(VALU_DEP_2)
	v_subrev_nc_u32_e32 v13, 28, v12
	v_sub_nc_u32_e32 v12, 29, v12
	v_lshlrev_b64_e32 v[24:25], v13, v[2:3]
	s_delay_alu instid0(VALU_DEP_1)
	v_and_b32_e32 v2, 7, v24
; %bb.1580:                             ;   in Loop: Header=BB4_1353 Depth=4
	s_or_b32 exec_lo, exec_lo, s77
	v_lshlrev_b32_e32 v13, 24, v22
	s_delay_alu instid0(VALU_DEP_2) | instskip(SKIP_1) | instid1(VALU_DEP_3)
	v_lshlrev_b32_e32 v2, 20, v2
	v_lshl_add_u32 v12, v12, 23, 0x3c000000
	v_and_b32_e32 v13, 0x80000000, v13
	s_delay_alu instid0(VALU_DEP_1)
	v_or3_b32 v12, v2, v13, v12
.LBB4_1581:                             ;   in Loop: Header=BB4_1353 Depth=4
	s_or_b32 exec_lo, exec_lo, s76
.LBB4_1582:                             ;   in Loop: Header=BB4_1353 Depth=4
	s_delay_alu instid0(SALU_CYCLE_1)
	s_or_b32 exec_lo, exec_lo, s15
.LBB4_1583:                             ;   in Loop: Header=BB4_1353 Depth=4
	s_delay_alu instid0(SALU_CYCLE_1) | instskip(SKIP_3) | instid1(VALU_DEP_3)
	s_or_b32 exec_lo, exec_lo, s14
	v_lshrrev_b32_e32 v2, 24, v9
	v_bfe_u32 v13, v9, 24, 7
	v_cmp_gt_u64_e64 s15, s[24:25], v[8:9]
	v_cmp_eq_u32_e64 s14, 0x80, v2
	s_delay_alu instid0(VALU_DEP_3) | instskip(NEXT) | instid1(VALU_DEP_2)
	v_cmp_eq_u32_e64 s13, 0x7f, v13
	v_cndmask_b32_e64 v22, 0x7f800001, v91, s14
	s_or_b32 s13, s14, s13
	s_delay_alu instid0(SALU_CYCLE_1) | instskip(NEXT) | instid1(VALU_DEP_1)
	s_nor_b32 s13, s15, s13
	v_cndmask_b32_e64 v8, v22, 0, s15
	s_and_saveexec_b32 s14, s13
	s_cbranch_execz .LBB4_1585
; %bb.1584:                             ;   in Loop: Header=BB4_1353 Depth=4
	v_and_b32_e32 v22, 7, v2
	v_cmp_gt_u32_e64 s13, 8, v13
	s_delay_alu instid0(VALU_DEP_2) | instskip(NEXT) | instid1(VALU_DEP_1)
	v_clz_i32_u32_e32 v8, v22
	v_min_u32_e32 v23, 32, v8
	s_delay_alu instid0(VALU_DEP_1) | instskip(NEXT) | instid1(VALU_DEP_1)
	v_subrev_nc_u32_e32 v8, 28, v23
	v_lshlrev_b64_e32 v[8:9], v8, v[2:3]
	v_dual_lshrrev_b32 v9, 3, v13 :: v_dual_sub_nc_u32 v23, 29, v23
	s_delay_alu instid0(VALU_DEP_2) | instskip(NEXT) | instid1(VALU_DEP_1)
	v_dual_lshlrev_b32 v2, 24, v2 :: v_dual_bitop2_b32 v8, 7, v8 bitop3:0x40
	v_dual_cndmask_b32 v9, v9, v23, s13 :: v_dual_cndmask_b32 v8, v22, v8, s13
	s_delay_alu instid0(VALU_DEP_2) | instskip(NEXT) | instid1(VALU_DEP_2)
	v_and_b32_e32 v2, 0x80000000, v2
	v_lshl_add_u32 v9, v9, 23, 0x3c000000
	s_delay_alu instid0(VALU_DEP_3) | instskip(NEXT) | instid1(VALU_DEP_1)
	v_lshlrev_b32_e32 v8, 20, v8
	v_or3_b32 v8, v8, v2, v9
.LBB4_1585:                             ;   in Loop: Header=BB4_1353 Depth=4
	s_or_b32 exec_lo, exec_lo, s14
	s_delay_alu instid0(VALU_DEP_1) | instskip(SKIP_1) | instid1(VALU_DEP_1)
	v_add_f32_e32 v8, v12, v8
                                        ; implicit-def: $vgpr59
	s_mov_b32 s14, exec_lo
	v_and_b32_e32 v2, 0x7f800000, v8
	v_lshrrev_b32_e32 v9, 24, v8
	s_delay_alu instid0(VALU_DEP_2)
	v_cmpx_ne_u64_e32 0x7f800000, v[2:3]
	s_xor_b32 s15, exec_lo, s14
	s_cbranch_execz .LBB4_1599
; %bb.1586:                             ;   in Loop: Header=BB4_1353 Depth=4
	v_and_b32_e32 v2, 0x7fffffff, v8
	v_and_b32_e32 v22, 0x80, v9
                                        ; implicit-def: $vgpr59
	s_mov_b32 s14, exec_lo
	s_delay_alu instid0(VALU_DEP_2)
	v_cmpx_gt_u64_e32 0x43e00001, v[2:3]
	s_xor_b32 s76, exec_lo, s14
	s_cbranch_execz .LBB4_1596
; %bb.1587:                             ;   in Loop: Header=BB4_1353 Depth=4
	v_mov_b32_e32 v59, 0
	s_mov_b32 s77, exec_lo
	v_cmpx_ne_u32_e32 0, v8
	s_cbranch_execz .LBB4_1595
; %bb.1588:                             ;   in Loop: Header=BB4_1353 Depth=4
	v_bfe_u32 v23, v8, 23, 8
	s_delay_alu instid0(VALU_DEP_1) | instskip(SKIP_1) | instid1(VALU_DEP_1)
	v_sub_nc_u32_e32 v2, 0x79, v23
	v_cmp_gt_u32_e64 s13, 0x7a, v23
	v_cndmask_b32_e64 v2, 0, v2, s13
	v_cmp_eq_u32_e64 s13, 0, v23
	s_delay_alu instid0(VALU_DEP_1) | instskip(SKIP_1) | instid1(VALU_DEP_2)
	v_cndmask_b32_e64 v24, v2, 0x78, s13
	v_and_b32_e32 v2, 0x7fffff, v8
	v_add_nc_u32_e32 v8, 20, v24
	s_delay_alu instid0(VALU_DEP_2) | instskip(SKIP_1) | instid1(VALU_DEP_3)
	v_or_b32_e32 v12, 0x800000, v2
	v_add_nc_u32_e32 v13, 19, v24
	v_lshlrev_b64_e64 v[8:9], v8, -1
	s_delay_alu instid0(VALU_DEP_3) | instskip(NEXT) | instid1(VALU_DEP_3)
	v_cndmask_b32_e64 v2, v12, v2, s13
	v_lshlrev_b64_e64 v[12:13], v13, 1
	s_delay_alu instid0(VALU_DEP_3) | instskip(NEXT) | instid1(VALU_DEP_3)
	v_bfi_b32 v27, v9, 0, 0
	v_bfi_b32 v26, v8, 0, v2
	v_lshrrev_b64 v[8:9], v24, v[2:3]
	s_delay_alu instid0(VALU_DEP_2) | instskip(NEXT) | instid1(VALU_DEP_2)
	v_cmp_eq_u64_e64 s14, v[26:27], v[12:13]
	v_mov_b64_e32 v[12:13], v[8:9]
	s_and_saveexec_b32 s78, s14
; %bb.1589:                             ;   in Loop: Header=BB4_1353 Depth=4
	v_bfe_u32 v2, v8, 20, 1
	s_delay_alu instid0(VALU_DEP_1) | instskip(NEXT) | instid1(VALU_DEP_1)
	v_add_nc_u64_e32 v[12:13], v[8:9], v[2:3]
	v_add_nc_u64_e32 v[12:13], -1, v[12:13]
; %bb.1590:                             ;   in Loop: Header=BB4_1353 Depth=4
	s_or_b32 exec_lo, exec_lo, s78
	v_add_nc_u32_e32 v2, 0xffffff81, v23
	v_lshrrev_b32_e32 v9, 23, v8
	s_mov_b32 s14, exec_lo
	s_delay_alu instid0(VALU_DEP_2) | instskip(NEXT) | instid1(VALU_DEP_1)
	v_cndmask_b32_e64 v2, v2, 0xffffff82, s13
	v_add3_u32 v13, v24, v2, v9
	v_and_b32_e32 v2, 0xfffff, v12
                                        ; implicit-def: $vgpr12
	s_delay_alu instid0(VALU_DEP_1) | instskip(NEXT) | instid1(VALU_DEP_1)
	v_dual_add_nc_u32 v23, 6, v13 :: v_dual_add_nc_u32 v2, v2, v8
                                        ; implicit-def: $vgpr8_vgpr9
	v_cmpx_ne_u32_e32 0, v23
	s_xor_b32 s14, exec_lo, s14
; %bb.1591:                             ;   in Loop: Header=BB4_1353 Depth=4
	s_delay_alu instid0(VALU_DEP_2) | instskip(SKIP_1) | instid1(VALU_DEP_1)
	v_cmp_lt_u64_e64 s13, 0xffffff, v[2:3]
	v_add_nc_u32_e32 v8, 7, v13
	v_cndmask_b32_e64 v12, v23, v8, s13
	v_cndmask_b32_e64 v8, 0, 1, s13
	s_delay_alu instid0(VALU_DEP_1)
	v_lshrrev_b64 v[8:9], v8, v[2:3]
; %bb.1592:                             ;   in Loop: Header=BB4_1353 Depth=4
	s_and_not1_saveexec_b32 s13, s14
; %bb.1593:                             ;   in Loop: Header=BB4_1353 Depth=4
	v_mov_b64_e32 v[8:9], v[2:3]
	v_bfe_u32 v12, v2, 23, 1
; %bb.1594:                             ;   in Loop: Header=BB4_1353 Depth=4
	s_or_b32 exec_lo, exec_lo, s13
	s_delay_alu instid0(VALU_DEP_2) | instskip(NEXT) | instid1(VALU_DEP_2)
	v_lshrrev_b64 v[8:9], 20, v[8:9]
	v_cmp_gt_i32_e64 s13, 16, v12
	v_min_i32_e32 v2, 15, v12
	v_cmp_eq_u32_e64 s14, 0, v12
	s_delay_alu instid0(VALU_DEP_2) | instskip(SKIP_1) | instid1(VALU_DEP_2)
	v_dual_cndmask_b32 v9, 0, v9, s13 :: v_dual_lshlrev_b32 v2, 3, v2
	v_cndmask_b32_e64 v8, 7, v8, s13
	v_and_b32_e32 v2, 0xf8, v2
	s_delay_alu instid0(VALU_DEP_2) | instskip(NEXT) | instid1(VALU_DEP_2)
	v_cmp_eq_u64_e64 s13, 0, v[8:9]
	v_and_or_b32 v2, v8, 7, v2
	s_and_b32 s13, s14, s13
	s_delay_alu instid0(VALU_DEP_1) | instid1(SALU_CYCLE_1)
	v_cndmask_b32_e64 v2, v2, 0, s13
	s_delay_alu instid0(VALU_DEP_1)
	v_or_b32_e32 v59, v2, v22
.LBB4_1595:                             ;   in Loop: Header=BB4_1353 Depth=4
	s_or_b32 exec_lo, exec_lo, s77
                                        ; implicit-def: $vgpr22
.LBB4_1596:                             ;   in Loop: Header=BB4_1353 Depth=4
	s_and_not1_saveexec_b32 s13, s76
; %bb.1597:                             ;   in Loop: Header=BB4_1353 Depth=4
	v_or_b32_e32 v59, 0x7e, v22
; %bb.1598:                             ;   in Loop: Header=BB4_1353 Depth=4
	s_or_b32 exec_lo, exec_lo, s13
                                        ; implicit-def: $vgpr9
.LBB4_1599:                             ;   in Loop: Header=BB4_1353 Depth=4
	s_and_not1_saveexec_b32 s13, s15
; %bb.1600:                             ;   in Loop: Header=BB4_1353 Depth=4
	v_or_b32_e32 v59, 0x7f, v9
; %bb.1601:                             ;   in Loop: Header=BB4_1353 Depth=4
	s_or_b32 exec_lo, exec_lo, s13
	v_and_b32_e32 v8, 0xff, v14
	v_mov_b32_e32 v2, 0
	s_mov_b32 s14, exec_lo
	s_delay_alu instid0(VALU_DEP_2)
	v_cmpx_ne_u16_e32 0, v8
	s_cbranch_execz .LBB4_1607
; %bb.1602:                             ;   in Loop: Header=BB4_1353 Depth=4
	v_bfrev_b32_e32 v2, 1
	s_mov_b32 s15, exec_lo
	v_cmpx_ne_u16_e32 0x80, v8
	s_cbranch_execz .LBB4_1606
; %bb.1603:                             ;   in Loop: Header=BB4_1353 Depth=4
	v_and_b32_e32 v8, 0x7f, v14
	v_mov_b32_e32 v2, 0x7f800001
	s_mov_b32 s76, exec_lo
	s_delay_alu instid0(VALU_DEP_2)
	v_cmpx_ne_u32_e32 0x7f, v8
	s_cbranch_execz .LBB4_1605
; %bb.1604:                             ;   in Loop: Header=BB4_1353 Depth=4
	v_dual_lshrrev_b32 v9, 3, v8 :: v_dual_bitop2_b32 v2, 7, v14 bitop3:0x40
	v_cmp_gt_u32_e64 s13, 8, v8
	s_delay_alu instid0(VALU_DEP_2) | instskip(NEXT) | instid1(VALU_DEP_1)
	v_clz_i32_u32_e32 v2, v2
	v_min_u32_e32 v2, 32, v2
	s_delay_alu instid0(VALU_DEP_1) | instskip(NEXT) | instid1(VALU_DEP_1)
	v_subrev_nc_u32_e32 v12, 28, v2
	v_dual_sub_nc_u32 v2, 29, v2 :: v_dual_cndmask_b32 v8, 0, v12, s13
	s_delay_alu instid0(VALU_DEP_1) | instskip(NEXT) | instid1(VALU_DEP_2)
	v_cndmask_b32_e64 v2, v9, v2, s13
	v_lshlrev_b64_e32 v[8:9], v8, v[14:15]
	v_lshlrev_b32_e32 v9, 24, v14
	s_delay_alu instid0(VALU_DEP_1) | instskip(NEXT) | instid1(VALU_DEP_3)
	v_and_b32_e32 v9, 0x80000000, v9
	v_lshlrev_b32_e32 v8, 20, v8
	v_lshl_add_u32 v2, v2, 23, 0x3c000000
	s_delay_alu instid0(VALU_DEP_2) | instskip(NEXT) | instid1(VALU_DEP_1)
	v_and_b32_e32 v8, 0x700000, v8
	v_or3_b32 v2, v8, v9, v2
.LBB4_1605:                             ;   in Loop: Header=BB4_1353 Depth=4
	s_or_b32 exec_lo, exec_lo, s76
.LBB4_1606:                             ;   in Loop: Header=BB4_1353 Depth=4
	s_delay_alu instid0(SALU_CYCLE_1)
	s_or_b32 exec_lo, exec_lo, s15
.LBB4_1607:                             ;   in Loop: Header=BB4_1353 Depth=4
	s_delay_alu instid0(SALU_CYCLE_1) | instskip(SKIP_3) | instid1(VALU_DEP_1)
	s_or_b32 exec_lo, exec_lo, s14
	v_and_b32_e32 v9, 0xff, v10
	s_mov_b32 s14, 0
	s_mov_b32 s15, exec_lo
	v_cmpx_lt_i16_e32 0x7f, v9
	s_xor_b32 s15, exec_lo, s15
	s_cbranch_execz .LBB4_1642
; %bb.1608:                             ;   in Loop: Header=BB4_1353 Depth=4
	s_mov_b32 s14, -1
	s_mov_b32 s76, exec_lo
	v_cmpx_eq_u16_e32 0x80, v9
; %bb.1609:                             ;   in Loop: Header=BB4_1353 Depth=4
	s_xor_b32 s14, exec_lo, -1
; %bb.1610:                             ;   in Loop: Header=BB4_1353 Depth=4
	s_or_b32 exec_lo, exec_lo, s76
	s_delay_alu instid0(SALU_CYCLE_1)
	s_and_b32 s14, s14, exec_lo
                                        ; implicit-def: $vgpr9
	s_or_saveexec_b32 s15, s15
	v_bfrev_b32_e32 v8, 1
	s_xor_b32 exec_lo, exec_lo, s15
	s_cbranch_execnz .LBB4_1643
.LBB4_1611:                             ;   in Loop: Header=BB4_1353 Depth=4
	s_or_b32 exec_lo, exec_lo, s15
	s_and_saveexec_b32 s15, s14
	s_cbranch_execz .LBB4_1613
.LBB4_1612:                             ;   in Loop: Header=BB4_1353 Depth=4
	v_and_b32_e32 v8, 7, v10
	v_and_b32_e32 v12, 0x7f, v10
	v_bfe_u32 v9, v10, 3, 4
	s_delay_alu instid0(VALU_DEP_3) | instskip(NEXT) | instid1(VALU_DEP_3)
	v_clz_i32_u32_e32 v8, v8
	v_cmp_gt_u32_e64 s13, 8, v12
	s_delay_alu instid0(VALU_DEP_2) | instskip(NEXT) | instid1(VALU_DEP_1)
	v_min_u32_e32 v8, 32, v8
	v_subrev_nc_u32_e32 v13, 28, v8
	v_sub_nc_u32_e32 v8, 29, v8
	s_delay_alu instid0(VALU_DEP_1) | instskip(SKIP_1) | instid1(VALU_DEP_2)
	v_dual_cndmask_b32 v22, v9, v8, s13 :: v_dual_cndmask_b32 v8, 0, v13, s13
	v_cmp_ne_u32_e64 s13, 0x7f, v12
	v_lshl_add_u32 v13, v22, 23, 0x3c000000
	s_delay_alu instid0(VALU_DEP_3) | instskip(SKIP_1) | instid1(VALU_DEP_1)
	v_lshlrev_b64_e32 v[8:9], v8, v[10:11]
	v_lshlrev_b32_e32 v9, 24, v10
	v_and_b32_e32 v9, 0x80000000, v9
	s_delay_alu instid0(VALU_DEP_3) | instskip(NEXT) | instid1(VALU_DEP_1)
	v_lshlrev_b32_e32 v8, 20, v8
	v_and_b32_e32 v8, 0x700000, v8
	s_delay_alu instid0(VALU_DEP_1) | instskip(NEXT) | instid1(VALU_DEP_1)
	v_or3_b32 v8, v8, v9, v13
	v_cndmask_b32_e64 v8, 0x7f800001, v8, s13
.LBB4_1613:                             ;   in Loop: Header=BB4_1353 Depth=4
	s_or_b32 exec_lo, exec_lo, s15
	s_delay_alu instid0(VALU_DEP_1) | instskip(SKIP_1) | instid1(VALU_DEP_1)
	v_add_f32_e32 v8, v2, v8
                                        ; implicit-def: $vgpr95
	s_mov_b32 s14, exec_lo
	v_and_b32_e32 v2, 0x7f800000, v8
	v_lshrrev_b32_e32 v9, 24, v8
	s_delay_alu instid0(VALU_DEP_2)
	v_cmpx_ne_u64_e32 0x7f800000, v[2:3]
	s_xor_b32 s15, exec_lo, s14
	s_cbranch_execz .LBB4_1627
; %bb.1614:                             ;   in Loop: Header=BB4_1353 Depth=4
	v_and_b32_e32 v2, 0x7fffffff, v8
	v_and_b32_e32 v22, 0x80, v9
                                        ; implicit-def: $vgpr95
	s_mov_b32 s14, exec_lo
	s_delay_alu instid0(VALU_DEP_2)
	v_cmpx_gt_u64_e32 0x43e00001, v[2:3]
	s_xor_b32 s76, exec_lo, s14
	s_cbranch_execz .LBB4_1624
; %bb.1615:                             ;   in Loop: Header=BB4_1353 Depth=4
	v_mov_b32_e32 v95, 0
	s_mov_b32 s77, exec_lo
	v_cmpx_ne_u32_e32 0, v8
	s_cbranch_execz .LBB4_1623
; %bb.1616:                             ;   in Loop: Header=BB4_1353 Depth=4
	v_bfe_u32 v23, v8, 23, 8
	s_delay_alu instid0(VALU_DEP_1) | instskip(SKIP_1) | instid1(VALU_DEP_1)
	v_sub_nc_u32_e32 v2, 0x79, v23
	v_cmp_gt_u32_e64 s13, 0x7a, v23
	v_cndmask_b32_e64 v2, 0, v2, s13
	v_cmp_eq_u32_e64 s13, 0, v23
	s_delay_alu instid0(VALU_DEP_1) | instskip(SKIP_1) | instid1(VALU_DEP_2)
	v_cndmask_b32_e64 v24, v2, 0x78, s13
	v_and_b32_e32 v2, 0x7fffff, v8
	v_add_nc_u32_e32 v8, 20, v24
	s_delay_alu instid0(VALU_DEP_2) | instskip(SKIP_1) | instid1(VALU_DEP_3)
	v_or_b32_e32 v12, 0x800000, v2
	v_add_nc_u32_e32 v13, 19, v24
	v_lshlrev_b64_e64 v[8:9], v8, -1
	s_delay_alu instid0(VALU_DEP_3) | instskip(NEXT) | instid1(VALU_DEP_3)
	v_cndmask_b32_e64 v2, v12, v2, s13
	v_lshlrev_b64_e64 v[12:13], v13, 1
	s_delay_alu instid0(VALU_DEP_3) | instskip(NEXT) | instid1(VALU_DEP_3)
	v_bfi_b32 v27, v9, 0, 0
	v_bfi_b32 v26, v8, 0, v2
	v_lshrrev_b64 v[8:9], v24, v[2:3]
	s_delay_alu instid0(VALU_DEP_2) | instskip(NEXT) | instid1(VALU_DEP_2)
	v_cmp_eq_u64_e64 s14, v[26:27], v[12:13]
	v_mov_b64_e32 v[12:13], v[8:9]
	s_and_saveexec_b32 s78, s14
; %bb.1617:                             ;   in Loop: Header=BB4_1353 Depth=4
	v_bfe_u32 v2, v8, 20, 1
	s_delay_alu instid0(VALU_DEP_1) | instskip(NEXT) | instid1(VALU_DEP_1)
	v_add_nc_u64_e32 v[12:13], v[8:9], v[2:3]
	v_add_nc_u64_e32 v[12:13], -1, v[12:13]
; %bb.1618:                             ;   in Loop: Header=BB4_1353 Depth=4
	s_or_b32 exec_lo, exec_lo, s78
	v_add_nc_u32_e32 v2, 0xffffff81, v23
	v_lshrrev_b32_e32 v9, 23, v8
	s_mov_b32 s14, exec_lo
	s_delay_alu instid0(VALU_DEP_2) | instskip(NEXT) | instid1(VALU_DEP_1)
	v_cndmask_b32_e64 v2, v2, 0xffffff82, s13
	v_add3_u32 v13, v24, v2, v9
	v_and_b32_e32 v2, 0xfffff, v12
                                        ; implicit-def: $vgpr12
	s_delay_alu instid0(VALU_DEP_1) | instskip(NEXT) | instid1(VALU_DEP_1)
	v_dual_add_nc_u32 v23, 6, v13 :: v_dual_add_nc_u32 v2, v2, v8
                                        ; implicit-def: $vgpr8_vgpr9
	v_cmpx_ne_u32_e32 0, v23
	s_xor_b32 s14, exec_lo, s14
; %bb.1619:                             ;   in Loop: Header=BB4_1353 Depth=4
	s_delay_alu instid0(VALU_DEP_2) | instskip(SKIP_1) | instid1(VALU_DEP_1)
	v_cmp_lt_u64_e64 s13, 0xffffff, v[2:3]
	v_add_nc_u32_e32 v8, 7, v13
	v_cndmask_b32_e64 v12, v23, v8, s13
	v_cndmask_b32_e64 v8, 0, 1, s13
	s_delay_alu instid0(VALU_DEP_1)
	v_lshrrev_b64 v[8:9], v8, v[2:3]
; %bb.1620:                             ;   in Loop: Header=BB4_1353 Depth=4
	s_and_not1_saveexec_b32 s13, s14
; %bb.1621:                             ;   in Loop: Header=BB4_1353 Depth=4
	v_mov_b64_e32 v[8:9], v[2:3]
	v_bfe_u32 v12, v2, 23, 1
; %bb.1622:                             ;   in Loop: Header=BB4_1353 Depth=4
	s_or_b32 exec_lo, exec_lo, s13
	s_delay_alu instid0(VALU_DEP_2) | instskip(NEXT) | instid1(VALU_DEP_2)
	v_lshrrev_b64 v[8:9], 20, v[8:9]
	v_cmp_gt_i32_e64 s13, 16, v12
	v_min_i32_e32 v2, 15, v12
	v_cmp_eq_u32_e64 s14, 0, v12
	s_delay_alu instid0(VALU_DEP_2) | instskip(SKIP_1) | instid1(VALU_DEP_2)
	v_dual_cndmask_b32 v9, 0, v9, s13 :: v_dual_lshlrev_b32 v2, 3, v2
	v_cndmask_b32_e64 v8, 7, v8, s13
	v_and_b32_e32 v2, 0xf8, v2
	s_delay_alu instid0(VALU_DEP_2) | instskip(NEXT) | instid1(VALU_DEP_2)
	v_cmp_eq_u64_e64 s13, 0, v[8:9]
	v_and_or_b32 v2, v8, 7, v2
	s_and_b32 s13, s14, s13
	s_delay_alu instid0(VALU_DEP_1) | instid1(SALU_CYCLE_1)
	v_cndmask_b32_e64 v2, v2, 0, s13
	s_delay_alu instid0(VALU_DEP_1)
	v_or_b32_e32 v95, v2, v22
.LBB4_1623:                             ;   in Loop: Header=BB4_1353 Depth=4
	s_or_b32 exec_lo, exec_lo, s77
                                        ; implicit-def: $vgpr22
.LBB4_1624:                             ;   in Loop: Header=BB4_1353 Depth=4
	s_and_not1_saveexec_b32 s13, s76
; %bb.1625:                             ;   in Loop: Header=BB4_1353 Depth=4
	v_or_b32_e32 v95, 0x7e, v22
; %bb.1626:                             ;   in Loop: Header=BB4_1353 Depth=4
	s_or_b32 exec_lo, exec_lo, s13
                                        ; implicit-def: $vgpr9
.LBB4_1627:                             ;   in Loop: Header=BB4_1353 Depth=4
	s_and_not1_saveexec_b32 s13, s15
; %bb.1628:                             ;   in Loop: Header=BB4_1353 Depth=4
	v_or_b32_e32 v95, 0x7f, v9
; %bb.1629:                             ;   in Loop: Header=BB4_1353 Depth=4
	s_or_b32 exec_lo, exec_lo, s13
	v_lshrrev_b16 v2, 8, v14
	v_mov_b32_e32 v8, 0
	s_mov_b32 s14, exec_lo
	s_delay_alu instid0(VALU_DEP_2)
	v_cmpx_ne_u16_e32 0, v2
	s_cbranch_execz .LBB4_1637
; %bb.1630:                             ;   in Loop: Header=BB4_1353 Depth=4
	v_bfrev_b32_e32 v8, 1
	s_mov_b32 s15, exec_lo
	v_cmpx_ne_u16_e32 0x80, v2
	s_cbranch_execz .LBB4_1636
; %bb.1631:                             ;   in Loop: Header=BB4_1353 Depth=4
	v_and_b32_e32 v2, 0xffff, v2
	v_mov_b32_e32 v8, 0x7f800001
	s_mov_b32 s76, exec_lo
	s_delay_alu instid0(VALU_DEP_2) | instskip(NEXT) | instid1(VALU_DEP_1)
	v_and_b32_e32 v9, 0x7f, v2
	v_cmpx_ne_u32_e32 0x7f, v9
	s_cbranch_execz .LBB4_1635
; %bb.1632:                             ;   in Loop: Header=BB4_1353 Depth=4
	v_dual_lshrrev_b32 v8, 3, v9 :: v_dual_bitop2_b32 v2, 7, v2 bitop3:0x40
	s_mov_b32 s77, exec_lo
	v_cmpx_gt_u32_e32 8, v9
; %bb.1633:                             ;   in Loop: Header=BB4_1353 Depth=4
	s_delay_alu instid0(VALU_DEP_2) | instskip(NEXT) | instid1(VALU_DEP_1)
	v_clz_i32_u32_e32 v8, v2
	v_min_u32_e32 v8, 32, v8
	s_delay_alu instid0(VALU_DEP_1) | instskip(SKIP_1) | instid1(VALU_DEP_2)
	v_subrev_nc_u32_e32 v9, 28, v8
	v_sub_nc_u32_e32 v8, 29, v8
	v_lshlrev_b64_e32 v[12:13], v9, v[2:3]
	s_delay_alu instid0(VALU_DEP_1)
	v_and_b32_e32 v2, 7, v12
; %bb.1634:                             ;   in Loop: Header=BB4_1353 Depth=4
	s_or_b32 exec_lo, exec_lo, s77
	v_lshlrev_b32_e32 v9, 16, v14
	s_delay_alu instid0(VALU_DEP_2) | instskip(SKIP_1) | instid1(VALU_DEP_3)
	v_lshlrev_b32_e32 v2, 20, v2
	v_lshl_add_u32 v8, v8, 23, 0x3c000000
	v_and_b32_e32 v9, 0x80000000, v9
	s_delay_alu instid0(VALU_DEP_1)
	v_or3_b32 v8, v2, v9, v8
.LBB4_1635:                             ;   in Loop: Header=BB4_1353 Depth=4
	s_or_b32 exec_lo, exec_lo, s76
.LBB4_1636:                             ;   in Loop: Header=BB4_1353 Depth=4
	s_delay_alu instid0(SALU_CYCLE_1)
	s_or_b32 exec_lo, exec_lo, s15
.LBB4_1637:                             ;   in Loop: Header=BB4_1353 Depth=4
	s_delay_alu instid0(SALU_CYCLE_1) | instskip(SKIP_3) | instid1(VALU_DEP_1)
	s_or_b32 exec_lo, exec_lo, s14
	v_lshrrev_b16 v9, 8, v10
	s_mov_b32 s15, 0
	s_mov_b32 s14, exec_lo
	v_cmpx_lt_i16_e32 0x7f, v9
	s_xor_b32 s14, exec_lo, s14
	s_cbranch_execz .LBB4_1644
; %bb.1638:                             ;   in Loop: Header=BB4_1353 Depth=4
	s_mov_b32 s15, -1
	s_mov_b32 s76, exec_lo
	v_cmpx_eq_u16_e32 0x80, v9
; %bb.1639:                             ;   in Loop: Header=BB4_1353 Depth=4
	s_xor_b32 s15, exec_lo, -1
; %bb.1640:                             ;   in Loop: Header=BB4_1353 Depth=4
	s_or_b32 exec_lo, exec_lo, s76
	s_delay_alu instid0(SALU_CYCLE_1)
	s_and_b32 s15, s15, exec_lo
	s_or_saveexec_b32 s14, s14
	v_bfrev_b32_e32 v12, 1
	s_xor_b32 exec_lo, exec_lo, s14
	s_cbranch_execnz .LBB4_1645
.LBB4_1641:                             ;   in Loop: Header=BB4_1353 Depth=4
	s_or_b32 exec_lo, exec_lo, s14
	s_and_saveexec_b32 s14, s15
	s_cbranch_execnz .LBB4_1646
	s_branch .LBB4_1649
.LBB4_1642:                             ;   in Loop: Header=BB4_1353 Depth=4
	s_or_saveexec_b32 s15, s15
	v_bfrev_b32_e32 v8, 1
	s_xor_b32 exec_lo, exec_lo, s15
	s_cbranch_execz .LBB4_1611
.LBB4_1643:                             ;   in Loop: Header=BB4_1353 Depth=4
	v_cmp_ne_u16_e64 s13, 0, v9
	v_mov_b32_e32 v8, 0
	s_and_not1_b32 s14, s14, exec_lo
	s_and_b32 s13, s13, exec_lo
	s_delay_alu instid0(SALU_CYCLE_1)
	s_or_b32 s14, s14, s13
	s_or_b32 exec_lo, exec_lo, s15
	s_and_saveexec_b32 s15, s14
	s_cbranch_execnz .LBB4_1612
	s_branch .LBB4_1613
.LBB4_1644:                             ;   in Loop: Header=BB4_1353 Depth=4
	s_or_saveexec_b32 s14, s14
	v_bfrev_b32_e32 v12, 1
	s_xor_b32 exec_lo, exec_lo, s14
	s_cbranch_execz .LBB4_1641
.LBB4_1645:                             ;   in Loop: Header=BB4_1353 Depth=4
	v_cmp_ne_u16_e64 s13, 0, v9
	v_mov_b32_e32 v12, 0
	s_and_not1_b32 s15, s15, exec_lo
	s_and_b32 s13, s13, exec_lo
	s_delay_alu instid0(SALU_CYCLE_1)
	s_or_b32 s15, s15, s13
	s_or_b32 exec_lo, exec_lo, s14
	s_and_saveexec_b32 s14, s15
	s_cbranch_execz .LBB4_1649
.LBB4_1646:                             ;   in Loop: Header=BB4_1353 Depth=4
	v_and_b32_e32 v2, 0xffff, v9
	v_mov_b32_e32 v12, 0x7f800001
	s_mov_b32 s15, exec_lo
	s_delay_alu instid0(VALU_DEP_2) | instskip(NEXT) | instid1(VALU_DEP_1)
	v_and_b32_e32 v13, 0x7f, v2
	v_cmpx_ne_u32_e32 0x7f, v13
	s_cbranch_execz .LBB4_1648
; %bb.1647:                             ;   in Loop: Header=BB4_1353 Depth=4
	v_and_b32_e32 v12, 7, v2
	v_cmp_gt_u32_e64 s13, 8, v13
	s_delay_alu instid0(VALU_DEP_2) | instskip(NEXT) | instid1(VALU_DEP_1)
	v_clz_i32_u32_e32 v22, v12
	v_min_u32_e32 v24, 32, v22
	s_delay_alu instid0(VALU_DEP_1) | instskip(NEXT) | instid1(VALU_DEP_1)
	v_subrev_nc_u32_e32 v22, 28, v24
	v_lshlrev_b64_e32 v[22:23], v22, v[2:3]
	v_dual_lshrrev_b32 v2, 3, v13 :: v_dual_sub_nc_u32 v23, 29, v24
	s_delay_alu instid0(VALU_DEP_2) | instskip(NEXT) | instid1(VALU_DEP_1)
	v_dual_lshlrev_b32 v9, 24, v9 :: v_dual_bitop2_b32 v13, 7, v22 bitop3:0x40
	v_dual_cndmask_b32 v2, v2, v23, s13 :: v_dual_cndmask_b32 v12, v12, v13, s13
	s_delay_alu instid0(VALU_DEP_2) | instskip(NEXT) | instid1(VALU_DEP_2)
	v_and_b32_e32 v9, 0x80000000, v9
	v_lshl_add_u32 v2, v2, 23, 0x3c000000
	s_delay_alu instid0(VALU_DEP_3) | instskip(NEXT) | instid1(VALU_DEP_1)
	v_lshlrev_b32_e32 v12, 20, v12
	v_or3_b32 v12, v12, v9, v2
.LBB4_1648:                             ;   in Loop: Header=BB4_1353 Depth=4
	s_or_b32 exec_lo, exec_lo, s15
.LBB4_1649:                             ;   in Loop: Header=BB4_1353 Depth=4
	s_delay_alu instid0(SALU_CYCLE_1) | instskip(NEXT) | instid1(VALU_DEP_1)
	s_or_b32 exec_lo, exec_lo, s14
	v_add_f32_e32 v8, v8, v12
                                        ; implicit-def: $vgpr104
	s_mov_b32 s14, exec_lo
	s_delay_alu instid0(VALU_DEP_1) | instskip(SKIP_1) | instid1(VALU_DEP_2)
	v_and_b32_e32 v2, 0x7f800000, v8
	v_lshrrev_b32_e32 v9, 24, v8
	v_cmpx_ne_u64_e32 0x7f800000, v[2:3]
	s_xor_b32 s15, exec_lo, s14
	s_cbranch_execz .LBB4_1663
; %bb.1650:                             ;   in Loop: Header=BB4_1353 Depth=4
	v_and_b32_e32 v2, 0x7fffffff, v8
	v_and_b32_e32 v22, 0x80, v9
                                        ; implicit-def: $vgpr104
	s_mov_b32 s14, exec_lo
	s_delay_alu instid0(VALU_DEP_2)
	v_cmpx_gt_u64_e32 0x43e00001, v[2:3]
	s_xor_b32 s76, exec_lo, s14
	s_cbranch_execz .LBB4_1660
; %bb.1651:                             ;   in Loop: Header=BB4_1353 Depth=4
	v_mov_b32_e32 v104, 0
	s_mov_b32 s77, exec_lo
	v_cmpx_ne_u32_e32 0, v8
	s_cbranch_execz .LBB4_1659
; %bb.1652:                             ;   in Loop: Header=BB4_1353 Depth=4
	v_bfe_u32 v23, v8, 23, 8
	s_delay_alu instid0(VALU_DEP_1) | instskip(SKIP_1) | instid1(VALU_DEP_1)
	v_sub_nc_u32_e32 v2, 0x79, v23
	v_cmp_gt_u32_e64 s13, 0x7a, v23
	v_cndmask_b32_e64 v2, 0, v2, s13
	v_cmp_eq_u32_e64 s13, 0, v23
	s_delay_alu instid0(VALU_DEP_1) | instskip(SKIP_1) | instid1(VALU_DEP_2)
	v_cndmask_b32_e64 v24, v2, 0x78, s13
	v_and_b32_e32 v2, 0x7fffff, v8
	v_add_nc_u32_e32 v8, 20, v24
	s_delay_alu instid0(VALU_DEP_2) | instskip(SKIP_1) | instid1(VALU_DEP_3)
	v_or_b32_e32 v12, 0x800000, v2
	v_add_nc_u32_e32 v13, 19, v24
	v_lshlrev_b64_e64 v[8:9], v8, -1
	s_delay_alu instid0(VALU_DEP_3) | instskip(NEXT) | instid1(VALU_DEP_3)
	v_cndmask_b32_e64 v2, v12, v2, s13
	v_lshlrev_b64_e64 v[12:13], v13, 1
	s_delay_alu instid0(VALU_DEP_3) | instskip(NEXT) | instid1(VALU_DEP_3)
	v_bfi_b32 v27, v9, 0, 0
	v_bfi_b32 v26, v8, 0, v2
	v_lshrrev_b64 v[8:9], v24, v[2:3]
	s_delay_alu instid0(VALU_DEP_2) | instskip(NEXT) | instid1(VALU_DEP_2)
	v_cmp_eq_u64_e64 s14, v[26:27], v[12:13]
	v_mov_b64_e32 v[12:13], v[8:9]
	s_and_saveexec_b32 s78, s14
; %bb.1653:                             ;   in Loop: Header=BB4_1353 Depth=4
	v_bfe_u32 v2, v8, 20, 1
	s_delay_alu instid0(VALU_DEP_1) | instskip(NEXT) | instid1(VALU_DEP_1)
	v_add_nc_u64_e32 v[12:13], v[8:9], v[2:3]
	v_add_nc_u64_e32 v[12:13], -1, v[12:13]
; %bb.1654:                             ;   in Loop: Header=BB4_1353 Depth=4
	s_or_b32 exec_lo, exec_lo, s78
	v_add_nc_u32_e32 v2, 0xffffff81, v23
	v_lshrrev_b32_e32 v9, 23, v8
	s_mov_b32 s14, exec_lo
	s_delay_alu instid0(VALU_DEP_2) | instskip(NEXT) | instid1(VALU_DEP_1)
	v_cndmask_b32_e64 v2, v2, 0xffffff82, s13
	v_add3_u32 v13, v24, v2, v9
	v_and_b32_e32 v2, 0xfffff, v12
                                        ; implicit-def: $vgpr12
	s_delay_alu instid0(VALU_DEP_1) | instskip(NEXT) | instid1(VALU_DEP_1)
	v_dual_add_nc_u32 v23, 6, v13 :: v_dual_add_nc_u32 v2, v2, v8
                                        ; implicit-def: $vgpr8_vgpr9
	v_cmpx_ne_u32_e32 0, v23
	s_xor_b32 s14, exec_lo, s14
; %bb.1655:                             ;   in Loop: Header=BB4_1353 Depth=4
	s_delay_alu instid0(VALU_DEP_2) | instskip(SKIP_1) | instid1(VALU_DEP_1)
	v_cmp_lt_u64_e64 s13, 0xffffff, v[2:3]
	v_add_nc_u32_e32 v8, 7, v13
	v_cndmask_b32_e64 v12, v23, v8, s13
	v_cndmask_b32_e64 v8, 0, 1, s13
	s_delay_alu instid0(VALU_DEP_1)
	v_lshrrev_b64 v[8:9], v8, v[2:3]
; %bb.1656:                             ;   in Loop: Header=BB4_1353 Depth=4
	s_and_not1_saveexec_b32 s13, s14
; %bb.1657:                             ;   in Loop: Header=BB4_1353 Depth=4
	v_mov_b64_e32 v[8:9], v[2:3]
	v_bfe_u32 v12, v2, 23, 1
; %bb.1658:                             ;   in Loop: Header=BB4_1353 Depth=4
	s_or_b32 exec_lo, exec_lo, s13
	s_delay_alu instid0(VALU_DEP_2) | instskip(NEXT) | instid1(VALU_DEP_2)
	v_lshrrev_b64 v[8:9], 20, v[8:9]
	v_cmp_gt_i32_e64 s13, 16, v12
	v_min_i32_e32 v2, 15, v12
	v_cmp_eq_u32_e64 s14, 0, v12
	s_delay_alu instid0(VALU_DEP_2) | instskip(SKIP_1) | instid1(VALU_DEP_2)
	v_dual_cndmask_b32 v9, 0, v9, s13 :: v_dual_lshlrev_b32 v2, 3, v2
	v_cndmask_b32_e64 v8, 7, v8, s13
	v_and_b32_e32 v2, 0xf8, v2
	s_delay_alu instid0(VALU_DEP_2) | instskip(NEXT) | instid1(VALU_DEP_2)
	v_cmp_eq_u64_e64 s13, 0, v[8:9]
	v_and_or_b32 v2, v8, 7, v2
	s_and_b32 s13, s14, s13
	s_delay_alu instid0(VALU_DEP_1) | instid1(SALU_CYCLE_1)
	v_cndmask_b32_e64 v2, v2, 0, s13
	s_delay_alu instid0(VALU_DEP_1)
	v_or_b32_e32 v104, v2, v22
.LBB4_1659:                             ;   in Loop: Header=BB4_1353 Depth=4
	s_or_b32 exec_lo, exec_lo, s77
                                        ; implicit-def: $vgpr22
.LBB4_1660:                             ;   in Loop: Header=BB4_1353 Depth=4
	s_and_not1_saveexec_b32 s13, s76
; %bb.1661:                             ;   in Loop: Header=BB4_1353 Depth=4
	v_or_b32_e32 v104, 0x7e, v22
; %bb.1662:                             ;   in Loop: Header=BB4_1353 Depth=4
	s_or_b32 exec_lo, exec_lo, s13
                                        ; implicit-def: $vgpr9
.LBB4_1663:                             ;   in Loop: Header=BB4_1353 Depth=4
	s_and_not1_saveexec_b32 s13, s15
; %bb.1664:                             ;   in Loop: Header=BB4_1353 Depth=4
	v_or_b32_e32 v104, 0x7f, v9
; %bb.1665:                             ;   in Loop: Header=BB4_1353 Depth=4
	s_or_b32 exec_lo, exec_lo, s13
	v_dual_mov_b32 v8, 0 :: v_dual_lshrrev_b32 v9, 16, v14
	s_mov_b32 s14, exec_lo
	s_delay_alu instid0(VALU_DEP_1) | instskip(NEXT) | instid1(VALU_DEP_1)
	v_and_b32_e32 v2, 0xff, v9
	v_cmpx_ne_u16_e32 0, v2
	s_cbranch_execz .LBB4_1673
; %bb.1666:                             ;   in Loop: Header=BB4_1353 Depth=4
	v_bfrev_b32_e32 v8, 1
	s_mov_b32 s15, exec_lo
	v_cmpx_ne_u16_e32 0x80, v2
	s_cbranch_execz .LBB4_1672
; %bb.1667:                             ;   in Loop: Header=BB4_1353 Depth=4
	v_bfe_u32 v12, v14, 16, 7
	v_mov_b32_e32 v8, 0x7f800001
	s_mov_b32 s76, exec_lo
	s_delay_alu instid0(VALU_DEP_2)
	v_cmpx_ne_u32_e32 0x7f, v12
	s_cbranch_execz .LBB4_1671
; %bb.1668:                             ;   in Loop: Header=BB4_1353 Depth=4
	v_dual_lshrrev_b32 v8, 3, v12 :: v_dual_bitop2_b32 v2, 7, v9 bitop3:0x40
	s_mov_b32 s77, exec_lo
	v_cmpx_gt_u32_e32 8, v12
; %bb.1669:                             ;   in Loop: Header=BB4_1353 Depth=4
	s_delay_alu instid0(VALU_DEP_2) | instskip(NEXT) | instid1(VALU_DEP_1)
	v_clz_i32_u32_e32 v8, v2
	v_min_u32_e32 v8, 32, v8
	s_delay_alu instid0(VALU_DEP_1) | instskip(SKIP_1) | instid1(VALU_DEP_2)
	v_subrev_nc_u32_e32 v12, 28, v8
	v_sub_nc_u32_e32 v8, 29, v8
	v_lshlrev_b64_e32 v[12:13], v12, v[2:3]
	s_delay_alu instid0(VALU_DEP_1)
	v_and_b32_e32 v2, 7, v12
; %bb.1670:                             ;   in Loop: Header=BB4_1353 Depth=4
	s_or_b32 exec_lo, exec_lo, s77
	s_delay_alu instid0(VALU_DEP_1) | instskip(SKIP_1) | instid1(VALU_DEP_2)
	v_dual_lshlrev_b32 v9, 24, v9 :: v_dual_lshlrev_b32 v2, 20, v2
	v_lshl_add_u32 v8, v8, 23, 0x3c000000
	v_and_b32_e32 v9, 0x80000000, v9
	s_delay_alu instid0(VALU_DEP_1)
	v_or3_b32 v8, v2, v9, v8
.LBB4_1671:                             ;   in Loop: Header=BB4_1353 Depth=4
	s_or_b32 exec_lo, exec_lo, s76
.LBB4_1672:                             ;   in Loop: Header=BB4_1353 Depth=4
	s_delay_alu instid0(SALU_CYCLE_1)
	s_or_b32 exec_lo, exec_lo, s15
.LBB4_1673:                             ;   in Loop: Header=BB4_1353 Depth=4
	s_delay_alu instid0(SALU_CYCLE_1) | instskip(SKIP_3) | instid1(VALU_DEP_1)
	s_or_b32 exec_lo, exec_lo, s14
	v_lshrrev_b32_e32 v2, 16, v10
	s_mov_b32 s15, 0
	s_mov_b32 s14, exec_lo
	v_and_b32_e32 v12, 0xff, v2
	s_delay_alu instid0(VALU_DEP_1)
	v_cmpx_lt_i16_e32 0x7f, v12
	s_xor_b32 s14, exec_lo, s14
	s_cbranch_execz .LBB4_1678
; %bb.1674:                             ;   in Loop: Header=BB4_1353 Depth=4
	s_mov_b32 s15, -1
	s_mov_b32 s76, exec_lo
	v_cmpx_eq_u16_e32 0x80, v12
; %bb.1675:                             ;   in Loop: Header=BB4_1353 Depth=4
	s_xor_b32 s15, exec_lo, -1
; %bb.1676:                             ;   in Loop: Header=BB4_1353 Depth=4
	s_or_b32 exec_lo, exec_lo, s76
	s_delay_alu instid0(SALU_CYCLE_1)
	s_and_b32 s15, s15, exec_lo
                                        ; implicit-def: $vgpr12
	s_or_saveexec_b32 s14, s14
	v_bfrev_b32_e32 v9, 1
	s_xor_b32 exec_lo, exec_lo, s14
	s_cbranch_execnz .LBB4_1679
.LBB4_1677:                             ;   in Loop: Header=BB4_1353 Depth=4
	s_or_b32 exec_lo, exec_lo, s14
	s_and_saveexec_b32 s14, s15
	s_cbranch_execnz .LBB4_1680
	s_branch .LBB4_1683
.LBB4_1678:                             ;   in Loop: Header=BB4_1353 Depth=4
	s_or_saveexec_b32 s14, s14
	v_bfrev_b32_e32 v9, 1
	s_xor_b32 exec_lo, exec_lo, s14
	s_cbranch_execz .LBB4_1677
.LBB4_1679:                             ;   in Loop: Header=BB4_1353 Depth=4
	v_cmp_ne_u16_e64 s13, 0, v12
	v_mov_b32_e32 v9, 0
	s_and_not1_b32 s15, s15, exec_lo
	s_and_b32 s13, s13, exec_lo
	s_delay_alu instid0(SALU_CYCLE_1)
	s_or_b32 s15, s15, s13
	s_or_b32 exec_lo, exec_lo, s14
	s_and_saveexec_b32 s14, s15
	s_cbranch_execz .LBB4_1683
.LBB4_1680:                             ;   in Loop: Header=BB4_1353 Depth=4
	v_and_b32_e32 v12, 0x7f, v2
	v_mov_b32_e32 v9, 0x7f800001
	s_mov_b32 s15, exec_lo
	s_delay_alu instid0(VALU_DEP_2)
	v_cmpx_ne_u32_e32 0x7f, v12
	s_cbranch_execz .LBB4_1682
; %bb.1681:                             ;   in Loop: Header=BB4_1353 Depth=4
	v_and_b32_e32 v9, 7, v2
	v_cmp_gt_u32_e64 s13, 8, v12
	s_delay_alu instid0(VALU_DEP_2) | instskip(NEXT) | instid1(VALU_DEP_1)
	v_clz_i32_u32_e32 v13, v9
	v_min_u32_e32 v13, 32, v13
	s_delay_alu instid0(VALU_DEP_1) | instskip(NEXT) | instid1(VALU_DEP_1)
	v_subrev_nc_u32_e32 v22, 28, v13
	v_lshlrev_b64_e32 v[22:23], v22, v[2:3]
	v_dual_lshrrev_b32 v23, 3, v12 :: v_dual_sub_nc_u32 v13, 29, v13
	s_delay_alu instid0(VALU_DEP_2) | instskip(NEXT) | instid1(VALU_DEP_2)
	v_and_b32_e32 v12, 7, v22
	v_dual_lshlrev_b32 v2, 24, v2 :: v_dual_cndmask_b32 v13, v23, v13, s13
	s_delay_alu instid0(VALU_DEP_2) | instskip(NEXT) | instid1(VALU_DEP_2)
	v_cndmask_b32_e64 v9, v9, v12, s13
	v_and_b32_e32 v2, 0x80000000, v2
	s_delay_alu instid0(VALU_DEP_3) | instskip(NEXT) | instid1(VALU_DEP_3)
	v_lshl_add_u32 v12, v13, 23, 0x3c000000
	v_lshlrev_b32_e32 v9, 20, v9
	s_delay_alu instid0(VALU_DEP_1)
	v_or3_b32 v9, v9, v2, v12
.LBB4_1682:                             ;   in Loop: Header=BB4_1353 Depth=4
	s_or_b32 exec_lo, exec_lo, s15
.LBB4_1683:                             ;   in Loop: Header=BB4_1353 Depth=4
	s_delay_alu instid0(SALU_CYCLE_1) | instskip(NEXT) | instid1(VALU_DEP_1)
	s_or_b32 exec_lo, exec_lo, s14
	v_add_f32_e32 v8, v8, v9
                                        ; implicit-def: $vgpr26
	s_mov_b32 s14, exec_lo
	s_delay_alu instid0(VALU_DEP_1) | instskip(SKIP_1) | instid1(VALU_DEP_2)
	v_and_b32_e32 v2, 0x7f800000, v8
	v_lshrrev_b32_e32 v9, 24, v8
	v_cmpx_ne_u64_e32 0x7f800000, v[2:3]
	s_xor_b32 s15, exec_lo, s14
	s_cbranch_execz .LBB4_1697
; %bb.1684:                             ;   in Loop: Header=BB4_1353 Depth=4
	v_and_b32_e32 v2, 0x7fffffff, v8
	v_and_b32_e32 v22, 0x80, v9
                                        ; implicit-def: $vgpr26
	s_mov_b32 s14, exec_lo
	s_delay_alu instid0(VALU_DEP_2)
	v_cmpx_gt_u64_e32 0x43e00001, v[2:3]
	s_xor_b32 s76, exec_lo, s14
	s_cbranch_execz .LBB4_1694
; %bb.1685:                             ;   in Loop: Header=BB4_1353 Depth=4
	v_mov_b32_e32 v26, 0
	s_mov_b32 s77, exec_lo
	v_cmpx_ne_u32_e32 0, v8
	s_cbranch_execz .LBB4_1693
; %bb.1686:                             ;   in Loop: Header=BB4_1353 Depth=4
	v_bfe_u32 v23, v8, 23, 8
	s_delay_alu instid0(VALU_DEP_1) | instskip(SKIP_1) | instid1(VALU_DEP_1)
	v_sub_nc_u32_e32 v2, 0x79, v23
	v_cmp_gt_u32_e64 s13, 0x7a, v23
	v_cndmask_b32_e64 v2, 0, v2, s13
	v_cmp_eq_u32_e64 s13, 0, v23
	s_delay_alu instid0(VALU_DEP_1) | instskip(SKIP_1) | instid1(VALU_DEP_2)
	v_cndmask_b32_e64 v24, v2, 0x78, s13
	v_and_b32_e32 v2, 0x7fffff, v8
	v_add_nc_u32_e32 v8, 20, v24
	s_delay_alu instid0(VALU_DEP_2) | instskip(SKIP_1) | instid1(VALU_DEP_3)
	v_or_b32_e32 v12, 0x800000, v2
	v_add_nc_u32_e32 v13, 19, v24
	v_lshlrev_b64_e64 v[8:9], v8, -1
	s_delay_alu instid0(VALU_DEP_3) | instskip(NEXT) | instid1(VALU_DEP_3)
	v_cndmask_b32_e64 v2, v12, v2, s13
	v_lshlrev_b64_e64 v[12:13], v13, 1
	s_delay_alu instid0(VALU_DEP_3) | instskip(NEXT) | instid1(VALU_DEP_3)
	v_bfi_b32 v27, v9, 0, 0
	v_bfi_b32 v26, v8, 0, v2
	v_lshrrev_b64 v[8:9], v24, v[2:3]
	s_delay_alu instid0(VALU_DEP_2) | instskip(NEXT) | instid1(VALU_DEP_2)
	v_cmp_eq_u64_e64 s14, v[26:27], v[12:13]
	v_mov_b64_e32 v[12:13], v[8:9]
	s_and_saveexec_b32 s78, s14
; %bb.1687:                             ;   in Loop: Header=BB4_1353 Depth=4
	v_bfe_u32 v2, v8, 20, 1
	s_delay_alu instid0(VALU_DEP_1) | instskip(NEXT) | instid1(VALU_DEP_1)
	v_add_nc_u64_e32 v[12:13], v[8:9], v[2:3]
	v_add_nc_u64_e32 v[12:13], -1, v[12:13]
; %bb.1688:                             ;   in Loop: Header=BB4_1353 Depth=4
	s_or_b32 exec_lo, exec_lo, s78
	v_add_nc_u32_e32 v2, 0xffffff81, v23
	v_lshrrev_b32_e32 v9, 23, v8
	s_mov_b32 s14, exec_lo
	s_delay_alu instid0(VALU_DEP_2) | instskip(NEXT) | instid1(VALU_DEP_1)
	v_cndmask_b32_e64 v2, v2, 0xffffff82, s13
	v_add3_u32 v13, v24, v2, v9
	v_and_b32_e32 v2, 0xfffff, v12
                                        ; implicit-def: $vgpr12
	s_delay_alu instid0(VALU_DEP_1) | instskip(NEXT) | instid1(VALU_DEP_1)
	v_dual_add_nc_u32 v23, 6, v13 :: v_dual_add_nc_u32 v2, v2, v8
                                        ; implicit-def: $vgpr8_vgpr9
	v_cmpx_ne_u32_e32 0, v23
	s_xor_b32 s14, exec_lo, s14
; %bb.1689:                             ;   in Loop: Header=BB4_1353 Depth=4
	s_delay_alu instid0(VALU_DEP_2) | instskip(SKIP_1) | instid1(VALU_DEP_1)
	v_cmp_lt_u64_e64 s13, 0xffffff, v[2:3]
	v_add_nc_u32_e32 v8, 7, v13
	v_cndmask_b32_e64 v12, v23, v8, s13
	v_cndmask_b32_e64 v8, 0, 1, s13
	s_delay_alu instid0(VALU_DEP_1)
	v_lshrrev_b64 v[8:9], v8, v[2:3]
; %bb.1690:                             ;   in Loop: Header=BB4_1353 Depth=4
	s_and_not1_saveexec_b32 s13, s14
; %bb.1691:                             ;   in Loop: Header=BB4_1353 Depth=4
	v_mov_b64_e32 v[8:9], v[2:3]
	v_bfe_u32 v12, v2, 23, 1
; %bb.1692:                             ;   in Loop: Header=BB4_1353 Depth=4
	s_or_b32 exec_lo, exec_lo, s13
	s_delay_alu instid0(VALU_DEP_2) | instskip(NEXT) | instid1(VALU_DEP_2)
	v_lshrrev_b64 v[8:9], 20, v[8:9]
	v_cmp_gt_i32_e64 s13, 16, v12
	v_min_i32_e32 v2, 15, v12
	v_cmp_eq_u32_e64 s14, 0, v12
	s_delay_alu instid0(VALU_DEP_2) | instskip(SKIP_1) | instid1(VALU_DEP_2)
	v_dual_cndmask_b32 v9, 0, v9, s13 :: v_dual_lshlrev_b32 v2, 3, v2
	v_cndmask_b32_e64 v8, 7, v8, s13
	v_and_b32_e32 v2, 0xf8, v2
	s_delay_alu instid0(VALU_DEP_2) | instskip(NEXT) | instid1(VALU_DEP_2)
	v_cmp_eq_u64_e64 s13, 0, v[8:9]
	v_and_or_b32 v2, v8, 7, v2
	s_and_b32 s13, s14, s13
	s_delay_alu instid0(VALU_DEP_1) | instid1(SALU_CYCLE_1)
	v_cndmask_b32_e64 v2, v2, 0, s13
	s_delay_alu instid0(VALU_DEP_1)
	v_or_b32_e32 v26, v2, v22
.LBB4_1693:                             ;   in Loop: Header=BB4_1353 Depth=4
	s_or_b32 exec_lo, exec_lo, s77
                                        ; implicit-def: $vgpr22
.LBB4_1694:                             ;   in Loop: Header=BB4_1353 Depth=4
	s_and_not1_saveexec_b32 s13, s76
; %bb.1695:                             ;   in Loop: Header=BB4_1353 Depth=4
	v_or_b32_e32 v26, 0x7e, v22
; %bb.1696:                             ;   in Loop: Header=BB4_1353 Depth=4
	s_or_b32 exec_lo, exec_lo, s13
                                        ; implicit-def: $vgpr9
.LBB4_1697:                             ;   in Loop: Header=BB4_1353 Depth=4
	s_and_not1_saveexec_b32 s13, s15
; %bb.1698:                             ;   in Loop: Header=BB4_1353 Depth=4
	v_or_b32_e32 v26, 0x7f, v9
; %bb.1699:                             ;   in Loop: Header=BB4_1353 Depth=4
	s_or_b32 exec_lo, exec_lo, s13
	v_mov_b32_e32 v8, 0
	s_mov_b32 s14, exec_lo
	v_cmpx_lt_u32_e32 0xffffff, v14
	s_cbranch_execz .LBB4_1707
; %bb.1700:                             ;   in Loop: Header=BB4_1353 Depth=4
	v_lshrrev_b32_e32 v9, 24, v14
	v_bfrev_b32_e32 v8, 1
	s_mov_b32 s15, exec_lo
	s_delay_alu instid0(VALU_DEP_2)
	v_cmpx_ne_u32_e32 0x80, v9
	s_cbranch_execz .LBB4_1706
; %bb.1701:                             ;   in Loop: Header=BB4_1353 Depth=4
	v_bfe_u32 v12, v14, 24, 7
	v_mov_b32_e32 v8, 0x7f800001
	s_mov_b32 s76, exec_lo
	s_delay_alu instid0(VALU_DEP_2)
	v_cmpx_ne_u32_e32 0x7f, v12
	s_cbranch_execz .LBB4_1705
; %bb.1702:                             ;   in Loop: Header=BB4_1353 Depth=4
	v_dual_lshrrev_b32 v8, 3, v12 :: v_dual_bitop2_b32 v2, 7, v9 bitop3:0x40
	s_mov_b32 s77, exec_lo
	v_cmpx_gt_u32_e32 8, v12
; %bb.1703:                             ;   in Loop: Header=BB4_1353 Depth=4
	s_delay_alu instid0(VALU_DEP_2) | instskip(NEXT) | instid1(VALU_DEP_1)
	v_clz_i32_u32_e32 v8, v2
	v_min_u32_e32 v8, 32, v8
	s_delay_alu instid0(VALU_DEP_1) | instskip(SKIP_1) | instid1(VALU_DEP_2)
	v_subrev_nc_u32_e32 v12, 28, v8
	v_sub_nc_u32_e32 v8, 29, v8
	v_lshlrev_b64_e32 v[12:13], v12, v[2:3]
	s_delay_alu instid0(VALU_DEP_1)
	v_and_b32_e32 v2, 7, v12
; %bb.1704:                             ;   in Loop: Header=BB4_1353 Depth=4
	s_or_b32 exec_lo, exec_lo, s77
	s_delay_alu instid0(VALU_DEP_1) | instskip(SKIP_1) | instid1(VALU_DEP_2)
	v_dual_lshlrev_b32 v9, 24, v9 :: v_dual_lshlrev_b32 v2, 20, v2
	v_lshl_add_u32 v8, v8, 23, 0x3c000000
	v_and_b32_e32 v9, 0x80000000, v9
	s_delay_alu instid0(VALU_DEP_1)
	v_or3_b32 v8, v2, v9, v8
.LBB4_1705:                             ;   in Loop: Header=BB4_1353 Depth=4
	s_or_b32 exec_lo, exec_lo, s76
.LBB4_1706:                             ;   in Loop: Header=BB4_1353 Depth=4
	s_delay_alu instid0(SALU_CYCLE_1)
	s_or_b32 exec_lo, exec_lo, s15
.LBB4_1707:                             ;   in Loop: Header=BB4_1353 Depth=4
	s_delay_alu instid0(SALU_CYCLE_1) | instskip(SKIP_3) | instid1(VALU_DEP_3)
	s_or_b32 exec_lo, exec_lo, s14
	v_lshrrev_b32_e32 v2, 24, v10
	v_bfe_u32 v9, v10, 24, 7
	v_cmp_gt_u32_e64 s15, 0x1000000, v10
	v_cmp_eq_u32_e64 s13, 0x80, v2
	s_delay_alu instid0(VALU_DEP_3) | instskip(NEXT) | instid1(VALU_DEP_2)
	v_cmp_eq_u32_e64 s14, 0x7f, v9
	v_cndmask_b32_e64 v12, 0x7f800001, v91, s13
	s_or_b32 s13, s13, s14
	s_delay_alu instid0(SALU_CYCLE_1) | instskip(NEXT) | instid1(VALU_DEP_1)
	s_nor_b32 s13, s15, s13
	v_cndmask_b32_e64 v12, v12, 0, s15
	s_and_saveexec_b32 s14, s13
	s_cbranch_execz .LBB4_1709
; %bb.1708:                             ;   in Loop: Header=BB4_1353 Depth=4
	v_and_b32_e32 v22, 7, v2
	v_cmp_gt_u32_e64 s13, 8, v9
	s_delay_alu instid0(VALU_DEP_2) | instskip(NEXT) | instid1(VALU_DEP_1)
	v_clz_i32_u32_e32 v12, v22
	v_min_u32_e32 v23, 32, v12
	s_delay_alu instid0(VALU_DEP_1) | instskip(NEXT) | instid1(VALU_DEP_1)
	v_subrev_nc_u32_e32 v12, 28, v23
	v_lshlrev_b64_e32 v[12:13], v12, v[2:3]
	v_dual_lshrrev_b32 v13, 3, v9 :: v_dual_sub_nc_u32 v23, 29, v23
	s_delay_alu instid0(VALU_DEP_2) | instskip(NEXT) | instid1(VALU_DEP_2)
	v_dual_lshlrev_b32 v2, 24, v2 :: v_dual_bitop2_b32 v9, 7, v12 bitop3:0x40
	v_cndmask_b32_e64 v12, v13, v23, s13
	s_delay_alu instid0(VALU_DEP_2) | instskip(NEXT) | instid1(VALU_DEP_3)
	v_and_b32_e32 v2, 0x80000000, v2
	v_cndmask_b32_e64 v9, v22, v9, s13
	s_delay_alu instid0(VALU_DEP_3) | instskip(NEXT) | instid1(VALU_DEP_2)
	v_lshl_add_u32 v12, v12, 23, 0x3c000000
	v_lshlrev_b32_e32 v9, 20, v9
	s_delay_alu instid0(VALU_DEP_1)
	v_or3_b32 v12, v9, v2, v12
.LBB4_1709:                             ;   in Loop: Header=BB4_1353 Depth=4
	s_or_b32 exec_lo, exec_lo, s14
	s_delay_alu instid0(VALU_DEP_1) | instskip(SKIP_1) | instid1(VALU_DEP_1)
	v_add_f32_e32 v8, v8, v12
                                        ; implicit-def: $vgpr27
	s_mov_b32 s14, exec_lo
	v_and_b32_e32 v2, 0x7f800000, v8
	v_lshrrev_b32_e32 v9, 24, v8
	s_delay_alu instid0(VALU_DEP_2)
	v_cmpx_ne_u64_e32 0x7f800000, v[2:3]
	s_xor_b32 s15, exec_lo, s14
	s_cbranch_execz .LBB4_1723
; %bb.1710:                             ;   in Loop: Header=BB4_1353 Depth=4
	v_and_b32_e32 v2, 0x7fffffff, v8
	v_and_b32_e32 v22, 0x80, v9
                                        ; implicit-def: $vgpr27
	s_mov_b32 s14, exec_lo
	s_delay_alu instid0(VALU_DEP_2)
	v_cmpx_gt_u64_e32 0x43e00001, v[2:3]
	s_xor_b32 s76, exec_lo, s14
	s_cbranch_execz .LBB4_1720
; %bb.1711:                             ;   in Loop: Header=BB4_1353 Depth=4
	v_mov_b32_e32 v27, 0
	s_mov_b32 s77, exec_lo
	v_cmpx_ne_u32_e32 0, v8
	s_cbranch_execz .LBB4_1719
; %bb.1712:                             ;   in Loop: Header=BB4_1353 Depth=4
	v_bfe_u32 v23, v8, 23, 8
	s_delay_alu instid0(VALU_DEP_1) | instskip(SKIP_1) | instid1(VALU_DEP_1)
	v_sub_nc_u32_e32 v2, 0x79, v23
	v_cmp_gt_u32_e64 s13, 0x7a, v23
	v_cndmask_b32_e64 v2, 0, v2, s13
	v_cmp_eq_u32_e64 s13, 0, v23
	s_delay_alu instid0(VALU_DEP_1) | instskip(SKIP_1) | instid1(VALU_DEP_2)
	v_cndmask_b32_e64 v24, v2, 0x78, s13
	v_and_b32_e32 v2, 0x7fffff, v8
	v_add_nc_u32_e32 v8, 20, v24
	s_delay_alu instid0(VALU_DEP_2) | instskip(SKIP_1) | instid1(VALU_DEP_3)
	v_or_b32_e32 v12, 0x800000, v2
	v_add_nc_u32_e32 v13, 19, v24
	v_lshlrev_b64_e64 v[8:9], v8, -1
	s_delay_alu instid0(VALU_DEP_3) | instskip(NEXT) | instid1(VALU_DEP_3)
	v_cndmask_b32_e64 v2, v12, v2, s13
	v_lshlrev_b64_e64 v[12:13], v13, 1
	s_delay_alu instid0(VALU_DEP_3) | instskip(NEXT) | instid1(VALU_DEP_3)
	v_bfi_b32 v29, v9, 0, 0
	v_bfi_b32 v28, v8, 0, v2
	v_lshrrev_b64 v[8:9], v24, v[2:3]
	s_delay_alu instid0(VALU_DEP_2) | instskip(NEXT) | instid1(VALU_DEP_2)
	v_cmp_eq_u64_e64 s14, v[28:29], v[12:13]
	v_mov_b64_e32 v[12:13], v[8:9]
	s_and_saveexec_b32 s78, s14
; %bb.1713:                             ;   in Loop: Header=BB4_1353 Depth=4
	v_bfe_u32 v2, v8, 20, 1
	s_delay_alu instid0(VALU_DEP_1) | instskip(NEXT) | instid1(VALU_DEP_1)
	v_add_nc_u64_e32 v[12:13], v[8:9], v[2:3]
	v_add_nc_u64_e32 v[12:13], -1, v[12:13]
; %bb.1714:                             ;   in Loop: Header=BB4_1353 Depth=4
	s_or_b32 exec_lo, exec_lo, s78
	v_add_nc_u32_e32 v2, 0xffffff81, v23
	v_lshrrev_b32_e32 v9, 23, v8
	s_mov_b32 s14, exec_lo
	s_delay_alu instid0(VALU_DEP_2) | instskip(NEXT) | instid1(VALU_DEP_1)
	v_cndmask_b32_e64 v2, v2, 0xffffff82, s13
	v_add3_u32 v13, v24, v2, v9
	v_and_b32_e32 v2, 0xfffff, v12
                                        ; implicit-def: $vgpr12
	s_delay_alu instid0(VALU_DEP_1) | instskip(NEXT) | instid1(VALU_DEP_1)
	v_dual_add_nc_u32 v23, 6, v13 :: v_dual_add_nc_u32 v2, v2, v8
                                        ; implicit-def: $vgpr8_vgpr9
	v_cmpx_ne_u32_e32 0, v23
	s_xor_b32 s14, exec_lo, s14
; %bb.1715:                             ;   in Loop: Header=BB4_1353 Depth=4
	s_delay_alu instid0(VALU_DEP_2) | instskip(SKIP_1) | instid1(VALU_DEP_1)
	v_cmp_lt_u64_e64 s13, 0xffffff, v[2:3]
	v_add_nc_u32_e32 v8, 7, v13
	v_cndmask_b32_e64 v12, v23, v8, s13
	v_cndmask_b32_e64 v8, 0, 1, s13
	s_delay_alu instid0(VALU_DEP_1)
	v_lshrrev_b64 v[8:9], v8, v[2:3]
; %bb.1716:                             ;   in Loop: Header=BB4_1353 Depth=4
	s_and_not1_saveexec_b32 s13, s14
; %bb.1717:                             ;   in Loop: Header=BB4_1353 Depth=4
	v_mov_b64_e32 v[8:9], v[2:3]
	v_bfe_u32 v12, v2, 23, 1
; %bb.1718:                             ;   in Loop: Header=BB4_1353 Depth=4
	s_or_b32 exec_lo, exec_lo, s13
	s_delay_alu instid0(VALU_DEP_2) | instskip(NEXT) | instid1(VALU_DEP_2)
	v_lshrrev_b64 v[8:9], 20, v[8:9]
	v_cmp_gt_i32_e64 s13, 16, v12
	v_min_i32_e32 v2, 15, v12
	v_cmp_eq_u32_e64 s14, 0, v12
	s_delay_alu instid0(VALU_DEP_2) | instskip(SKIP_1) | instid1(VALU_DEP_2)
	v_dual_cndmask_b32 v9, 0, v9, s13 :: v_dual_lshlrev_b32 v2, 3, v2
	v_cndmask_b32_e64 v8, 7, v8, s13
	v_and_b32_e32 v2, 0xf8, v2
	s_delay_alu instid0(VALU_DEP_2) | instskip(NEXT) | instid1(VALU_DEP_2)
	v_cmp_eq_u64_e64 s13, 0, v[8:9]
	v_and_or_b32 v2, v8, 7, v2
	s_and_b32 s13, s14, s13
	s_delay_alu instid0(VALU_DEP_1) | instid1(SALU_CYCLE_1)
	v_cndmask_b32_e64 v2, v2, 0, s13
	s_delay_alu instid0(VALU_DEP_1)
	v_or_b32_e32 v27, v2, v22
.LBB4_1719:                             ;   in Loop: Header=BB4_1353 Depth=4
	s_or_b32 exec_lo, exec_lo, s77
                                        ; implicit-def: $vgpr22
.LBB4_1720:                             ;   in Loop: Header=BB4_1353 Depth=4
	s_and_not1_saveexec_b32 s13, s76
; %bb.1721:                             ;   in Loop: Header=BB4_1353 Depth=4
	v_or_b32_e32 v27, 0x7e, v22
; %bb.1722:                             ;   in Loop: Header=BB4_1353 Depth=4
	s_or_b32 exec_lo, exec_lo, s13
                                        ; implicit-def: $vgpr9
.LBB4_1723:                             ;   in Loop: Header=BB4_1353 Depth=4
	s_and_not1_saveexec_b32 s13, s15
; %bb.1724:                             ;   in Loop: Header=BB4_1353 Depth=4
	v_or_b32_e32 v27, 0x7f, v9
; %bb.1725:                             ;   in Loop: Header=BB4_1353 Depth=4
	s_or_b32 exec_lo, exec_lo, s13
	v_and_b32_e32 v8, 0xff, v15
	v_dual_mov_b32 v2, v15 :: v_dual_mov_b32 v12, 0
	s_mov_b32 s14, exec_lo
	s_delay_alu instid0(VALU_DEP_2)
	v_cmpx_ne_u16_e32 0, v8
	s_cbranch_execz .LBB4_1731
; %bb.1726:                             ;   in Loop: Header=BB4_1353 Depth=4
	v_bfrev_b32_e32 v12, 1
	s_mov_b32 s15, exec_lo
	v_cmpx_ne_u16_e32 0x80, v8
	s_cbranch_execz .LBB4_1730
; %bb.1727:                             ;   in Loop: Header=BB4_1353 Depth=4
	v_and_b32_e32 v8, 0x7f, v15
	v_mov_b32_e32 v12, 0x7f800001
	s_mov_b32 s76, exec_lo
	s_delay_alu instid0(VALU_DEP_2)
	v_cmpx_ne_u32_e32 0x7f, v8
	s_cbranch_execz .LBB4_1729
; %bb.1728:                             ;   in Loop: Header=BB4_1353 Depth=4
	v_dual_lshrrev_b32 v12, 3, v8 :: v_dual_bitop2_b32 v9, 7, v15 bitop3:0x40
	v_cmp_gt_u32_e64 s13, 8, v8
	s_delay_alu instid0(VALU_DEP_2) | instskip(NEXT) | instid1(VALU_DEP_1)
	v_clz_i32_u32_e32 v9, v9
	v_min_u32_e32 v9, 32, v9
	s_delay_alu instid0(VALU_DEP_1) | instskip(SKIP_1) | instid1(VALU_DEP_2)
	v_subrev_nc_u32_e32 v13, 28, v9
	v_sub_nc_u32_e32 v9, 29, v9
	v_cndmask_b32_e64 v8, 0, v13, s13
	s_delay_alu instid0(VALU_DEP_2) | instskip(NEXT) | instid1(VALU_DEP_2)
	v_cndmask_b32_e64 v12, v12, v9, s13
	v_lshlrev_b64_e32 v[8:9], v8, v[2:3]
	v_lshlrev_b32_e32 v9, 24, v2
	s_delay_alu instid0(VALU_DEP_3) | instskip(NEXT) | instid1(VALU_DEP_2)
	v_lshl_add_u32 v12, v12, 23, 0x3c000000
	v_and_b32_e32 v9, 0x80000000, v9
	s_delay_alu instid0(VALU_DEP_4) | instskip(NEXT) | instid1(VALU_DEP_1)
	v_lshlrev_b32_e32 v8, 20, v8
	v_and_b32_e32 v8, 0x700000, v8
	s_delay_alu instid0(VALU_DEP_1)
	v_or3_b32 v12, v8, v9, v12
.LBB4_1729:                             ;   in Loop: Header=BB4_1353 Depth=4
	s_or_b32 exec_lo, exec_lo, s76
.LBB4_1730:                             ;   in Loop: Header=BB4_1353 Depth=4
	s_delay_alu instid0(SALU_CYCLE_1)
	s_or_b32 exec_lo, exec_lo, s15
.LBB4_1731:                             ;   in Loop: Header=BB4_1353 Depth=4
	s_delay_alu instid0(SALU_CYCLE_1) | instskip(SKIP_4) | instid1(VALU_DEP_2)
	s_or_b32 exec_lo, exec_lo, s14
	v_and_b32_e32 v9, 0xff, v11
	v_mov_b32_e32 v8, v11
	s_mov_b32 s14, 0
	s_mov_b32 s15, exec_lo
	v_cmpx_lt_i16_e32 0x7f, v9
	s_xor_b32 s15, exec_lo, s15
	s_cbranch_execz .LBB4_1766
; %bb.1732:                             ;   in Loop: Header=BB4_1353 Depth=4
	s_mov_b32 s14, -1
	s_mov_b32 s76, exec_lo
	v_cmpx_eq_u16_e32 0x80, v9
; %bb.1733:                             ;   in Loop: Header=BB4_1353 Depth=4
	s_xor_b32 s14, exec_lo, -1
; %bb.1734:                             ;   in Loop: Header=BB4_1353 Depth=4
	s_or_b32 exec_lo, exec_lo, s76
	s_delay_alu instid0(SALU_CYCLE_1)
	s_and_b32 s14, s14, exec_lo
                                        ; implicit-def: $vgpr9
	s_or_saveexec_b32 s15, s15
	v_bfrev_b32_e32 v13, 1
	s_xor_b32 exec_lo, exec_lo, s15
	s_cbranch_execnz .LBB4_1767
.LBB4_1735:                             ;   in Loop: Header=BB4_1353 Depth=4
	s_or_b32 exec_lo, exec_lo, s15
	v_mov_b32_e32 v9, v3
	s_and_saveexec_b32 s15, s14
	s_cbranch_execz .LBB4_1737
.LBB4_1736:                             ;   in Loop: Header=BB4_1353 Depth=4
	v_and_b32_e32 v13, 7, v11
	v_and_b32_e32 v24, 0x7f, v11
	v_bfe_u32 v22, v11, 3, 4
	s_delay_alu instid0(VALU_DEP_3) | instskip(NEXT) | instid1(VALU_DEP_3)
	v_clz_i32_u32_e32 v13, v13
	v_cmp_gt_u32_e64 s13, 8, v24
	s_delay_alu instid0(VALU_DEP_2) | instskip(NEXT) | instid1(VALU_DEP_1)
	v_min_u32_e32 v13, 32, v13
	v_subrev_nc_u32_e32 v23, 28, v13
	v_sub_nc_u32_e32 v13, 29, v13
	s_delay_alu instid0(VALU_DEP_1) | instskip(SKIP_1) | instid1(VALU_DEP_2)
	v_dual_cndmask_b32 v13, v22, v13, s13 :: v_dual_cndmask_b32 v22, 0, v23, s13
	v_cmp_ne_u32_e64 s13, 0x7f, v24
	v_lshlrev_b64_e32 v[22:23], v22, v[8:9]
	v_lshlrev_b32_e32 v9, 24, v8
	s_delay_alu instid0(VALU_DEP_1) | instskip(NEXT) | instid1(VALU_DEP_3)
	v_and_b32_e32 v9, 0x80000000, v9
	v_lshlrev_b32_e32 v22, 20, v22
	v_lshl_add_u32 v13, v13, 23, 0x3c000000
	s_delay_alu instid0(VALU_DEP_2) | instskip(NEXT) | instid1(VALU_DEP_1)
	v_and_b32_e32 v22, 0x700000, v22
	v_or3_b32 v9, v22, v9, v13
	s_delay_alu instid0(VALU_DEP_1)
	v_cndmask_b32_e64 v13, 0x7f800001, v9, s13
.LBB4_1737:                             ;   in Loop: Header=BB4_1353 Depth=4
	s_or_b32 exec_lo, exec_lo, s15
	s_delay_alu instid0(VALU_DEP_1) | instskip(NEXT) | instid1(VALU_DEP_1)
	v_dual_add_f32 v12, v12, v13 :: v_dual_mov_b32 v23, v3
	v_and_b32_e32 v22, 0x7f800000, v12
	v_lshrrev_b32_e32 v9, 24, v12
	s_delay_alu instid0(VALU_DEP_2) | instskip(SKIP_1) | instid1(SALU_CYCLE_1)
	v_cmp_ne_u64_e64 s13, 0x7f800000, v[22:23]
                                        ; implicit-def: $vgpr22
	s_and_saveexec_b32 s14, s13
	s_xor_b32 s15, exec_lo, s14
	s_cbranch_execz .LBB4_1751
; %bb.1738:                             ;   in Loop: Header=BB4_1353 Depth=4
	v_and_b32_e32 v22, 0x7fffffff, v12
	v_mov_b32_e32 v23, v3
	v_and_b32_e32 v9, 0x80, v9
	s_delay_alu instid0(VALU_DEP_2) | instskip(SKIP_1) | instid1(SALU_CYCLE_1)
	v_cmp_gt_u64_e64 s13, 0x43e00001, v[22:23]
                                        ; implicit-def: $vgpr22
	s_and_saveexec_b32 s14, s13
	s_xor_b32 s76, exec_lo, s14
	s_cbranch_execz .LBB4_1748
; %bb.1739:                             ;   in Loop: Header=BB4_1353 Depth=4
	v_mov_b32_e32 v22, 0
	s_mov_b32 s77, exec_lo
	v_cmpx_ne_u32_e32 0, v12
	s_cbranch_execz .LBB4_1747
; %bb.1740:                             ;   in Loop: Header=BB4_1353 Depth=4
	v_bfe_u32 v24, v12, 23, 8
	v_and_b32_e32 v22, 0x7fffff, v12
	s_mov_b32 s78, exec_lo
	s_delay_alu instid0(VALU_DEP_2) | instskip(SKIP_1) | instid1(VALU_DEP_3)
	v_sub_nc_u32_e32 v13, 0x79, v24
	v_cmp_gt_u32_e64 s13, 0x7a, v24
	v_or_b32_e32 v23, 0x800000, v22
	s_delay_alu instid0(VALU_DEP_2) | instskip(SKIP_1) | instid1(VALU_DEP_1)
	v_cndmask_b32_e64 v13, 0, v13, s13
	v_cmp_eq_u32_e64 s13, 0, v24
	v_cndmask_b32_e64 v22, v23, v22, s13
	s_delay_alu instid0(VALU_DEP_3) | instskip(NEXT) | instid1(VALU_DEP_1)
	v_cndmask_b32_e64 v25, v13, 0x78, s13
	v_dual_mov_b32 v23, v3 :: v_dual_add_nc_u32 v12, 20, v25
	v_add_nc_u32_e32 v28, 19, v25
	s_delay_alu instid0(VALU_DEP_2) | instskip(NEXT) | instid1(VALU_DEP_2)
	v_lshlrev_b64_e64 v[12:13], v12, -1
	v_lshlrev_b64_e64 v[28:29], v28, 1
	s_delay_alu instid0(VALU_DEP_2) | instskip(NEXT) | instid1(VALU_DEP_3)
	v_bfi_b32 v69, v13, 0, 0
	v_bfi_b32 v68, v12, 0, v22
	v_lshrrev_b64 v[12:13], v25, v[22:23]
	s_delay_alu instid0(VALU_DEP_1) | instskip(NEXT) | instid1(VALU_DEP_3)
	v_mov_b64_e32 v[22:23], v[12:13]
	v_cmpx_eq_u64_e64 v[68:69], v[28:29]
; %bb.1741:                             ;   in Loop: Header=BB4_1353 Depth=4
	v_bfe_u32 v22, v12, 20, 1
	v_mov_b32_e32 v23, v3
	s_delay_alu instid0(VALU_DEP_1) | instskip(NEXT) | instid1(VALU_DEP_1)
	v_add_nc_u64_e32 v[22:23], v[12:13], v[22:23]
	v_add_nc_u64_e32 v[22:23], -1, v[22:23]
; %bb.1742:                             ;   in Loop: Header=BB4_1353 Depth=4
	s_or_b32 exec_lo, exec_lo, s78
	v_add_nc_u32_e32 v13, 0xffffff81, v24
	v_lshrrev_b32_e32 v23, 23, v12
	s_mov_b32 s14, exec_lo
	s_delay_alu instid0(VALU_DEP_2) | instskip(NEXT) | instid1(VALU_DEP_1)
	v_cndmask_b32_e64 v13, v13, 0xffffff82, s13
	v_add3_u32 v23, v25, v13, v23
	v_and_b32_e32 v13, 0xfffff, v22
                                        ; implicit-def: $vgpr22
	s_delay_alu instid0(VALU_DEP_1) | instskip(SKIP_1) | instid1(VALU_DEP_2)
	v_dual_add_nc_u32 v24, 6, v23 :: v_dual_add_nc_u32 v12, v13, v12
	v_mov_b32_e32 v13, v3
	v_cmpx_ne_u32_e32 0, v24
	s_xor_b32 s14, exec_lo, s14
; %bb.1743:                             ;   in Loop: Header=BB4_1353 Depth=4
	s_delay_alu instid0(VALU_DEP_2) | instskip(SKIP_1) | instid1(VALU_DEP_2)
	v_cmp_lt_u64_e64 s13, 0xffffff, v[12:13]
	v_add_nc_u32_e32 v22, 7, v23
	v_cndmask_b32_e64 v23, 0, 1, s13
	s_delay_alu instid0(VALU_DEP_2) | instskip(NEXT) | instid1(VALU_DEP_2)
	v_cndmask_b32_e64 v22, v24, v22, s13
	v_lshrrev_b64 v[12:13], v23, v[12:13]
; %bb.1744:                             ;   in Loop: Header=BB4_1353 Depth=4
	s_and_not1_saveexec_b32 s13, s14
; %bb.1745:                             ;   in Loop: Header=BB4_1353 Depth=4
	s_delay_alu instid0(VALU_DEP_1)
	v_bfe_u32 v22, v12, 23, 1
; %bb.1746:                             ;   in Loop: Header=BB4_1353 Depth=4
	s_or_b32 exec_lo, exec_lo, s13
	s_delay_alu instid0(VALU_DEP_2) | instskip(NEXT) | instid1(VALU_DEP_2)
	v_lshrrev_b64 v[12:13], 20, v[12:13]
	v_cmp_gt_i32_e64 s13, 16, v22
	v_min_i32_e32 v23, 15, v22
	v_cmp_eq_u32_e64 s14, 0, v22
	s_delay_alu instid0(VALU_DEP_2) | instskip(SKIP_1) | instid1(VALU_DEP_2)
	v_dual_cndmask_b32 v13, 0, v13, s13 :: v_dual_lshlrev_b32 v23, 3, v23
	v_cndmask_b32_e64 v12, 7, v12, s13
	v_and_b32_e32 v23, 0xf8, v23
	s_delay_alu instid0(VALU_DEP_2) | instskip(NEXT) | instid1(VALU_DEP_2)
	v_cmp_eq_u64_e64 s13, 0, v[12:13]
	v_and_or_b32 v12, v12, 7, v23
	s_and_b32 s13, s14, s13
	s_delay_alu instid0(VALU_DEP_1) | instid1(SALU_CYCLE_1)
	v_cndmask_b32_e64 v12, v12, 0, s13
	s_delay_alu instid0(VALU_DEP_1)
	v_or_b32_e32 v22, v12, v9
.LBB4_1747:                             ;   in Loop: Header=BB4_1353 Depth=4
	s_or_b32 exec_lo, exec_lo, s77
                                        ; implicit-def: $vgpr9
.LBB4_1748:                             ;   in Loop: Header=BB4_1353 Depth=4
	s_and_not1_saveexec_b32 s13, s76
; %bb.1749:                             ;   in Loop: Header=BB4_1353 Depth=4
	v_or_b32_e32 v22, 0x7e, v9
; %bb.1750:                             ;   in Loop: Header=BB4_1353 Depth=4
	s_or_b32 exec_lo, exec_lo, s13
                                        ; implicit-def: $vgpr9
.LBB4_1751:                             ;   in Loop: Header=BB4_1353 Depth=4
	s_and_not1_saveexec_b32 s13, s15
; %bb.1752:                             ;   in Loop: Header=BB4_1353 Depth=4
	v_or_b32_e32 v22, 0x7f, v9
; %bb.1753:                             ;   in Loop: Header=BB4_1353 Depth=4
	s_or_b32 exec_lo, exec_lo, s13
	v_lshrrev_b16 v12, 8, v2
	v_mov_b32_e32 v9, 0
	s_mov_b32 s14, exec_lo
	s_delay_alu instid0(VALU_DEP_2)
	v_cmpx_ne_u16_e32 0, v12
	s_cbranch_execz .LBB4_1761
; %bb.1754:                             ;   in Loop: Header=BB4_1353 Depth=4
	v_bfrev_b32_e32 v9, 1
	s_mov_b32 s15, exec_lo
	v_cmpx_ne_u16_e32 0x80, v12
	s_cbranch_execz .LBB4_1760
; %bb.1755:                             ;   in Loop: Header=BB4_1353 Depth=4
	v_and_b32_e32 v12, 0xffff, v12
	v_mov_b32_e32 v9, 0x7f800001
	s_mov_b32 s76, exec_lo
	s_delay_alu instid0(VALU_DEP_2) | instskip(NEXT) | instid1(VALU_DEP_1)
	v_and_b32_e32 v23, 0x7f, v12
	v_cmpx_ne_u32_e32 0x7f, v23
	s_cbranch_execz .LBB4_1759
; %bb.1756:                             ;   in Loop: Header=BB4_1353 Depth=4
	v_dual_mov_b32 v13, v3 :: v_dual_bitop2_b32 v12, 7, v12 bitop3:0x40
	v_lshrrev_b32_e32 v9, 3, v23
	s_mov_b32 s77, exec_lo
	v_cmpx_gt_u32_e32 8, v23
; %bb.1757:                             ;   in Loop: Header=BB4_1353 Depth=4
	s_delay_alu instid0(VALU_DEP_3) | instskip(NEXT) | instid1(VALU_DEP_1)
	v_clz_i32_u32_e32 v9, v12
	v_min_u32_e32 v9, 32, v9
	s_delay_alu instid0(VALU_DEP_1) | instskip(NEXT) | instid1(VALU_DEP_1)
	v_subrev_nc_u32_e32 v23, 28, v9
	v_lshlrev_b64_e32 v[12:13], v23, v[12:13]
	s_delay_alu instid0(VALU_DEP_1)
	v_dual_sub_nc_u32 v9, 29, v9 :: v_dual_bitop2_b32 v12, 7, v12 bitop3:0x40
; %bb.1758:                             ;   in Loop: Header=BB4_1353 Depth=4
	s_or_b32 exec_lo, exec_lo, s77
	s_delay_alu instid0(VALU_DEP_1) | instskip(NEXT) | instid1(VALU_DEP_2)
	v_dual_lshlrev_b32 v2, 16, v2 :: v_dual_lshlrev_b32 v12, 20, v12
	v_lshl_add_u32 v9, v9, 23, 0x3c000000
	s_delay_alu instid0(VALU_DEP_2) | instskip(NEXT) | instid1(VALU_DEP_1)
	v_and_b32_e32 v2, 0x80000000, v2
	v_or3_b32 v9, v12, v2, v9
.LBB4_1759:                             ;   in Loop: Header=BB4_1353 Depth=4
	s_or_b32 exec_lo, exec_lo, s76
.LBB4_1760:                             ;   in Loop: Header=BB4_1353 Depth=4
	s_delay_alu instid0(SALU_CYCLE_1)
	s_or_b32 exec_lo, exec_lo, s15
.LBB4_1761:                             ;   in Loop: Header=BB4_1353 Depth=4
	s_delay_alu instid0(SALU_CYCLE_1) | instskip(SKIP_3) | instid1(VALU_DEP_1)
	s_or_b32 exec_lo, exec_lo, s14
	v_lshrrev_b16 v8, 8, v8
	s_mov_b32 s15, 0
	s_mov_b32 s14, exec_lo
	v_cmpx_lt_i16_e32 0x7f, v8
	s_xor_b32 s14, exec_lo, s14
	s_cbranch_execz .LBB4_1768
; %bb.1762:                             ;   in Loop: Header=BB4_1353 Depth=4
	s_mov_b32 s15, -1
	s_mov_b32 s76, exec_lo
	v_cmpx_eq_u16_e32 0x80, v8
; %bb.1763:                             ;   in Loop: Header=BB4_1353 Depth=4
	s_xor_b32 s15, exec_lo, -1
; %bb.1764:                             ;   in Loop: Header=BB4_1353 Depth=4
	s_or_b32 exec_lo, exec_lo, s76
	s_delay_alu instid0(SALU_CYCLE_1)
	s_and_b32 s15, s15, exec_lo
	s_or_saveexec_b32 s14, s14
	v_bfrev_b32_e32 v12, 1
	s_xor_b32 exec_lo, exec_lo, s14
	s_cbranch_execnz .LBB4_1769
.LBB4_1765:                             ;   in Loop: Header=BB4_1353 Depth=4
	s_or_b32 exec_lo, exec_lo, s14
	s_and_saveexec_b32 s14, s15
	s_cbranch_execnz .LBB4_1770
	s_branch .LBB4_1773
.LBB4_1766:                             ;   in Loop: Header=BB4_1353 Depth=4
	s_or_saveexec_b32 s15, s15
	v_bfrev_b32_e32 v13, 1
	s_xor_b32 exec_lo, exec_lo, s15
	s_cbranch_execz .LBB4_1735
.LBB4_1767:                             ;   in Loop: Header=BB4_1353 Depth=4
	v_cmp_ne_u16_e64 s13, 0, v9
	v_mov_b32_e32 v13, 0
	s_and_not1_b32 s14, s14, exec_lo
	s_and_b32 s13, s13, exec_lo
	s_delay_alu instid0(SALU_CYCLE_1)
	s_or_b32 s14, s14, s13
	s_or_b32 exec_lo, exec_lo, s15
	v_mov_b32_e32 v9, v3
	s_and_saveexec_b32 s15, s14
	s_cbranch_execnz .LBB4_1736
	s_branch .LBB4_1737
.LBB4_1768:                             ;   in Loop: Header=BB4_1353 Depth=4
	s_or_saveexec_b32 s14, s14
	v_bfrev_b32_e32 v12, 1
	s_xor_b32 exec_lo, exec_lo, s14
	s_cbranch_execz .LBB4_1765
.LBB4_1769:                             ;   in Loop: Header=BB4_1353 Depth=4
	v_cmp_ne_u16_e64 s13, 0, v8
	v_mov_b32_e32 v12, 0
	s_and_not1_b32 s15, s15, exec_lo
	s_and_b32 s13, s13, exec_lo
	s_delay_alu instid0(SALU_CYCLE_1)
	s_or_b32 s15, s15, s13
	s_or_b32 exec_lo, exec_lo, s14
	s_and_saveexec_b32 s14, s15
	s_cbranch_execz .LBB4_1773
.LBB4_1770:                             ;   in Loop: Header=BB4_1353 Depth=4
	v_and_b32_e32 v2, 0xffff, v8
	v_mov_b32_e32 v12, 0x7f800001
	s_mov_b32 s15, exec_lo
	s_delay_alu instid0(VALU_DEP_2) | instskip(NEXT) | instid1(VALU_DEP_1)
	v_and_b32_e32 v13, 0x7f, v2
	v_cmpx_ne_u32_e32 0x7f, v13
	s_cbranch_execz .LBB4_1772
; %bb.1771:                             ;   in Loop: Header=BB4_1353 Depth=4
	v_and_b32_e32 v12, 7, v2
	v_cmp_gt_u32_e64 s13, 8, v13
	s_delay_alu instid0(VALU_DEP_2) | instskip(NEXT) | instid1(VALU_DEP_1)
	v_clz_i32_u32_e32 v23, v12
	v_min_u32_e32 v23, 32, v23
	s_delay_alu instid0(VALU_DEP_1) | instskip(NEXT) | instid1(VALU_DEP_1)
	v_subrev_nc_u32_e32 v24, 28, v23
	v_lshlrev_b64_e32 v[24:25], v24, v[2:3]
	v_dual_lshrrev_b32 v2, 3, v13 :: v_dual_sub_nc_u32 v23, 29, v23
	s_delay_alu instid0(VALU_DEP_2) | instskip(NEXT) | instid1(VALU_DEP_2)
	v_and_b32_e32 v13, 7, v24
	v_dual_lshlrev_b32 v8, 24, v8 :: v_dual_cndmask_b32 v2, v2, v23, s13
	s_delay_alu instid0(VALU_DEP_2) | instskip(NEXT) | instid1(VALU_DEP_2)
	v_cndmask_b32_e64 v12, v12, v13, s13
	v_and_b32_e32 v8, 0x80000000, v8
	s_delay_alu instid0(VALU_DEP_3) | instskip(NEXT) | instid1(VALU_DEP_3)
	v_lshl_add_u32 v2, v2, 23, 0x3c000000
	v_lshlrev_b32_e32 v12, 20, v12
	s_delay_alu instid0(VALU_DEP_1)
	v_or3_b32 v12, v12, v8, v2
.LBB4_1772:                             ;   in Loop: Header=BB4_1353 Depth=4
	s_or_b32 exec_lo, exec_lo, s15
.LBB4_1773:                             ;   in Loop: Header=BB4_1353 Depth=4
	s_delay_alu instid0(SALU_CYCLE_1) | instskip(NEXT) | instid1(VALU_DEP_1)
	s_or_b32 exec_lo, exec_lo, s14
	v_add_f32_e32 v8, v9, v12
                                        ; implicit-def: $vgpr23
	s_mov_b32 s14, exec_lo
	s_delay_alu instid0(VALU_DEP_1) | instskip(SKIP_1) | instid1(VALU_DEP_2)
	v_and_b32_e32 v2, 0x7f800000, v8
	v_lshrrev_b32_e32 v9, 24, v8
	v_cmpx_ne_u64_e32 0x7f800000, v[2:3]
	s_xor_b32 s15, exec_lo, s14
	s_cbranch_execz .LBB4_1787
; %bb.1774:                             ;   in Loop: Header=BB4_1353 Depth=4
	v_and_b32_e32 v2, 0x7fffffff, v8
	v_and_b32_e32 v28, 0x80, v9
                                        ; implicit-def: $vgpr23
	s_mov_b32 s14, exec_lo
	s_delay_alu instid0(VALU_DEP_2)
	v_cmpx_gt_u64_e32 0x43e00001, v[2:3]
	s_xor_b32 s76, exec_lo, s14
	s_cbranch_execz .LBB4_1784
; %bb.1775:                             ;   in Loop: Header=BB4_1353 Depth=4
	v_mov_b32_e32 v23, 0
	s_mov_b32 s77, exec_lo
	v_cmpx_ne_u32_e32 0, v8
	s_cbranch_execz .LBB4_1783
; %bb.1776:                             ;   in Loop: Header=BB4_1353 Depth=4
	v_bfe_u32 v23, v8, 23, 8
	s_delay_alu instid0(VALU_DEP_1) | instskip(SKIP_1) | instid1(VALU_DEP_1)
	v_sub_nc_u32_e32 v2, 0x79, v23
	v_cmp_gt_u32_e64 s13, 0x7a, v23
	v_cndmask_b32_e64 v2, 0, v2, s13
	v_cmp_eq_u32_e64 s13, 0, v23
	s_delay_alu instid0(VALU_DEP_1) | instskip(SKIP_1) | instid1(VALU_DEP_2)
	v_cndmask_b32_e64 v24, v2, 0x78, s13
	v_and_b32_e32 v2, 0x7fffff, v8
	v_add_nc_u32_e32 v8, 20, v24
	s_delay_alu instid0(VALU_DEP_2) | instskip(SKIP_1) | instid1(VALU_DEP_3)
	v_or_b32_e32 v12, 0x800000, v2
	v_add_nc_u32_e32 v13, 19, v24
	v_lshlrev_b64_e64 v[8:9], v8, -1
	s_delay_alu instid0(VALU_DEP_3) | instskip(NEXT) | instid1(VALU_DEP_3)
	v_cndmask_b32_e64 v2, v12, v2, s13
	v_lshlrev_b64_e64 v[12:13], v13, 1
	s_delay_alu instid0(VALU_DEP_3) | instskip(NEXT) | instid1(VALU_DEP_3)
	v_bfi_b32 v69, v9, 0, 0
	v_bfi_b32 v68, v8, 0, v2
	v_lshrrev_b64 v[8:9], v24, v[2:3]
	s_delay_alu instid0(VALU_DEP_2) | instskip(NEXT) | instid1(VALU_DEP_2)
	v_cmp_eq_u64_e64 s14, v[68:69], v[12:13]
	v_mov_b64_e32 v[12:13], v[8:9]
	s_and_saveexec_b32 s78, s14
; %bb.1777:                             ;   in Loop: Header=BB4_1353 Depth=4
	v_bfe_u32 v2, v8, 20, 1
	s_delay_alu instid0(VALU_DEP_1) | instskip(NEXT) | instid1(VALU_DEP_1)
	v_add_nc_u64_e32 v[12:13], v[8:9], v[2:3]
	v_add_nc_u64_e32 v[12:13], -1, v[12:13]
; %bb.1778:                             ;   in Loop: Header=BB4_1353 Depth=4
	s_or_b32 exec_lo, exec_lo, s78
	v_add_nc_u32_e32 v2, 0xffffff81, v23
	v_lshrrev_b32_e32 v9, 23, v8
	s_mov_b32 s14, exec_lo
	s_delay_alu instid0(VALU_DEP_2) | instskip(NEXT) | instid1(VALU_DEP_1)
	v_cndmask_b32_e64 v2, v2, 0xffffff82, s13
	v_add3_u32 v13, v24, v2, v9
	v_and_b32_e32 v2, 0xfffff, v12
                                        ; implicit-def: $vgpr12
	s_delay_alu instid0(VALU_DEP_1) | instskip(NEXT) | instid1(VALU_DEP_1)
	v_dual_add_nc_u32 v23, 6, v13 :: v_dual_add_nc_u32 v2, v2, v8
                                        ; implicit-def: $vgpr8_vgpr9
	v_cmpx_ne_u32_e32 0, v23
	s_xor_b32 s14, exec_lo, s14
; %bb.1779:                             ;   in Loop: Header=BB4_1353 Depth=4
	s_delay_alu instid0(VALU_DEP_2) | instskip(SKIP_1) | instid1(VALU_DEP_1)
	v_cmp_lt_u64_e64 s13, 0xffffff, v[2:3]
	v_add_nc_u32_e32 v8, 7, v13
	v_cndmask_b32_e64 v12, v23, v8, s13
	v_cndmask_b32_e64 v8, 0, 1, s13
	s_delay_alu instid0(VALU_DEP_1)
	v_lshrrev_b64 v[8:9], v8, v[2:3]
; %bb.1780:                             ;   in Loop: Header=BB4_1353 Depth=4
	s_and_not1_saveexec_b32 s13, s14
; %bb.1781:                             ;   in Loop: Header=BB4_1353 Depth=4
	v_mov_b64_e32 v[8:9], v[2:3]
	v_bfe_u32 v12, v2, 23, 1
; %bb.1782:                             ;   in Loop: Header=BB4_1353 Depth=4
	s_or_b32 exec_lo, exec_lo, s13
	s_delay_alu instid0(VALU_DEP_2) | instskip(NEXT) | instid1(VALU_DEP_2)
	v_lshrrev_b64 v[8:9], 20, v[8:9]
	v_cmp_gt_i32_e64 s13, 16, v12
	v_min_i32_e32 v2, 15, v12
	v_cmp_eq_u32_e64 s14, 0, v12
	s_delay_alu instid0(VALU_DEP_2) | instskip(SKIP_1) | instid1(VALU_DEP_2)
	v_dual_cndmask_b32 v9, 0, v9, s13 :: v_dual_lshlrev_b32 v2, 3, v2
	v_cndmask_b32_e64 v8, 7, v8, s13
	v_and_b32_e32 v2, 0xf8, v2
	s_delay_alu instid0(VALU_DEP_2) | instskip(NEXT) | instid1(VALU_DEP_2)
	v_cmp_eq_u64_e64 s13, 0, v[8:9]
	v_and_or_b32 v2, v8, 7, v2
	s_and_b32 s13, s14, s13
	s_delay_alu instid0(VALU_DEP_1) | instid1(SALU_CYCLE_1)
	v_cndmask_b32_e64 v2, v2, 0, s13
	s_delay_alu instid0(VALU_DEP_1)
	v_or_b32_e32 v23, v2, v28
.LBB4_1783:                             ;   in Loop: Header=BB4_1353 Depth=4
	s_or_b32 exec_lo, exec_lo, s77
                                        ; implicit-def: $vgpr28
.LBB4_1784:                             ;   in Loop: Header=BB4_1353 Depth=4
	s_and_not1_saveexec_b32 s13, s76
; %bb.1785:                             ;   in Loop: Header=BB4_1353 Depth=4
	v_or_b32_e32 v23, 0x7e, v28
; %bb.1786:                             ;   in Loop: Header=BB4_1353 Depth=4
	s_or_b32 exec_lo, exec_lo, s13
                                        ; implicit-def: $vgpr9
.LBB4_1787:                             ;   in Loop: Header=BB4_1353 Depth=4
	s_and_not1_saveexec_b32 s13, s15
; %bb.1788:                             ;   in Loop: Header=BB4_1353 Depth=4
	v_or_b32_e32 v23, 0x7f, v9
; %bb.1789:                             ;   in Loop: Header=BB4_1353 Depth=4
	s_or_b32 exec_lo, exec_lo, s13
	v_dual_mov_b32 v8, 0 :: v_dual_lshrrev_b32 v9, 16, v15
	s_mov_b32 s14, exec_lo
	s_delay_alu instid0(VALU_DEP_1) | instskip(NEXT) | instid1(VALU_DEP_1)
	v_and_b32_e32 v2, 0xff, v9
	v_cmpx_ne_u16_e32 0, v2
	s_cbranch_execz .LBB4_1797
; %bb.1790:                             ;   in Loop: Header=BB4_1353 Depth=4
	v_bfrev_b32_e32 v8, 1
	s_mov_b32 s15, exec_lo
	v_cmpx_ne_u16_e32 0x80, v2
	s_cbranch_execz .LBB4_1796
; %bb.1791:                             ;   in Loop: Header=BB4_1353 Depth=4
	v_bfe_u32 v12, v15, 16, 7
	v_mov_b32_e32 v8, 0x7f800001
	s_mov_b32 s76, exec_lo
	s_delay_alu instid0(VALU_DEP_2)
	v_cmpx_ne_u32_e32 0x7f, v12
	s_cbranch_execz .LBB4_1795
; %bb.1792:                             ;   in Loop: Header=BB4_1353 Depth=4
	v_dual_lshrrev_b32 v8, 3, v12 :: v_dual_bitop2_b32 v2, 7, v9 bitop3:0x40
	s_mov_b32 s77, exec_lo
	v_cmpx_gt_u32_e32 8, v12
; %bb.1793:                             ;   in Loop: Header=BB4_1353 Depth=4
	s_delay_alu instid0(VALU_DEP_2) | instskip(NEXT) | instid1(VALU_DEP_1)
	v_clz_i32_u32_e32 v8, v2
	v_min_u32_e32 v8, 32, v8
	s_delay_alu instid0(VALU_DEP_1) | instskip(SKIP_1) | instid1(VALU_DEP_2)
	v_subrev_nc_u32_e32 v12, 28, v8
	v_sub_nc_u32_e32 v8, 29, v8
	v_lshlrev_b64_e32 v[12:13], v12, v[2:3]
	s_delay_alu instid0(VALU_DEP_1)
	v_and_b32_e32 v2, 7, v12
; %bb.1794:                             ;   in Loop: Header=BB4_1353 Depth=4
	s_or_b32 exec_lo, exec_lo, s77
	s_delay_alu instid0(VALU_DEP_1) | instskip(SKIP_1) | instid1(VALU_DEP_2)
	v_dual_lshlrev_b32 v9, 24, v9 :: v_dual_lshlrev_b32 v2, 20, v2
	v_lshl_add_u32 v8, v8, 23, 0x3c000000
	v_and_b32_e32 v9, 0x80000000, v9
	s_delay_alu instid0(VALU_DEP_1)
	v_or3_b32 v8, v2, v9, v8
.LBB4_1795:                             ;   in Loop: Header=BB4_1353 Depth=4
	s_or_b32 exec_lo, exec_lo, s76
.LBB4_1796:                             ;   in Loop: Header=BB4_1353 Depth=4
	s_delay_alu instid0(SALU_CYCLE_1)
	s_or_b32 exec_lo, exec_lo, s15
.LBB4_1797:                             ;   in Loop: Header=BB4_1353 Depth=4
	s_delay_alu instid0(SALU_CYCLE_1) | instskip(SKIP_3) | instid1(VALU_DEP_1)
	s_or_b32 exec_lo, exec_lo, s14
	v_lshrrev_b32_e32 v2, 16, v11
	s_mov_b32 s15, 0
	s_mov_b32 s14, exec_lo
	v_and_b32_e32 v12, 0xff, v2
	s_delay_alu instid0(VALU_DEP_1)
	v_cmpx_lt_i16_e32 0x7f, v12
	s_xor_b32 s14, exec_lo, s14
	s_cbranch_execz .LBB4_1802
; %bb.1798:                             ;   in Loop: Header=BB4_1353 Depth=4
	s_mov_b32 s15, -1
	s_mov_b32 s76, exec_lo
	v_cmpx_eq_u16_e32 0x80, v12
; %bb.1799:                             ;   in Loop: Header=BB4_1353 Depth=4
	s_xor_b32 s15, exec_lo, -1
; %bb.1800:                             ;   in Loop: Header=BB4_1353 Depth=4
	s_or_b32 exec_lo, exec_lo, s76
	s_delay_alu instid0(SALU_CYCLE_1)
	s_and_b32 s15, s15, exec_lo
                                        ; implicit-def: $vgpr12
	s_or_saveexec_b32 s14, s14
	v_bfrev_b32_e32 v9, 1
	s_xor_b32 exec_lo, exec_lo, s14
	s_cbranch_execnz .LBB4_1803
.LBB4_1801:                             ;   in Loop: Header=BB4_1353 Depth=4
	s_or_b32 exec_lo, exec_lo, s14
	s_and_saveexec_b32 s14, s15
	s_cbranch_execnz .LBB4_1804
	s_branch .LBB4_1807
.LBB4_1802:                             ;   in Loop: Header=BB4_1353 Depth=4
	s_or_saveexec_b32 s14, s14
	v_bfrev_b32_e32 v9, 1
	s_xor_b32 exec_lo, exec_lo, s14
	s_cbranch_execz .LBB4_1801
.LBB4_1803:                             ;   in Loop: Header=BB4_1353 Depth=4
	v_cmp_ne_u16_e64 s13, 0, v12
	v_mov_b32_e32 v9, 0
	s_and_not1_b32 s15, s15, exec_lo
	s_and_b32 s13, s13, exec_lo
	s_delay_alu instid0(SALU_CYCLE_1)
	s_or_b32 s15, s15, s13
	s_or_b32 exec_lo, exec_lo, s14
	s_and_saveexec_b32 s14, s15
	s_cbranch_execz .LBB4_1807
.LBB4_1804:                             ;   in Loop: Header=BB4_1353 Depth=4
	v_and_b32_e32 v12, 0x7f, v2
	v_mov_b32_e32 v9, 0x7f800001
	s_mov_b32 s15, exec_lo
	s_delay_alu instid0(VALU_DEP_2)
	v_cmpx_ne_u32_e32 0x7f, v12
	s_cbranch_execz .LBB4_1806
; %bb.1805:                             ;   in Loop: Header=BB4_1353 Depth=4
	v_and_b32_e32 v9, 7, v2
	v_cmp_gt_u32_e64 s13, 8, v12
	s_delay_alu instid0(VALU_DEP_2) | instskip(NEXT) | instid1(VALU_DEP_1)
	v_clz_i32_u32_e32 v13, v9
	v_min_u32_e32 v13, 32, v13
	s_delay_alu instid0(VALU_DEP_1) | instskip(NEXT) | instid1(VALU_DEP_1)
	v_subrev_nc_u32_e32 v24, 28, v13
	v_lshlrev_b64_e32 v[24:25], v24, v[2:3]
	v_dual_lshrrev_b32 v25, 3, v12 :: v_dual_sub_nc_u32 v13, 29, v13
	s_delay_alu instid0(VALU_DEP_2) | instskip(NEXT) | instid1(VALU_DEP_2)
	v_dual_lshlrev_b32 v2, 24, v2 :: v_dual_bitop2_b32 v12, 7, v24 bitop3:0x40
	v_cndmask_b32_e64 v13, v25, v13, s13
	s_delay_alu instid0(VALU_DEP_2) | instskip(NEXT) | instid1(VALU_DEP_3)
	v_cndmask_b32_e64 v9, v9, v12, s13
	v_and_b32_e32 v2, 0x80000000, v2
	s_delay_alu instid0(VALU_DEP_3) | instskip(NEXT) | instid1(VALU_DEP_3)
	v_lshl_add_u32 v12, v13, 23, 0x3c000000
	v_lshlrev_b32_e32 v9, 20, v9
	s_delay_alu instid0(VALU_DEP_1)
	v_or3_b32 v9, v9, v2, v12
.LBB4_1806:                             ;   in Loop: Header=BB4_1353 Depth=4
	s_or_b32 exec_lo, exec_lo, s15
.LBB4_1807:                             ;   in Loop: Header=BB4_1353 Depth=4
	s_delay_alu instid0(SALU_CYCLE_1) | instskip(NEXT) | instid1(VALU_DEP_1)
	s_or_b32 exec_lo, exec_lo, s14
	v_add_f32_e32 v8, v8, v9
                                        ; implicit-def: $vgpr12
	s_mov_b32 s14, exec_lo
	s_delay_alu instid0(VALU_DEP_1) | instskip(SKIP_1) | instid1(VALU_DEP_2)
	v_and_b32_e32 v2, 0x7f800000, v8
	v_lshrrev_b32_e32 v9, 24, v8
	v_cmpx_ne_u64_e32 0x7f800000, v[2:3]
	s_xor_b32 s15, exec_lo, s14
	s_cbranch_execz .LBB4_1821
; %bb.1808:                             ;   in Loop: Header=BB4_1353 Depth=4
	v_and_b32_e32 v2, 0x7fffffff, v8
	v_and_b32_e32 v28, 0x80, v9
                                        ; implicit-def: $vgpr12
	s_mov_b32 s14, exec_lo
	s_delay_alu instid0(VALU_DEP_2)
	v_cmpx_gt_u64_e32 0x43e00001, v[2:3]
	s_xor_b32 s76, exec_lo, s14
	s_cbranch_execz .LBB4_1818
; %bb.1809:                             ;   in Loop: Header=BB4_1353 Depth=4
	v_mov_b32_e32 v12, 0
	s_mov_b32 s77, exec_lo
	v_cmpx_ne_u32_e32 0, v8
	s_cbranch_execz .LBB4_1817
; %bb.1810:                             ;   in Loop: Header=BB4_1353 Depth=4
	v_bfe_u32 v24, v8, 23, 8
	s_delay_alu instid0(VALU_DEP_1) | instskip(SKIP_1) | instid1(VALU_DEP_1)
	v_sub_nc_u32_e32 v2, 0x79, v24
	v_cmp_gt_u32_e64 s13, 0x7a, v24
	v_cndmask_b32_e64 v2, 0, v2, s13
	v_cmp_eq_u32_e64 s13, 0, v24
	s_delay_alu instid0(VALU_DEP_1) | instskip(SKIP_1) | instid1(VALU_DEP_2)
	v_cndmask_b32_e64 v25, v2, 0x78, s13
	v_and_b32_e32 v2, 0x7fffff, v8
	v_add_nc_u32_e32 v8, 20, v25
	s_delay_alu instid0(VALU_DEP_2) | instskip(SKIP_1) | instid1(VALU_DEP_3)
	v_or_b32_e32 v12, 0x800000, v2
	v_add_nc_u32_e32 v13, 19, v25
	v_lshlrev_b64_e64 v[8:9], v8, -1
	s_delay_alu instid0(VALU_DEP_3) | instskip(NEXT) | instid1(VALU_DEP_3)
	v_cndmask_b32_e64 v2, v12, v2, s13
	v_lshlrev_b64_e64 v[12:13], v13, 1
	s_delay_alu instid0(VALU_DEP_3) | instskip(NEXT) | instid1(VALU_DEP_3)
	v_bfi_b32 v69, v9, 0, 0
	v_bfi_b32 v68, v8, 0, v2
	v_lshrrev_b64 v[8:9], v25, v[2:3]
	s_delay_alu instid0(VALU_DEP_2) | instskip(NEXT) | instid1(VALU_DEP_2)
	v_cmp_eq_u64_e64 s14, v[68:69], v[12:13]
	v_mov_b64_e32 v[12:13], v[8:9]
	s_and_saveexec_b32 s78, s14
; %bb.1811:                             ;   in Loop: Header=BB4_1353 Depth=4
	v_bfe_u32 v2, v8, 20, 1
	s_delay_alu instid0(VALU_DEP_1) | instskip(NEXT) | instid1(VALU_DEP_1)
	v_add_nc_u64_e32 v[12:13], v[8:9], v[2:3]
	v_add_nc_u64_e32 v[12:13], -1, v[12:13]
; %bb.1812:                             ;   in Loop: Header=BB4_1353 Depth=4
	s_or_b32 exec_lo, exec_lo, s78
	v_add_nc_u32_e32 v2, 0xffffff81, v24
	v_lshrrev_b32_e32 v9, 23, v8
	s_mov_b32 s14, exec_lo
	s_delay_alu instid0(VALU_DEP_2) | instskip(NEXT) | instid1(VALU_DEP_1)
	v_cndmask_b32_e64 v2, v2, 0xffffff82, s13
	v_add3_u32 v13, v25, v2, v9
	v_and_b32_e32 v2, 0xfffff, v12
                                        ; implicit-def: $vgpr12
	s_delay_alu instid0(VALU_DEP_1) | instskip(NEXT) | instid1(VALU_DEP_1)
	v_dual_add_nc_u32 v24, 6, v13 :: v_dual_add_nc_u32 v2, v2, v8
                                        ; implicit-def: $vgpr8_vgpr9
	v_cmpx_ne_u32_e32 0, v24
	s_xor_b32 s14, exec_lo, s14
; %bb.1813:                             ;   in Loop: Header=BB4_1353 Depth=4
	s_delay_alu instid0(VALU_DEP_2) | instskip(SKIP_1) | instid1(VALU_DEP_1)
	v_cmp_lt_u64_e64 s13, 0xffffff, v[2:3]
	v_add_nc_u32_e32 v8, 7, v13
	v_cndmask_b32_e64 v12, v24, v8, s13
	v_cndmask_b32_e64 v8, 0, 1, s13
	s_delay_alu instid0(VALU_DEP_1)
	v_lshrrev_b64 v[8:9], v8, v[2:3]
; %bb.1814:                             ;   in Loop: Header=BB4_1353 Depth=4
	s_and_not1_saveexec_b32 s13, s14
; %bb.1815:                             ;   in Loop: Header=BB4_1353 Depth=4
	v_mov_b64_e32 v[8:9], v[2:3]
	v_bfe_u32 v12, v2, 23, 1
; %bb.1816:                             ;   in Loop: Header=BB4_1353 Depth=4
	s_or_b32 exec_lo, exec_lo, s13
	s_delay_alu instid0(VALU_DEP_2) | instskip(NEXT) | instid1(VALU_DEP_2)
	v_lshrrev_b64 v[8:9], 20, v[8:9]
	v_cmp_gt_i32_e64 s13, 16, v12
	v_min_i32_e32 v2, 15, v12
	v_cmp_eq_u32_e64 s14, 0, v12
	s_delay_alu instid0(VALU_DEP_2) | instskip(SKIP_1) | instid1(VALU_DEP_2)
	v_dual_cndmask_b32 v9, 0, v9, s13 :: v_dual_lshlrev_b32 v2, 3, v2
	v_cndmask_b32_e64 v8, 7, v8, s13
	v_and_b32_e32 v2, 0xf8, v2
	s_delay_alu instid0(VALU_DEP_2) | instskip(NEXT) | instid1(VALU_DEP_2)
	v_cmp_eq_u64_e64 s13, 0, v[8:9]
	v_and_or_b32 v2, v8, 7, v2
	s_and_b32 s13, s14, s13
	s_delay_alu instid0(VALU_DEP_1) | instid1(SALU_CYCLE_1)
	v_cndmask_b32_e64 v2, v2, 0, s13
	s_delay_alu instid0(VALU_DEP_1)
	v_or_b32_e32 v12, v2, v28
.LBB4_1817:                             ;   in Loop: Header=BB4_1353 Depth=4
	s_or_b32 exec_lo, exec_lo, s77
                                        ; implicit-def: $vgpr28
.LBB4_1818:                             ;   in Loop: Header=BB4_1353 Depth=4
	s_and_not1_saveexec_b32 s13, s76
; %bb.1819:                             ;   in Loop: Header=BB4_1353 Depth=4
	v_or_b32_e32 v12, 0x7e, v28
; %bb.1820:                             ;   in Loop: Header=BB4_1353 Depth=4
	s_or_b32 exec_lo, exec_lo, s13
                                        ; implicit-def: $vgpr9
.LBB4_1821:                             ;   in Loop: Header=BB4_1353 Depth=4
	s_and_not1_saveexec_b32 s13, s15
; %bb.1822:                             ;   in Loop: Header=BB4_1353 Depth=4
	v_or_b32_e32 v12, 0x7f, v9
; %bb.1823:                             ;   in Loop: Header=BB4_1353 Depth=4
	s_or_b32 exec_lo, exec_lo, s13
	v_mov_b32_e32 v8, 0
	s_mov_b32 s14, exec_lo
	v_cmpx_lt_u64_e64 s[22:23], v[14:15]
	s_cbranch_execz .LBB4_1831
; %bb.1824:                             ;   in Loop: Header=BB4_1353 Depth=4
	v_lshrrev_b32_e32 v9, 24, v15
	v_bfrev_b32_e32 v8, 1
	s_mov_b32 s15, exec_lo
	s_delay_alu instid0(VALU_DEP_2)
	v_cmpx_ne_u32_e32 0x80, v9
	s_cbranch_execz .LBB4_1830
; %bb.1825:                             ;   in Loop: Header=BB4_1353 Depth=4
	v_bfe_u32 v13, v15, 24, 7
	v_mov_b32_e32 v8, 0x7f800001
	s_mov_b32 s76, exec_lo
	s_delay_alu instid0(VALU_DEP_2)
	v_cmpx_ne_u32_e32 0x7f, v13
	s_cbranch_execz .LBB4_1829
; %bb.1826:                             ;   in Loop: Header=BB4_1353 Depth=4
	v_and_b32_e32 v2, 7, v9
	v_lshrrev_b32_e32 v8, 3, v13
	s_mov_b32 s77, exec_lo
	v_cmpx_gt_u32_e32 8, v13
; %bb.1827:                             ;   in Loop: Header=BB4_1353 Depth=4
	s_delay_alu instid0(VALU_DEP_3) | instskip(NEXT) | instid1(VALU_DEP_1)
	v_clz_i32_u32_e32 v8, v2
	v_min_u32_e32 v8, 32, v8
	s_delay_alu instid0(VALU_DEP_1) | instskip(NEXT) | instid1(VALU_DEP_1)
	v_subrev_nc_u32_e32 v13, 28, v8
	v_lshlrev_b64_e32 v[14:15], v13, v[2:3]
	s_delay_alu instid0(VALU_DEP_1)
	v_dual_sub_nc_u32 v8, 29, v8 :: v_dual_bitop2_b32 v2, 7, v14 bitop3:0x40
; %bb.1828:                             ;   in Loop: Header=BB4_1353 Depth=4
	s_or_b32 exec_lo, exec_lo, s77
	s_delay_alu instid0(VALU_DEP_1) | instskip(NEXT) | instid1(VALU_DEP_2)
	v_dual_lshlrev_b32 v9, 24, v9 :: v_dual_lshlrev_b32 v2, 20, v2
	v_lshl_add_u32 v8, v8, 23, 0x3c000000
	s_delay_alu instid0(VALU_DEP_2) | instskip(NEXT) | instid1(VALU_DEP_1)
	v_and_b32_e32 v9, 0x80000000, v9
	v_or3_b32 v8, v2, v9, v8
.LBB4_1829:                             ;   in Loop: Header=BB4_1353 Depth=4
	s_or_b32 exec_lo, exec_lo, s76
.LBB4_1830:                             ;   in Loop: Header=BB4_1353 Depth=4
	s_delay_alu instid0(SALU_CYCLE_1)
	s_or_b32 exec_lo, exec_lo, s15
.LBB4_1831:                             ;   in Loop: Header=BB4_1353 Depth=4
	s_delay_alu instid0(SALU_CYCLE_1) | instskip(SKIP_3) | instid1(VALU_DEP_3)
	s_or_b32 exec_lo, exec_lo, s14
	v_lshrrev_b32_e32 v2, 24, v11
	v_bfe_u32 v9, v11, 24, 7
	v_cmp_gt_u64_e64 s15, s[24:25], v[10:11]
	v_cmp_eq_u32_e64 s14, 0x80, v2
	s_delay_alu instid0(VALU_DEP_3) | instskip(NEXT) | instid1(VALU_DEP_2)
	v_cmp_eq_u32_e64 s13, 0x7f, v9
	v_cndmask_b32_e64 v13, 0x7f800001, v91, s14
	s_or_b32 s13, s14, s13
	s_delay_alu instid0(SALU_CYCLE_1) | instskip(NEXT) | instid1(VALU_DEP_1)
	s_nor_b32 s13, s15, s13
	v_cndmask_b32_e64 v10, v13, 0, s15
	s_and_saveexec_b32 s14, s13
	s_cbranch_execz .LBB4_1833
; %bb.1832:                             ;   in Loop: Header=BB4_1353 Depth=4
	v_and_b32_e32 v13, 7, v2
	v_cmp_gt_u32_e64 s13, 8, v9
	s_delay_alu instid0(VALU_DEP_2) | instskip(NEXT) | instid1(VALU_DEP_1)
	v_clz_i32_u32_e32 v10, v13
	v_min_u32_e32 v14, 32, v10
	s_delay_alu instid0(VALU_DEP_1) | instskip(NEXT) | instid1(VALU_DEP_1)
	v_subrev_nc_u32_e32 v10, 28, v14
	v_lshlrev_b64_e32 v[10:11], v10, v[2:3]
	s_delay_alu instid0(VALU_DEP_1) | instskip(NEXT) | instid1(VALU_DEP_1)
	v_dual_lshrrev_b32 v11, 3, v9 :: v_dual_bitop2_b32 v9, 7, v10 bitop3:0x40
	v_dual_sub_nc_u32 v14, 29, v14 :: v_dual_cndmask_b32 v9, v13, v9, s13
	v_lshlrev_b32_e32 v2, 24, v2
	s_delay_alu instid0(VALU_DEP_2) | instskip(NEXT) | instid1(VALU_DEP_2)
	v_dual_cndmask_b32 v10, v11, v14, s13 :: v_dual_lshlrev_b32 v9, 20, v9
	v_and_b32_e32 v2, 0x80000000, v2
	s_delay_alu instid0(VALU_DEP_2) | instskip(NEXT) | instid1(VALU_DEP_1)
	v_lshl_add_u32 v10, v10, 23, 0x3c000000
	v_or3_b32 v10, v9, v2, v10
.LBB4_1833:                             ;   in Loop: Header=BB4_1353 Depth=4
	s_or_b32 exec_lo, exec_lo, s14
	s_delay_alu instid0(VALU_DEP_1) | instskip(NEXT) | instid1(VALU_DEP_1)
	v_add_f32_e32 v8, v8, v10
	v_and_b32_e32 v2, 0x7f800000, v8
	v_lshrrev_b32_e32 v9, 24, v8
	s_delay_alu instid0(VALU_DEP_2) | instskip(SKIP_1) | instid1(SALU_CYCLE_1)
	v_cmp_ne_u64_e64 s13, 0x7f800000, v[2:3]
                                        ; implicit-def: $vgpr2
	s_and_saveexec_b32 s14, s13
	s_xor_b32 s15, exec_lo, s14
	s_cbranch_execz .LBB4_1847
; %bb.1834:                             ;   in Loop: Header=BB4_1353 Depth=4
	v_and_b32_e32 v2, 0x7fffffff, v8
	v_and_b32_e32 v13, 0x80, v9
	s_delay_alu instid0(VALU_DEP_2) | instskip(SKIP_1) | instid1(SALU_CYCLE_1)
	v_cmp_gt_u64_e64 s13, 0x43e00001, v[2:3]
                                        ; implicit-def: $vgpr2
	s_and_saveexec_b32 s14, s13
	s_xor_b32 s76, exec_lo, s14
	s_cbranch_execz .LBB4_1844
; %bb.1835:                             ;   in Loop: Header=BB4_1353 Depth=4
	v_mov_b32_e32 v2, 0
	s_mov_b32 s77, exec_lo
	v_cmpx_ne_u32_e32 0, v8
	s_cbranch_execz .LBB4_1843
; %bb.1836:                             ;   in Loop: Header=BB4_1353 Depth=4
	v_bfe_u32 v14, v8, 23, 8
	s_delay_alu instid0(VALU_DEP_1) | instskip(SKIP_1) | instid1(VALU_DEP_1)
	v_sub_nc_u32_e32 v2, 0x79, v14
	v_cmp_gt_u32_e64 s13, 0x7a, v14
	v_cndmask_b32_e64 v2, 0, v2, s13
	v_cmp_eq_u32_e64 s13, 0, v14
	s_delay_alu instid0(VALU_DEP_1) | instskip(SKIP_1) | instid1(VALU_DEP_2)
	v_cndmask_b32_e64 v15, v2, 0x78, s13
	v_and_b32_e32 v2, 0x7fffff, v8
	v_add_nc_u32_e32 v8, 20, v15
	s_delay_alu instid0(VALU_DEP_2) | instskip(SKIP_1) | instid1(VALU_DEP_3)
	v_or_b32_e32 v10, 0x800000, v2
	v_add_nc_u32_e32 v11, 19, v15
	v_lshlrev_b64_e64 v[8:9], v8, -1
	s_delay_alu instid0(VALU_DEP_3) | instskip(NEXT) | instid1(VALU_DEP_3)
	v_cndmask_b32_e64 v2, v10, v2, s13
	v_lshlrev_b64_e64 v[10:11], v11, 1
	s_delay_alu instid0(VALU_DEP_3) | instskip(NEXT) | instid1(VALU_DEP_3)
	v_bfi_b32 v25, v9, 0, 0
	v_bfi_b32 v24, v8, 0, v2
	v_lshrrev_b64 v[8:9], v15, v[2:3]
	s_delay_alu instid0(VALU_DEP_2) | instskip(NEXT) | instid1(VALU_DEP_2)
	v_cmp_eq_u64_e64 s14, v[24:25], v[10:11]
	v_mov_b64_e32 v[10:11], v[8:9]
	s_and_saveexec_b32 s78, s14
; %bb.1837:                             ;   in Loop: Header=BB4_1353 Depth=4
	v_bfe_u32 v2, v8, 20, 1
	s_delay_alu instid0(VALU_DEP_1) | instskip(NEXT) | instid1(VALU_DEP_1)
	v_add_nc_u64_e32 v[10:11], v[8:9], v[2:3]
	v_add_nc_u64_e32 v[10:11], -1, v[10:11]
; %bb.1838:                             ;   in Loop: Header=BB4_1353 Depth=4
	s_or_b32 exec_lo, exec_lo, s78
	v_add_nc_u32_e32 v2, 0xffffff81, v14
	v_lshrrev_b32_e32 v9, 23, v8
	s_mov_b32 s14, exec_lo
	s_delay_alu instid0(VALU_DEP_2) | instskip(NEXT) | instid1(VALU_DEP_1)
	v_cndmask_b32_e64 v2, v2, 0xffffff82, s13
	v_add3_u32 v11, v15, v2, v9
	v_and_b32_e32 v2, 0xfffff, v10
                                        ; implicit-def: $vgpr10
	s_delay_alu instid0(VALU_DEP_1) | instskip(NEXT) | instid1(VALU_DEP_1)
	v_dual_add_nc_u32 v14, 6, v11 :: v_dual_add_nc_u32 v2, v2, v8
                                        ; implicit-def: $vgpr8_vgpr9
	v_cmpx_ne_u32_e32 0, v14
	s_xor_b32 s14, exec_lo, s14
; %bb.1839:                             ;   in Loop: Header=BB4_1353 Depth=4
	s_delay_alu instid0(VALU_DEP_2) | instskip(SKIP_1) | instid1(VALU_DEP_1)
	v_cmp_lt_u64_e64 s13, 0xffffff, v[2:3]
	v_add_nc_u32_e32 v8, 7, v11
	v_cndmask_b32_e64 v10, v14, v8, s13
	v_cndmask_b32_e64 v8, 0, 1, s13
	s_delay_alu instid0(VALU_DEP_1)
	v_lshrrev_b64 v[8:9], v8, v[2:3]
; %bb.1840:                             ;   in Loop: Header=BB4_1353 Depth=4
	s_and_not1_saveexec_b32 s13, s14
; %bb.1841:                             ;   in Loop: Header=BB4_1353 Depth=4
	v_mov_b64_e32 v[8:9], v[2:3]
	v_bfe_u32 v10, v2, 23, 1
; %bb.1842:                             ;   in Loop: Header=BB4_1353 Depth=4
	s_or_b32 exec_lo, exec_lo, s13
	s_delay_alu instid0(VALU_DEP_2) | instskip(NEXT) | instid1(VALU_DEP_2)
	v_lshrrev_b64 v[8:9], 20, v[8:9]
	v_cmp_gt_i32_e64 s13, 16, v10
	v_min_i32_e32 v2, 15, v10
	v_cmp_eq_u32_e64 s14, 0, v10
	s_delay_alu instid0(VALU_DEP_2) | instskip(SKIP_1) | instid1(VALU_DEP_2)
	v_dual_cndmask_b32 v9, 0, v9, s13 :: v_dual_lshlrev_b32 v2, 3, v2
	v_cndmask_b32_e64 v8, 7, v8, s13
	v_and_b32_e32 v2, 0xf8, v2
	s_delay_alu instid0(VALU_DEP_2) | instskip(NEXT) | instid1(VALU_DEP_2)
	v_cmp_eq_u64_e64 s13, 0, v[8:9]
	v_and_or_b32 v2, v8, 7, v2
	s_and_b32 s13, s14, s13
	s_delay_alu instid0(VALU_DEP_1) | instid1(SALU_CYCLE_1)
	v_cndmask_b32_e64 v2, v2, 0, s13
	s_delay_alu instid0(VALU_DEP_1)
	v_or_b32_e32 v2, v2, v13
.LBB4_1843:                             ;   in Loop: Header=BB4_1353 Depth=4
	s_or_b32 exec_lo, exec_lo, s77
                                        ; implicit-def: $vgpr13
.LBB4_1844:                             ;   in Loop: Header=BB4_1353 Depth=4
	s_and_not1_saveexec_b32 s13, s76
; %bb.1845:                             ;   in Loop: Header=BB4_1353 Depth=4
	v_or_b32_e32 v2, 0x7e, v13
; %bb.1846:                             ;   in Loop: Header=BB4_1353 Depth=4
	s_or_b32 exec_lo, exec_lo, s13
                                        ; implicit-def: $vgpr9
.LBB4_1847:                             ;   in Loop: Header=BB4_1353 Depth=4
	s_and_not1_saveexec_b32 s13, s15
	s_cbranch_execz .LBB4_1352
; %bb.1848:                             ;   in Loop: Header=BB4_1353 Depth=4
	v_or_b32_e32 v2, 0x7f, v9
	s_branch .LBB4_1352
.LBB4_1849:                             ;   in Loop: Header=BB4_274 Depth=3
	s_or_b32 exec_lo, exec_lo, s75
.LBB4_1850:                             ;   in Loop: Header=BB4_274 Depth=3
	s_delay_alu instid0(SALU_CYCLE_1) | instskip(SKIP_3) | instid1(VALU_DEP_1)
	s_or_b32 exec_lo, exec_lo, s74
	v_dual_mov_b32 v18, 0 :: v_dual_bitop2_b32 v8, 15, v41 bitop3:0x40
	s_mov_b32 s14, 0
	s_mov_b32 s15, exec_lo
                                        ; implicit-def: $vgpr20
                                        ; implicit-def: $vgpr2
	v_cndmask_b32_e32 v19, v72, v8, vcc_lo
	s_delay_alu instid0(VALU_DEP_1)
	v_cmpx_ne_u32_e32 0, v19
	s_cbranch_execz .LBB4_1852
; %bb.1851:                             ;   in Loop: Header=BB4_274 Depth=3
	v_cmp_lt_i32_e64 s13, 0, v73
	s_mov_b32 s14, exec_lo
	v_sub_nc_u32_e32 v8, v72, v8
	v_cndmask_b32_e64 v2, 0, v52, s13
	s_delay_alu instid0(VALU_DEP_1) | instskip(NEXT) | instid1(VALU_DEP_1)
	v_dual_cndmask_b32 v8, 0, v8, vcc_lo :: v_dual_sub_nc_u32 v2, v2, v73
	v_add3_u32 v18, v43, v62, v8
	s_delay_alu instid0(VALU_DEP_2) | instskip(NEXT) | instid1(VALU_DEP_1)
	v_lshl_add_u32 v20, v2, 5, v63
	v_ashrrev_i32_e32 v2, 31, v20
	s_delay_alu instid0(VALU_DEP_1) | instskip(NEXT) | instid1(VALU_DEP_1)
	v_lshrrev_b32_e32 v2, 27, v2
	v_add_nc_u32_e32 v2, v20, v2
	s_delay_alu instid0(VALU_DEP_1)
	v_ashrrev_i32_e32 v2, 5, v2
.LBB4_1852:                             ;   in Loop: Header=BB4_274 Depth=3
	s_or_b32 exec_lo, exec_lo, s15
	s_delay_alu instid0(SALU_CYCLE_1)
	s_and_b32 s13, s14, exec_lo
.LBB4_1853:                             ;   in Loop: Header=BB4_274 Depth=3
	s_or_b32 exec_lo, exec_lo, s73
	s_and_saveexec_b32 s14, s13
	s_cbranch_execz .LBB4_2474
.LBB4_1854:                             ;   in Loop: Header=BB4_274 Depth=3
	v_ashrrev_i32_e32 v8, 31, v19
	s_mov_b32 s15, exec_lo
	s_delay_alu instid0(VALU_DEP_1) | instskip(NEXT) | instid1(VALU_DEP_1)
	v_lshrrev_b32_e32 v8, 23, v8
	v_add_nc_u32_e32 v8, v19, v8
	s_delay_alu instid0(VALU_DEP_1) | instskip(SKIP_1) | instid1(VALU_DEP_1)
	v_ashrrev_i32_e32 v23, 9, v8
	v_ashrrev_i32_e32 v8, 31, v20
	v_dual_lshrrev_b32 v22, 27, v8 :: v_dual_sub_nc_u32 v21, v23, v2
	s_delay_alu instid0(VALU_DEP_1)
	v_cmpx_lt_i32_e32 0, v21
	s_cbranch_execz .LBB4_2434
; %bb.1855:                             ;   in Loop: Header=BB4_274 Depth=3
	s_delay_alu instid0(VALU_DEP_2)
	v_add_nc_u32_e32 v8, v20, v22
	s_trap 2
	ds_load_b64 v[10:11], v0
	v_add_nc_u64_e32 v[14:15], 0x1e0, v[56:57]
	s_mov_b32 s73, 0
	v_and_b32_e32 v8, 0xffffffe0, v8
	s_delay_alu instid0(VALU_DEP_1) | instskip(NEXT) | instid1(VALU_DEP_1)
	v_dual_lshlrev_b32 v2, 9, v2 :: v_dual_sub_nc_u32 v8, v20, v8
	v_add3_u32 v12, v18, v8, v2
	s_delay_alu instid0(VALU_DEP_1) | instskip(NEXT) | instid1(VALU_DEP_1)
	v_ashrrev_i32_e32 v13, 31, v12
	v_add_nc_u64_e32 v[8:9], v[12:13], v[46:47]
	s_wait_dscnt 0x0
	v_add_nc_u64_e32 v[10:11], v[10:11], v[12:13]
	v_add_nc_u64_e32 v[12:13], v[14:15], v[12:13]
	s_branch .LBB4_1857
.LBB4_1856:                             ;   in Loop: Header=BB4_1857 Depth=4
	s_or_b32 exec_lo, exec_lo, s13
	v_sub_nc_u32_e32 v21, v21, v52
	s_clause 0xf
	flat_store_b8 v[12:13], v47 offset:-480 th:TH_STORE_NT
	flat_store_b8 v[12:13], v58 offset:-448 th:TH_STORE_NT
	;; [unrolled: 1-line block ×15, first 2 shown]
	flat_store_b8 v[12:13], v2 th:TH_STORE_NT
	v_add_nc_u64_e32 v[8:9], v[8:9], v[80:81]
	v_add_nc_u64_e32 v[10:11], v[10:11], v[80:81]
	v_cmp_gt_i32_e32 vcc_lo, 1, v21
	s_wait_xcnt 0x0
	v_add_nc_u64_e32 v[12:13], v[12:13], v[80:81]
	s_or_b32 s73, vcc_lo, s73
	s_delay_alu instid0(SALU_CYCLE_1)
	s_and_not1_b32 exec_lo, exec_lo, s73
	s_cbranch_execz .LBB4_2433
.LBB4_1857:                             ;   Parent Loop BB4_47 Depth=1
                                        ;     Parent Loop BB4_271 Depth=2
                                        ;       Parent Loop BB4_274 Depth=3
                                        ; =>      This Inner Loop Header: Depth=4
	s_clause 0xf
	flat_load_u8 v17, v[8:9] th:TH_LOAD_NT
	flat_load_u8 v58, v[8:9] offset:32 th:TH_LOAD_NT
	flat_load_u8 v28, v[8:9] offset:64 th:TH_LOAD_NT
	;; [unrolled: 1-line block ×15, first 2 shown]
	s_clause 0xf
	flat_load_u8 v14, v[10:11] th:TH_LOAD_NT
	flat_load_u8 v29, v[10:11] offset:32 th:TH_LOAD_NT
	flat_load_u8 v61, v[10:11] offset:64 th:TH_LOAD_NT
	;; [unrolled: 1-line block ×15, first 2 shown]
	v_dual_mov_b32 v15, 0 :: v_dual_mov_b32 v16, 0
	s_mov_b32 s13, exec_lo
	s_wait_loadcnt_dscnt 0x1f1f
	s_wait_xcnt 0x0
	v_cmpx_ne_u16_e32 0, v17
	s_cbranch_execz .LBB4_1865
; %bb.1858:                             ;   in Loop: Header=BB4_1857 Depth=4
	v_bfrev_b32_e32 v16, 1
	s_mov_b32 s74, exec_lo
	v_cmpx_ne_u16_e32 0x80, v17
	s_cbranch_execz .LBB4_1864
; %bb.1859:                             ;   in Loop: Header=BB4_1857 Depth=4
	v_and_b32_e32 v2, 0xffff, v17
	v_mov_b32_e32 v16, 0x7f800001
	s_mov_b32 s75, exec_lo
	s_delay_alu instid0(VALU_DEP_2) | instskip(NEXT) | instid1(VALU_DEP_1)
	v_and_b32_e32 v24, 0x7f, v2
	v_cmpx_ne_u32_e32 0x7f, v24
	s_cbranch_execz .LBB4_1863
; %bb.1860:                             ;   in Loop: Header=BB4_1857 Depth=4
	v_dual_lshrrev_b32 v16, 3, v24 :: v_dual_bitop2_b32 v2, 7, v2 bitop3:0x40
	s_mov_b32 s76, exec_lo
	v_cmpx_gt_u32_e32 8, v24
; %bb.1861:                             ;   in Loop: Header=BB4_1857 Depth=4
	s_delay_alu instid0(VALU_DEP_2) | instskip(NEXT) | instid1(VALU_DEP_1)
	v_clz_i32_u32_e32 v16, v2
	v_min_u32_e32 v16, 32, v16
	s_delay_alu instid0(VALU_DEP_1) | instskip(SKIP_1) | instid1(VALU_DEP_2)
	v_subrev_nc_u32_e32 v24, 28, v16
	v_sub_nc_u32_e32 v16, 29, v16
	v_lshlrev_b64_e32 v[24:25], v24, v[2:3]
	s_delay_alu instid0(VALU_DEP_1)
	v_and_b32_e32 v2, 7, v24
; %bb.1862:                             ;   in Loop: Header=BB4_1857 Depth=4
	s_or_b32 exec_lo, exec_lo, s76
	s_delay_alu instid0(VALU_DEP_1) | instskip(SKIP_1) | instid1(VALU_DEP_2)
	v_dual_lshlrev_b32 v17, 24, v17 :: v_dual_lshlrev_b32 v2, 20, v2
	v_lshl_add_u32 v16, v16, 23, 0x3c000000
	v_and_b32_e32 v17, 0x80000000, v17
	s_delay_alu instid0(VALU_DEP_1)
	v_or3_b32 v16, v2, v17, v16
.LBB4_1863:                             ;   in Loop: Header=BB4_1857 Depth=4
	s_or_b32 exec_lo, exec_lo, s75
.LBB4_1864:                             ;   in Loop: Header=BB4_1857 Depth=4
	s_delay_alu instid0(SALU_CYCLE_1)
	s_or_b32 exec_lo, exec_lo, s74
.LBB4_1865:                             ;   in Loop: Header=BB4_1857 Depth=4
	s_delay_alu instid0(SALU_CYCLE_1) | instskip(SKIP_3) | instid1(VALU_DEP_1)
	s_or_b32 exec_lo, exec_lo, s13
	s_wait_loadcnt_dscnt 0xf0f
	v_and_b32_e32 v2, 0xff, v14
	s_mov_b32 s13, exec_lo
	v_cmpx_ne_u16_e32 0, v2
	s_cbranch_execz .LBB4_1873
; %bb.1866:                             ;   in Loop: Header=BB4_1857 Depth=4
	v_bfrev_b32_e32 v15, 1
	s_mov_b32 s74, exec_lo
	v_cmpx_ne_u16_e32 0x80, v2
	s_cbranch_execz .LBB4_1872
; %bb.1867:                             ;   in Loop: Header=BB4_1857 Depth=4
	v_and_b32_e32 v17, 0x7f, v14
	v_mov_b32_e32 v15, 0x7f800001
	s_mov_b32 s75, exec_lo
	s_delay_alu instid0(VALU_DEP_2)
	v_cmpx_ne_u32_e32 0x7f, v17
	s_cbranch_execz .LBB4_1871
; %bb.1868:                             ;   in Loop: Header=BB4_1857 Depth=4
	v_dual_lshrrev_b32 v15, 3, v17 :: v_dual_bitop2_b32 v2, 7, v2 bitop3:0x40
	s_mov_b32 s76, exec_lo
	v_cmpx_gt_u32_e32 8, v17
; %bb.1869:                             ;   in Loop: Header=BB4_1857 Depth=4
	s_delay_alu instid0(VALU_DEP_2) | instskip(NEXT) | instid1(VALU_DEP_1)
	v_clz_i32_u32_e32 v15, v2
	v_min_u32_e32 v15, 32, v15
	s_delay_alu instid0(VALU_DEP_1) | instskip(NEXT) | instid1(VALU_DEP_1)
	v_subrev_nc_u32_e32 v17, 28, v15
	v_lshlrev_b64_e32 v[24:25], v17, v[2:3]
	s_delay_alu instid0(VALU_DEP_1)
	v_dual_sub_nc_u32 v15, 29, v15 :: v_dual_bitop2_b32 v2, 7, v24 bitop3:0x40
; %bb.1870:                             ;   in Loop: Header=BB4_1857 Depth=4
	s_or_b32 exec_lo, exec_lo, s76
	v_lshlrev_b32_e32 v14, 24, v14
	s_delay_alu instid0(VALU_DEP_2) | instskip(NEXT) | instid1(VALU_DEP_3)
	v_lshlrev_b32_e32 v2, 20, v2
	v_lshl_add_u32 v15, v15, 23, 0x3c000000
	s_delay_alu instid0(VALU_DEP_3) | instskip(NEXT) | instid1(VALU_DEP_1)
	v_and_b32_e32 v14, 0x80000000, v14
	v_or3_b32 v15, v2, v14, v15
.LBB4_1871:                             ;   in Loop: Header=BB4_1857 Depth=4
	s_or_b32 exec_lo, exec_lo, s75
.LBB4_1872:                             ;   in Loop: Header=BB4_1857 Depth=4
	s_delay_alu instid0(SALU_CYCLE_1)
	s_or_b32 exec_lo, exec_lo, s74
.LBB4_1873:                             ;   in Loop: Header=BB4_1857 Depth=4
	s_delay_alu instid0(SALU_CYCLE_1) | instskip(NEXT) | instid1(VALU_DEP_1)
	s_or_b32 exec_lo, exec_lo, s13
	v_add_f32_e32 v14, v16, v15
                                        ; implicit-def: $vgpr47
	s_mov_b32 s13, exec_lo
	s_delay_alu instid0(VALU_DEP_1) | instskip(SKIP_1) | instid1(VALU_DEP_2)
	v_and_b32_e32 v2, 0x7f800000, v14
	v_lshrrev_b32_e32 v15, 24, v14
	v_cmpx_ne_u64_e32 0x7f800000, v[2:3]
	s_xor_b32 s74, exec_lo, s13
	s_cbranch_execz .LBB4_1891
; %bb.1874:                             ;   in Loop: Header=BB4_1857 Depth=4
	v_and_b32_e32 v2, 0x7fffffff, v14
	v_and_b32_e32 v111, 0x80, v15
                                        ; implicit-def: $vgpr47
	s_mov_b32 s13, exec_lo
	s_delay_alu instid0(VALU_DEP_2)
	v_cmpx_gt_u64_e32 0x43e00001, v[2:3]
	s_xor_b32 s75, exec_lo, s13
	s_cbranch_execz .LBB4_1888
; %bb.1875:                             ;   in Loop: Header=BB4_1857 Depth=4
	v_mov_b32_e32 v47, 0
	s_mov_b32 s76, exec_lo
	v_cmpx_ne_u32_e32 0, v14
	s_cbranch_execz .LBB4_1887
; %bb.1876:                             ;   in Loop: Header=BB4_1857 Depth=4
	v_bfe_u32 v24, v14, 23, 8
	v_and_b32_e32 v2, 0x7fffff, v14
	s_delay_alu instid0(VALU_DEP_2) | instskip(SKIP_2) | instid1(VALU_DEP_4)
	v_cmp_gt_u32_e64 s13, 0x7a, v24
	v_sub_nc_u32_e32 v14, 0x79, v24
	v_cmp_eq_u32_e32 vcc_lo, 0, v24
	v_or_b32_e32 v15, 0x800000, v2
	s_delay_alu instid0(VALU_DEP_3) | instskip(NEXT) | instid1(VALU_DEP_1)
	v_cndmask_b32_e64 v14, 0, v14, s13
	v_cndmask_b32_e64 v25, v14, 0x78, vcc_lo
	s_delay_alu instid0(VALU_DEP_1) | instskip(SKIP_1) | instid1(VALU_DEP_2)
	v_dual_cndmask_b32 v2, v15, v2, vcc_lo :: v_dual_add_nc_u32 v14, 20, v25
	v_add_nc_u32_e32 v16, 19, v25
	v_lshlrev_b64_e64 v[14:15], v14, -1
	s_delay_alu instid0(VALU_DEP_2) | instskip(NEXT) | instid1(VALU_DEP_2)
	v_lshlrev_b64_e64 v[16:17], v16, 1
	v_bfi_b32 v15, v15, 0, 0
	s_delay_alu instid0(VALU_DEP_3) | instskip(NEXT) | instid1(VALU_DEP_1)
	v_bfi_b32 v14, v14, 0, v2
	v_cmp_eq_u64_e64 s13, v[14:15], v[16:17]
	v_lshrrev_b64 v[14:15], v25, v[2:3]
	s_delay_alu instid0(VALU_DEP_1)
	v_mov_b64_e32 v[16:17], v[14:15]
	s_and_saveexec_b32 s77, s13
; %bb.1877:                             ;   in Loop: Header=BB4_1857 Depth=4
	v_bfe_u32 v2, v14, 20, 1
	s_delay_alu instid0(VALU_DEP_1) | instskip(NEXT) | instid1(VALU_DEP_1)
	v_add_nc_u64_e32 v[16:17], v[14:15], v[2:3]
	v_add_nc_u64_e32 v[16:17], -1, v[16:17]
; %bb.1878:                             ;   in Loop: Header=BB4_1857 Depth=4
	s_or_b32 exec_lo, exec_lo, s77
	v_add_nc_u32_e32 v2, 0xffffff81, v24
	v_lshrrev_b32_e32 v15, 23, v14
	s_mov_b32 s13, exec_lo
	s_delay_alu instid0(VALU_DEP_2) | instskip(NEXT) | instid1(VALU_DEP_1)
	v_cndmask_b32_e64 v2, v2, 0xffffff82, vcc_lo
	v_add3_u32 v17, v25, v2, v15
	v_and_b32_e32 v2, 0xfffff, v16
                                        ; implicit-def: $vgpr16
	s_delay_alu instid0(VALU_DEP_1) | instskip(NEXT) | instid1(VALU_DEP_1)
	v_dual_add_nc_u32 v24, 6, v17 :: v_dual_add_nc_u32 v2, v2, v14
                                        ; implicit-def: $vgpr14_vgpr15
	v_cmpx_ne_u32_e32 0, v24
	s_xor_b32 s13, exec_lo, s13
; %bb.1879:                             ;   in Loop: Header=BB4_1857 Depth=4
	s_delay_alu instid0(VALU_DEP_2) | instskip(SKIP_1) | instid1(VALU_DEP_1)
	v_cmp_lt_u64_e32 vcc_lo, 0xffffff, v[2:3]
	v_add_nc_u32_e32 v14, 7, v17
	v_cndmask_b32_e32 v16, v24, v14, vcc_lo
	v_cndmask_b32_e64 v14, 0, 1, vcc_lo
	s_delay_alu instid0(VALU_DEP_1)
	v_lshrrev_b64 v[14:15], v14, v[2:3]
; %bb.1880:                             ;   in Loop: Header=BB4_1857 Depth=4
	s_and_not1_saveexec_b32 s13, s13
; %bb.1881:                             ;   in Loop: Header=BB4_1857 Depth=4
	v_mov_b64_e32 v[14:15], v[2:3]
	v_bfe_u32 v16, v2, 23, 1
; %bb.1882:                             ;   in Loop: Header=BB4_1857 Depth=4
	s_or_b32 exec_lo, exec_lo, s13
	s_delay_alu instid0(VALU_DEP_2) | instskip(NEXT) | instid1(VALU_DEP_2)
	v_lshrrev_b64 v[14:15], 20, v[14:15]
	v_cmp_gt_i32_e32 vcc_lo, 16, v16
	v_cmp_ne_u32_e64 s13, 0, v16
                                        ; implicit-def: $vgpr47
	s_delay_alu instid0(VALU_DEP_3) | instskip(NEXT) | instid1(VALU_DEP_1)
	v_dual_cndmask_b32 v15, 0, v15 :: v_dual_cndmask_b32 v14, 7, v14
	v_cmp_ne_u64_e32 vcc_lo, 0, v[14:15]
	s_or_b32 s13, s13, vcc_lo
	s_delay_alu instid0(SALU_CYCLE_1) | instskip(NEXT) | instid1(SALU_CYCLE_1)
	s_and_saveexec_b32 s77, s13
	s_xor_b32 s13, exec_lo, s77
; %bb.1883:                             ;   in Loop: Header=BB4_1857 Depth=4
	v_min_i32_e32 v2, 15, v16
	s_delay_alu instid0(VALU_DEP_1) | instskip(NEXT) | instid1(VALU_DEP_1)
	v_lshl_or_b32 v2, v2, 3, v111
                                        ; implicit-def: $vgpr111
	v_and_or_b32 v47, v14, 7, v2
; %bb.1884:                             ;   in Loop: Header=BB4_1857 Depth=4
	s_and_not1_saveexec_b32 s13, s13
; %bb.1885:                             ;   in Loop: Header=BB4_1857 Depth=4
	v_mov_b32_e32 v47, v111
; %bb.1886:                             ;   in Loop: Header=BB4_1857 Depth=4
	s_or_b32 exec_lo, exec_lo, s13
.LBB4_1887:                             ;   in Loop: Header=BB4_1857 Depth=4
	s_delay_alu instid0(SALU_CYCLE_1)
	s_or_b32 exec_lo, exec_lo, s76
                                        ; implicit-def: $vgpr111
.LBB4_1888:                             ;   in Loop: Header=BB4_1857 Depth=4
	s_and_not1_saveexec_b32 s13, s75
; %bb.1889:                             ;   in Loop: Header=BB4_1857 Depth=4
	v_or_b32_e32 v47, 0x7e, v111
; %bb.1890:                             ;   in Loop: Header=BB4_1857 Depth=4
	s_or_b32 exec_lo, exec_lo, s13
                                        ; implicit-def: $vgpr15
.LBB4_1891:                             ;   in Loop: Header=BB4_1857 Depth=4
	s_and_not1_saveexec_b32 s13, s74
; %bb.1892:                             ;   in Loop: Header=BB4_1857 Depth=4
	v_or_b32_e32 v47, 0x7f, v15
; %bb.1893:                             ;   in Loop: Header=BB4_1857 Depth=4
	s_or_b32 exec_lo, exec_lo, s13
	v_and_b32_e32 v2, 0xff, v58
	v_dual_mov_b32 v14, 0 :: v_dual_mov_b32 v15, 0
	s_mov_b32 s13, exec_lo
	s_delay_alu instid0(VALU_DEP_2)
	v_cmpx_ne_u16_e32 0, v2
	s_cbranch_execz .LBB4_1901
; %bb.1894:                             ;   in Loop: Header=BB4_1857 Depth=4
	v_bfrev_b32_e32 v15, 1
	s_mov_b32 s74, exec_lo
	v_cmpx_ne_u16_e32 0x80, v2
	s_cbranch_execz .LBB4_1900
; %bb.1895:                             ;   in Loop: Header=BB4_1857 Depth=4
	v_and_b32_e32 v16, 0x7f, v58
	v_mov_b32_e32 v15, 0x7f800001
	s_mov_b32 s75, exec_lo
	s_delay_alu instid0(VALU_DEP_2)
	v_cmpx_ne_u32_e32 0x7f, v16
	s_cbranch_execz .LBB4_1899
; %bb.1896:                             ;   in Loop: Header=BB4_1857 Depth=4
	v_dual_lshrrev_b32 v15, 3, v16 :: v_dual_bitop2_b32 v2, 7, v2 bitop3:0x40
	s_mov_b32 s76, exec_lo
	v_cmpx_gt_u32_e32 8, v16
; %bb.1897:                             ;   in Loop: Header=BB4_1857 Depth=4
	s_delay_alu instid0(VALU_DEP_2) | instskip(NEXT) | instid1(VALU_DEP_1)
	v_clz_i32_u32_e32 v15, v2
	v_min_u32_e32 v15, 32, v15
	s_delay_alu instid0(VALU_DEP_1) | instskip(NEXT) | instid1(VALU_DEP_1)
	v_subrev_nc_u32_e32 v16, 28, v15
	v_lshlrev_b64_e32 v[16:17], v16, v[2:3]
	s_delay_alu instid0(VALU_DEP_1)
	v_dual_sub_nc_u32 v15, 29, v15 :: v_dual_bitop2_b32 v2, 7, v16 bitop3:0x40
; %bb.1898:                             ;   in Loop: Header=BB4_1857 Depth=4
	s_or_b32 exec_lo, exec_lo, s76
	v_lshlrev_b32_e32 v16, 24, v58
	s_delay_alu instid0(VALU_DEP_2) | instskip(NEXT) | instid1(VALU_DEP_3)
	v_lshlrev_b32_e32 v2, 20, v2
	v_lshl_add_u32 v15, v15, 23, 0x3c000000
	s_delay_alu instid0(VALU_DEP_3) | instskip(NEXT) | instid1(VALU_DEP_1)
	v_and_b32_e32 v16, 0x80000000, v16
	v_or3_b32 v15, v2, v16, v15
.LBB4_1899:                             ;   in Loop: Header=BB4_1857 Depth=4
	s_or_b32 exec_lo, exec_lo, s75
.LBB4_1900:                             ;   in Loop: Header=BB4_1857 Depth=4
	s_delay_alu instid0(SALU_CYCLE_1)
	s_or_b32 exec_lo, exec_lo, s74
.LBB4_1901:                             ;   in Loop: Header=BB4_1857 Depth=4
	s_delay_alu instid0(SALU_CYCLE_1) | instskip(SKIP_3) | instid1(VALU_DEP_1)
	s_or_b32 exec_lo, exec_lo, s13
	s_wait_loadcnt_dscnt 0xe0e
	v_and_b32_e32 v2, 0xff, v29
	s_mov_b32 s13, exec_lo
	v_cmpx_ne_u16_e32 0, v2
	s_cbranch_execz .LBB4_1909
; %bb.1902:                             ;   in Loop: Header=BB4_1857 Depth=4
	v_bfrev_b32_e32 v14, 1
	s_mov_b32 s74, exec_lo
	v_cmpx_ne_u16_e32 0x80, v2
	s_cbranch_execz .LBB4_1908
; %bb.1903:                             ;   in Loop: Header=BB4_1857 Depth=4
	v_and_b32_e32 v16, 0x7f, v29
	v_mov_b32_e32 v14, 0x7f800001
	s_mov_b32 s75, exec_lo
	s_delay_alu instid0(VALU_DEP_2)
	v_cmpx_ne_u32_e32 0x7f, v16
	s_cbranch_execz .LBB4_1907
; %bb.1904:                             ;   in Loop: Header=BB4_1857 Depth=4
	v_dual_lshrrev_b32 v14, 3, v16 :: v_dual_bitop2_b32 v2, 7, v2 bitop3:0x40
	s_mov_b32 s76, exec_lo
	v_cmpx_gt_u32_e32 8, v16
; %bb.1905:                             ;   in Loop: Header=BB4_1857 Depth=4
	s_delay_alu instid0(VALU_DEP_2) | instskip(NEXT) | instid1(VALU_DEP_1)
	v_clz_i32_u32_e32 v14, v2
	v_min_u32_e32 v14, 32, v14
	s_delay_alu instid0(VALU_DEP_1) | instskip(NEXT) | instid1(VALU_DEP_1)
	v_subrev_nc_u32_e32 v16, 28, v14
	v_lshlrev_b64_e32 v[16:17], v16, v[2:3]
	s_delay_alu instid0(VALU_DEP_1)
	v_dual_sub_nc_u32 v14, 29, v14 :: v_dual_bitop2_b32 v2, 7, v16 bitop3:0x40
; %bb.1906:                             ;   in Loop: Header=BB4_1857 Depth=4
	s_or_b32 exec_lo, exec_lo, s76
	s_delay_alu instid0(VALU_DEP_1) | instskip(NEXT) | instid1(VALU_DEP_2)
	v_dual_lshlrev_b32 v16, 24, v29 :: v_dual_lshlrev_b32 v2, 20, v2
	v_lshl_add_u32 v14, v14, 23, 0x3c000000
	s_delay_alu instid0(VALU_DEP_2) | instskip(NEXT) | instid1(VALU_DEP_1)
	v_and_b32_e32 v16, 0x80000000, v16
	v_or3_b32 v14, v2, v16, v14
.LBB4_1907:                             ;   in Loop: Header=BB4_1857 Depth=4
	s_or_b32 exec_lo, exec_lo, s75
.LBB4_1908:                             ;   in Loop: Header=BB4_1857 Depth=4
	s_delay_alu instid0(SALU_CYCLE_1)
	s_or_b32 exec_lo, exec_lo, s74
.LBB4_1909:                             ;   in Loop: Header=BB4_1857 Depth=4
	s_delay_alu instid0(SALU_CYCLE_1) | instskip(NEXT) | instid1(VALU_DEP_1)
	s_or_b32 exec_lo, exec_lo, s13
	v_add_f32_e32 v14, v15, v14
                                        ; implicit-def: $vgpr58
	s_mov_b32 s13, exec_lo
	s_delay_alu instid0(VALU_DEP_1) | instskip(SKIP_1) | instid1(VALU_DEP_2)
	v_and_b32_e32 v2, 0x7f800000, v14
	v_lshrrev_b32_e32 v15, 24, v14
	v_cmpx_ne_u64_e32 0x7f800000, v[2:3]
	s_xor_b32 s74, exec_lo, s13
	s_cbranch_execz .LBB4_1927
; %bb.1910:                             ;   in Loop: Header=BB4_1857 Depth=4
	v_and_b32_e32 v2, 0x7fffffff, v14
	v_and_b32_e32 v29, 0x80, v15
                                        ; implicit-def: $vgpr58
	s_mov_b32 s13, exec_lo
	s_delay_alu instid0(VALU_DEP_2)
	v_cmpx_gt_u64_e32 0x43e00001, v[2:3]
	s_xor_b32 s75, exec_lo, s13
	s_cbranch_execz .LBB4_1924
; %bb.1911:                             ;   in Loop: Header=BB4_1857 Depth=4
	v_mov_b32_e32 v58, 0
	s_mov_b32 s76, exec_lo
	v_cmpx_ne_u32_e32 0, v14
	s_cbranch_execz .LBB4_1923
; %bb.1912:                             ;   in Loop: Header=BB4_1857 Depth=4
	v_bfe_u32 v24, v14, 23, 8
	s_delay_alu instid0(VALU_DEP_1) | instskip(SKIP_1) | instid1(VALU_DEP_2)
	v_sub_nc_u32_e32 v2, 0x79, v24
	v_cmp_gt_u32_e32 vcc_lo, 0x7a, v24
	v_cndmask_b32_e32 v2, 0, v2, vcc_lo
	v_cmp_eq_u32_e32 vcc_lo, 0, v24
	s_delay_alu instid0(VALU_DEP_2) | instskip(SKIP_1) | instid1(VALU_DEP_2)
	v_cndmask_b32_e64 v25, v2, 0x78, vcc_lo
	v_and_b32_e32 v2, 0x7fffff, v14
	v_add_nc_u32_e32 v14, 20, v25
	s_delay_alu instid0(VALU_DEP_2) | instskip(SKIP_1) | instid1(VALU_DEP_3)
	v_or_b32_e32 v16, 0x800000, v2
	v_add_nc_u32_e32 v17, 19, v25
	v_lshlrev_b64_e64 v[14:15], v14, -1
	s_delay_alu instid0(VALU_DEP_3) | instskip(NEXT) | instid1(VALU_DEP_3)
	v_cndmask_b32_e32 v2, v16, v2, vcc_lo
	v_lshlrev_b64_e64 v[16:17], v17, 1
	s_delay_alu instid0(VALU_DEP_3) | instskip(NEXT) | instid1(VALU_DEP_3)
	v_bfi_b32 v69, v15, 0, 0
	v_bfi_b32 v68, v14, 0, v2
	v_lshrrev_b64 v[14:15], v25, v[2:3]
	s_delay_alu instid0(VALU_DEP_2) | instskip(NEXT) | instid1(VALU_DEP_2)
	v_cmp_eq_u64_e64 s13, v[68:69], v[16:17]
	v_mov_b64_e32 v[16:17], v[14:15]
	s_and_saveexec_b32 s77, s13
; %bb.1913:                             ;   in Loop: Header=BB4_1857 Depth=4
	v_bfe_u32 v2, v14, 20, 1
	s_delay_alu instid0(VALU_DEP_1) | instskip(NEXT) | instid1(VALU_DEP_1)
	v_add_nc_u64_e32 v[16:17], v[14:15], v[2:3]
	v_add_nc_u64_e32 v[16:17], -1, v[16:17]
; %bb.1914:                             ;   in Loop: Header=BB4_1857 Depth=4
	s_or_b32 exec_lo, exec_lo, s77
	v_add_nc_u32_e32 v2, 0xffffff81, v24
	v_lshrrev_b32_e32 v15, 23, v14
	s_mov_b32 s13, exec_lo
	s_delay_alu instid0(VALU_DEP_2) | instskip(NEXT) | instid1(VALU_DEP_1)
	v_cndmask_b32_e64 v2, v2, 0xffffff82, vcc_lo
	v_add3_u32 v17, v25, v2, v15
	v_and_b32_e32 v2, 0xfffff, v16
                                        ; implicit-def: $vgpr16
	s_delay_alu instid0(VALU_DEP_1) | instskip(NEXT) | instid1(VALU_DEP_1)
	v_dual_add_nc_u32 v24, 6, v17 :: v_dual_add_nc_u32 v2, v2, v14
                                        ; implicit-def: $vgpr14_vgpr15
	v_cmpx_ne_u32_e32 0, v24
	s_xor_b32 s13, exec_lo, s13
; %bb.1915:                             ;   in Loop: Header=BB4_1857 Depth=4
	s_delay_alu instid0(VALU_DEP_2) | instskip(SKIP_1) | instid1(VALU_DEP_1)
	v_cmp_lt_u64_e32 vcc_lo, 0xffffff, v[2:3]
	v_add_nc_u32_e32 v14, 7, v17
	v_cndmask_b32_e32 v16, v24, v14, vcc_lo
	v_cndmask_b32_e64 v14, 0, 1, vcc_lo
	s_delay_alu instid0(VALU_DEP_1)
	v_lshrrev_b64 v[14:15], v14, v[2:3]
; %bb.1916:                             ;   in Loop: Header=BB4_1857 Depth=4
	s_and_not1_saveexec_b32 s13, s13
; %bb.1917:                             ;   in Loop: Header=BB4_1857 Depth=4
	v_mov_b64_e32 v[14:15], v[2:3]
	v_bfe_u32 v16, v2, 23, 1
; %bb.1918:                             ;   in Loop: Header=BB4_1857 Depth=4
	s_or_b32 exec_lo, exec_lo, s13
	s_delay_alu instid0(VALU_DEP_2) | instskip(NEXT) | instid1(VALU_DEP_2)
	v_lshrrev_b64 v[14:15], 20, v[14:15]
	v_cmp_gt_i32_e32 vcc_lo, 16, v16
	v_cmp_ne_u32_e64 s13, 0, v16
                                        ; implicit-def: $vgpr58
	s_delay_alu instid0(VALU_DEP_3) | instskip(NEXT) | instid1(VALU_DEP_1)
	v_dual_cndmask_b32 v15, 0, v15 :: v_dual_cndmask_b32 v14, 7, v14
	v_cmp_ne_u64_e32 vcc_lo, 0, v[14:15]
	s_or_b32 s13, s13, vcc_lo
	s_delay_alu instid0(SALU_CYCLE_1) | instskip(NEXT) | instid1(SALU_CYCLE_1)
	s_and_saveexec_b32 s77, s13
	s_xor_b32 s13, exec_lo, s77
; %bb.1919:                             ;   in Loop: Header=BB4_1857 Depth=4
	v_min_i32_e32 v2, 15, v16
	s_delay_alu instid0(VALU_DEP_1) | instskip(NEXT) | instid1(VALU_DEP_1)
	v_lshl_or_b32 v2, v2, 3, v29
                                        ; implicit-def: $vgpr29
	v_and_or_b32 v58, v14, 7, v2
; %bb.1920:                             ;   in Loop: Header=BB4_1857 Depth=4
	s_and_not1_saveexec_b32 s13, s13
; %bb.1921:                             ;   in Loop: Header=BB4_1857 Depth=4
	v_mov_b32_e32 v58, v29
; %bb.1922:                             ;   in Loop: Header=BB4_1857 Depth=4
	s_or_b32 exec_lo, exec_lo, s13
.LBB4_1923:                             ;   in Loop: Header=BB4_1857 Depth=4
	s_delay_alu instid0(SALU_CYCLE_1)
	s_or_b32 exec_lo, exec_lo, s76
                                        ; implicit-def: $vgpr29
.LBB4_1924:                             ;   in Loop: Header=BB4_1857 Depth=4
	s_and_not1_saveexec_b32 s13, s75
; %bb.1925:                             ;   in Loop: Header=BB4_1857 Depth=4
	v_or_b32_e32 v58, 0x7e, v29
; %bb.1926:                             ;   in Loop: Header=BB4_1857 Depth=4
	s_or_b32 exec_lo, exec_lo, s13
                                        ; implicit-def: $vgpr15
.LBB4_1927:                             ;   in Loop: Header=BB4_1857 Depth=4
	s_and_not1_saveexec_b32 s13, s74
; %bb.1928:                             ;   in Loop: Header=BB4_1857 Depth=4
	v_or_b32_e32 v58, 0x7f, v15
; %bb.1929:                             ;   in Loop: Header=BB4_1857 Depth=4
	s_or_b32 exec_lo, exec_lo, s13
	v_and_b32_e32 v2, 0xff, v28
	v_dual_mov_b32 v14, 0 :: v_dual_mov_b32 v15, 0
	s_mov_b32 s13, exec_lo
	s_delay_alu instid0(VALU_DEP_2)
	v_cmpx_ne_u16_e32 0, v2
	s_cbranch_execz .LBB4_1937
; %bb.1930:                             ;   in Loop: Header=BB4_1857 Depth=4
	v_bfrev_b32_e32 v15, 1
	s_mov_b32 s74, exec_lo
	v_cmpx_ne_u16_e32 0x80, v2
	s_cbranch_execz .LBB4_1936
; %bb.1931:                             ;   in Loop: Header=BB4_1857 Depth=4
	v_and_b32_e32 v16, 0x7f, v28
	v_mov_b32_e32 v15, 0x7f800001
	s_mov_b32 s75, exec_lo
	s_delay_alu instid0(VALU_DEP_2)
	v_cmpx_ne_u32_e32 0x7f, v16
	s_cbranch_execz .LBB4_1935
; %bb.1932:                             ;   in Loop: Header=BB4_1857 Depth=4
	v_dual_lshrrev_b32 v15, 3, v16 :: v_dual_bitop2_b32 v2, 7, v2 bitop3:0x40
	s_mov_b32 s76, exec_lo
	v_cmpx_gt_u32_e32 8, v16
; %bb.1933:                             ;   in Loop: Header=BB4_1857 Depth=4
	s_delay_alu instid0(VALU_DEP_2) | instskip(NEXT) | instid1(VALU_DEP_1)
	v_clz_i32_u32_e32 v15, v2
	v_min_u32_e32 v15, 32, v15
	s_delay_alu instid0(VALU_DEP_1) | instskip(NEXT) | instid1(VALU_DEP_1)
	v_subrev_nc_u32_e32 v16, 28, v15
	v_lshlrev_b64_e32 v[16:17], v16, v[2:3]
	s_delay_alu instid0(VALU_DEP_1)
	v_dual_sub_nc_u32 v15, 29, v15 :: v_dual_bitop2_b32 v2, 7, v16 bitop3:0x40
; %bb.1934:                             ;   in Loop: Header=BB4_1857 Depth=4
	s_or_b32 exec_lo, exec_lo, s76
	s_delay_alu instid0(VALU_DEP_1) | instskip(NEXT) | instid1(VALU_DEP_2)
	v_dual_lshlrev_b32 v16, 24, v28 :: v_dual_lshlrev_b32 v2, 20, v2
	v_lshl_add_u32 v15, v15, 23, 0x3c000000
	s_delay_alu instid0(VALU_DEP_2) | instskip(NEXT) | instid1(VALU_DEP_1)
	v_and_b32_e32 v16, 0x80000000, v16
	v_or3_b32 v15, v2, v16, v15
.LBB4_1935:                             ;   in Loop: Header=BB4_1857 Depth=4
	s_or_b32 exec_lo, exec_lo, s75
.LBB4_1936:                             ;   in Loop: Header=BB4_1857 Depth=4
	s_delay_alu instid0(SALU_CYCLE_1)
	s_or_b32 exec_lo, exec_lo, s74
.LBB4_1937:                             ;   in Loop: Header=BB4_1857 Depth=4
	s_delay_alu instid0(SALU_CYCLE_1) | instskip(SKIP_3) | instid1(VALU_DEP_1)
	s_or_b32 exec_lo, exec_lo, s13
	s_wait_loadcnt_dscnt 0xd0d
	v_and_b32_e32 v2, 0xff, v61
	s_mov_b32 s13, exec_lo
	v_cmpx_ne_u16_e32 0, v2
	s_cbranch_execz .LBB4_1945
; %bb.1938:                             ;   in Loop: Header=BB4_1857 Depth=4
	v_bfrev_b32_e32 v14, 1
	s_mov_b32 s74, exec_lo
	v_cmpx_ne_u16_e32 0x80, v2
	s_cbranch_execz .LBB4_1944
; %bb.1939:                             ;   in Loop: Header=BB4_1857 Depth=4
	v_and_b32_e32 v16, 0x7f, v61
	v_mov_b32_e32 v14, 0x7f800001
	s_mov_b32 s75, exec_lo
	s_delay_alu instid0(VALU_DEP_2)
	v_cmpx_ne_u32_e32 0x7f, v16
	s_cbranch_execz .LBB4_1943
; %bb.1940:                             ;   in Loop: Header=BB4_1857 Depth=4
	v_dual_lshrrev_b32 v14, 3, v16 :: v_dual_bitop2_b32 v2, 7, v2 bitop3:0x40
	s_mov_b32 s76, exec_lo
	v_cmpx_gt_u32_e32 8, v16
; %bb.1941:                             ;   in Loop: Header=BB4_1857 Depth=4
	s_delay_alu instid0(VALU_DEP_2) | instskip(NEXT) | instid1(VALU_DEP_1)
	v_clz_i32_u32_e32 v14, v2
	v_min_u32_e32 v14, 32, v14
	s_delay_alu instid0(VALU_DEP_1) | instskip(NEXT) | instid1(VALU_DEP_1)
	v_subrev_nc_u32_e32 v16, 28, v14
	v_lshlrev_b64_e32 v[16:17], v16, v[2:3]
	s_delay_alu instid0(VALU_DEP_1)
	v_dual_sub_nc_u32 v14, 29, v14 :: v_dual_bitop2_b32 v2, 7, v16 bitop3:0x40
; %bb.1942:                             ;   in Loop: Header=BB4_1857 Depth=4
	s_or_b32 exec_lo, exec_lo, s76
	s_delay_alu instid0(VALU_DEP_1) | instskip(NEXT) | instid1(VALU_DEP_2)
	v_dual_lshlrev_b32 v16, 24, v61 :: v_dual_lshlrev_b32 v2, 20, v2
	v_lshl_add_u32 v14, v14, 23, 0x3c000000
	s_delay_alu instid0(VALU_DEP_2) | instskip(NEXT) | instid1(VALU_DEP_1)
	v_and_b32_e32 v16, 0x80000000, v16
	v_or3_b32 v14, v2, v16, v14
.LBB4_1943:                             ;   in Loop: Header=BB4_1857 Depth=4
	s_or_b32 exec_lo, exec_lo, s75
.LBB4_1944:                             ;   in Loop: Header=BB4_1857 Depth=4
	s_delay_alu instid0(SALU_CYCLE_1)
	s_or_b32 exec_lo, exec_lo, s74
.LBB4_1945:                             ;   in Loop: Header=BB4_1857 Depth=4
	s_delay_alu instid0(SALU_CYCLE_1) | instskip(NEXT) | instid1(VALU_DEP_1)
	s_or_b32 exec_lo, exec_lo, s13
	v_add_f32_e32 v14, v15, v14
                                        ; implicit-def: $vgpr61
	s_mov_b32 s13, exec_lo
	s_delay_alu instid0(VALU_DEP_1) | instskip(SKIP_1) | instid1(VALU_DEP_2)
	v_and_b32_e32 v2, 0x7f800000, v14
	v_lshrrev_b32_e32 v15, 24, v14
	v_cmpx_ne_u64_e32 0x7f800000, v[2:3]
	s_xor_b32 s74, exec_lo, s13
	s_cbranch_execz .LBB4_1963
; %bb.1946:                             ;   in Loop: Header=BB4_1857 Depth=4
	v_and_b32_e32 v2, 0x7fffffff, v14
	v_and_b32_e32 v28, 0x80, v15
                                        ; implicit-def: $vgpr61
	s_mov_b32 s13, exec_lo
	s_delay_alu instid0(VALU_DEP_2)
	v_cmpx_gt_u64_e32 0x43e00001, v[2:3]
	s_xor_b32 s75, exec_lo, s13
	s_cbranch_execz .LBB4_1960
; %bb.1947:                             ;   in Loop: Header=BB4_1857 Depth=4
	v_mov_b32_e32 v61, 0
	s_mov_b32 s76, exec_lo
	v_cmpx_ne_u32_e32 0, v14
	s_cbranch_execz .LBB4_1959
; %bb.1948:                             ;   in Loop: Header=BB4_1857 Depth=4
	v_bfe_u32 v24, v14, 23, 8
	s_delay_alu instid0(VALU_DEP_1) | instskip(SKIP_1) | instid1(VALU_DEP_2)
	v_sub_nc_u32_e32 v2, 0x79, v24
	v_cmp_gt_u32_e32 vcc_lo, 0x7a, v24
	v_cndmask_b32_e32 v2, 0, v2, vcc_lo
	v_cmp_eq_u32_e32 vcc_lo, 0, v24
	s_delay_alu instid0(VALU_DEP_2) | instskip(SKIP_1) | instid1(VALU_DEP_2)
	v_cndmask_b32_e64 v25, v2, 0x78, vcc_lo
	v_and_b32_e32 v2, 0x7fffff, v14
	v_add_nc_u32_e32 v14, 20, v25
	s_delay_alu instid0(VALU_DEP_2) | instskip(SKIP_1) | instid1(VALU_DEP_3)
	v_or_b32_e32 v16, 0x800000, v2
	v_add_nc_u32_e32 v17, 19, v25
	v_lshlrev_b64_e64 v[14:15], v14, -1
	s_delay_alu instid0(VALU_DEP_3) | instskip(NEXT) | instid1(VALU_DEP_3)
	v_cndmask_b32_e32 v2, v16, v2, vcc_lo
	v_lshlrev_b64_e64 v[16:17], v17, 1
	s_delay_alu instid0(VALU_DEP_3) | instskip(NEXT) | instid1(VALU_DEP_3)
	v_bfi_b32 v69, v15, 0, 0
	v_bfi_b32 v68, v14, 0, v2
	v_lshrrev_b64 v[14:15], v25, v[2:3]
	s_delay_alu instid0(VALU_DEP_2) | instskip(NEXT) | instid1(VALU_DEP_2)
	v_cmp_eq_u64_e64 s13, v[68:69], v[16:17]
	v_mov_b64_e32 v[16:17], v[14:15]
	s_and_saveexec_b32 s77, s13
; %bb.1949:                             ;   in Loop: Header=BB4_1857 Depth=4
	v_bfe_u32 v2, v14, 20, 1
	s_delay_alu instid0(VALU_DEP_1) | instskip(NEXT) | instid1(VALU_DEP_1)
	v_add_nc_u64_e32 v[16:17], v[14:15], v[2:3]
	v_add_nc_u64_e32 v[16:17], -1, v[16:17]
; %bb.1950:                             ;   in Loop: Header=BB4_1857 Depth=4
	s_or_b32 exec_lo, exec_lo, s77
	v_add_nc_u32_e32 v2, 0xffffff81, v24
	v_lshrrev_b32_e32 v15, 23, v14
	s_mov_b32 s13, exec_lo
	s_delay_alu instid0(VALU_DEP_2) | instskip(NEXT) | instid1(VALU_DEP_1)
	v_cndmask_b32_e64 v2, v2, 0xffffff82, vcc_lo
	v_add3_u32 v17, v25, v2, v15
	v_and_b32_e32 v2, 0xfffff, v16
                                        ; implicit-def: $vgpr16
	s_delay_alu instid0(VALU_DEP_1) | instskip(NEXT) | instid1(VALU_DEP_1)
	v_dual_add_nc_u32 v24, 6, v17 :: v_dual_add_nc_u32 v2, v2, v14
                                        ; implicit-def: $vgpr14_vgpr15
	v_cmpx_ne_u32_e32 0, v24
	s_xor_b32 s13, exec_lo, s13
; %bb.1951:                             ;   in Loop: Header=BB4_1857 Depth=4
	s_delay_alu instid0(VALU_DEP_2) | instskip(SKIP_1) | instid1(VALU_DEP_1)
	v_cmp_lt_u64_e32 vcc_lo, 0xffffff, v[2:3]
	v_add_nc_u32_e32 v14, 7, v17
	v_cndmask_b32_e32 v16, v24, v14, vcc_lo
	v_cndmask_b32_e64 v14, 0, 1, vcc_lo
	s_delay_alu instid0(VALU_DEP_1)
	v_lshrrev_b64 v[14:15], v14, v[2:3]
; %bb.1952:                             ;   in Loop: Header=BB4_1857 Depth=4
	s_and_not1_saveexec_b32 s13, s13
; %bb.1953:                             ;   in Loop: Header=BB4_1857 Depth=4
	v_mov_b64_e32 v[14:15], v[2:3]
	v_bfe_u32 v16, v2, 23, 1
; %bb.1954:                             ;   in Loop: Header=BB4_1857 Depth=4
	s_or_b32 exec_lo, exec_lo, s13
	s_delay_alu instid0(VALU_DEP_2) | instskip(NEXT) | instid1(VALU_DEP_2)
	v_lshrrev_b64 v[14:15], 20, v[14:15]
	v_cmp_gt_i32_e32 vcc_lo, 16, v16
	v_cmp_ne_u32_e64 s13, 0, v16
                                        ; implicit-def: $vgpr61
	s_delay_alu instid0(VALU_DEP_3) | instskip(NEXT) | instid1(VALU_DEP_1)
	v_dual_cndmask_b32 v15, 0, v15 :: v_dual_cndmask_b32 v14, 7, v14
	v_cmp_ne_u64_e32 vcc_lo, 0, v[14:15]
	s_or_b32 s13, s13, vcc_lo
	s_delay_alu instid0(SALU_CYCLE_1) | instskip(NEXT) | instid1(SALU_CYCLE_1)
	s_and_saveexec_b32 s77, s13
	s_xor_b32 s13, exec_lo, s77
; %bb.1955:                             ;   in Loop: Header=BB4_1857 Depth=4
	v_min_i32_e32 v2, 15, v16
	s_delay_alu instid0(VALU_DEP_1) | instskip(NEXT) | instid1(VALU_DEP_1)
	v_lshl_or_b32 v2, v2, 3, v28
                                        ; implicit-def: $vgpr28
	v_and_or_b32 v61, v14, 7, v2
; %bb.1956:                             ;   in Loop: Header=BB4_1857 Depth=4
	s_and_not1_saveexec_b32 s13, s13
; %bb.1957:                             ;   in Loop: Header=BB4_1857 Depth=4
	v_mov_b32_e32 v61, v28
; %bb.1958:                             ;   in Loop: Header=BB4_1857 Depth=4
	s_or_b32 exec_lo, exec_lo, s13
.LBB4_1959:                             ;   in Loop: Header=BB4_1857 Depth=4
	s_delay_alu instid0(SALU_CYCLE_1)
	s_or_b32 exec_lo, exec_lo, s76
                                        ; implicit-def: $vgpr28
.LBB4_1960:                             ;   in Loop: Header=BB4_1857 Depth=4
	s_and_not1_saveexec_b32 s13, s75
; %bb.1961:                             ;   in Loop: Header=BB4_1857 Depth=4
	v_or_b32_e32 v61, 0x7e, v28
; %bb.1962:                             ;   in Loop: Header=BB4_1857 Depth=4
	s_or_b32 exec_lo, exec_lo, s13
                                        ; implicit-def: $vgpr15
.LBB4_1963:                             ;   in Loop: Header=BB4_1857 Depth=4
	s_and_not1_saveexec_b32 s13, s74
; %bb.1964:                             ;   in Loop: Header=BB4_1857 Depth=4
	v_or_b32_e32 v61, 0x7f, v15
; %bb.1965:                             ;   in Loop: Header=BB4_1857 Depth=4
	s_or_b32 exec_lo, exec_lo, s13
	v_and_b32_e32 v2, 0xff, v88
	v_dual_mov_b32 v14, 0 :: v_dual_mov_b32 v15, 0
	s_mov_b32 s13, exec_lo
	s_delay_alu instid0(VALU_DEP_2)
	v_cmpx_ne_u16_e32 0, v2
	s_cbranch_execz .LBB4_1973
; %bb.1966:                             ;   in Loop: Header=BB4_1857 Depth=4
	v_bfrev_b32_e32 v15, 1
	s_mov_b32 s74, exec_lo
	v_cmpx_ne_u16_e32 0x80, v2
	s_cbranch_execz .LBB4_1972
; %bb.1967:                             ;   in Loop: Header=BB4_1857 Depth=4
	v_and_b32_e32 v16, 0x7f, v88
	v_mov_b32_e32 v15, 0x7f800001
	s_mov_b32 s75, exec_lo
	s_delay_alu instid0(VALU_DEP_2)
	v_cmpx_ne_u32_e32 0x7f, v16
	s_cbranch_execz .LBB4_1971
; %bb.1968:                             ;   in Loop: Header=BB4_1857 Depth=4
	v_dual_lshrrev_b32 v15, 3, v16 :: v_dual_bitop2_b32 v2, 7, v2 bitop3:0x40
	s_mov_b32 s76, exec_lo
	v_cmpx_gt_u32_e32 8, v16
; %bb.1969:                             ;   in Loop: Header=BB4_1857 Depth=4
	s_delay_alu instid0(VALU_DEP_2) | instskip(NEXT) | instid1(VALU_DEP_1)
	v_clz_i32_u32_e32 v15, v2
	v_min_u32_e32 v15, 32, v15
	s_delay_alu instid0(VALU_DEP_1) | instskip(NEXT) | instid1(VALU_DEP_1)
	v_subrev_nc_u32_e32 v16, 28, v15
	v_lshlrev_b64_e32 v[16:17], v16, v[2:3]
	s_delay_alu instid0(VALU_DEP_1)
	v_dual_sub_nc_u32 v15, 29, v15 :: v_dual_bitop2_b32 v2, 7, v16 bitop3:0x40
; %bb.1970:                             ;   in Loop: Header=BB4_1857 Depth=4
	s_or_b32 exec_lo, exec_lo, s76
	s_delay_alu instid0(VALU_DEP_1) | instskip(NEXT) | instid1(VALU_DEP_2)
	v_dual_lshlrev_b32 v16, 24, v88 :: v_dual_lshlrev_b32 v2, 20, v2
	v_lshl_add_u32 v15, v15, 23, 0x3c000000
	s_delay_alu instid0(VALU_DEP_2) | instskip(NEXT) | instid1(VALU_DEP_1)
	v_and_b32_e32 v16, 0x80000000, v16
	v_or3_b32 v15, v2, v16, v15
.LBB4_1971:                             ;   in Loop: Header=BB4_1857 Depth=4
	s_or_b32 exec_lo, exec_lo, s75
.LBB4_1972:                             ;   in Loop: Header=BB4_1857 Depth=4
	s_delay_alu instid0(SALU_CYCLE_1)
	s_or_b32 exec_lo, exec_lo, s74
.LBB4_1973:                             ;   in Loop: Header=BB4_1857 Depth=4
	s_delay_alu instid0(SALU_CYCLE_1) | instskip(SKIP_3) | instid1(VALU_DEP_1)
	s_or_b32 exec_lo, exec_lo, s13
	s_wait_loadcnt_dscnt 0xc0c
	v_and_b32_e32 v2, 0xff, v72
	s_mov_b32 s13, exec_lo
	v_cmpx_ne_u16_e32 0, v2
	s_cbranch_execz .LBB4_1981
; %bb.1974:                             ;   in Loop: Header=BB4_1857 Depth=4
	v_bfrev_b32_e32 v14, 1
	s_mov_b32 s74, exec_lo
	v_cmpx_ne_u16_e32 0x80, v2
	s_cbranch_execz .LBB4_1980
; %bb.1975:                             ;   in Loop: Header=BB4_1857 Depth=4
	v_and_b32_e32 v16, 0x7f, v72
	v_mov_b32_e32 v14, 0x7f800001
	s_mov_b32 s75, exec_lo
	s_delay_alu instid0(VALU_DEP_2)
	v_cmpx_ne_u32_e32 0x7f, v16
	s_cbranch_execz .LBB4_1979
; %bb.1976:                             ;   in Loop: Header=BB4_1857 Depth=4
	v_dual_lshrrev_b32 v14, 3, v16 :: v_dual_bitop2_b32 v2, 7, v2 bitop3:0x40
	s_mov_b32 s76, exec_lo
	v_cmpx_gt_u32_e32 8, v16
; %bb.1977:                             ;   in Loop: Header=BB4_1857 Depth=4
	s_delay_alu instid0(VALU_DEP_2) | instskip(NEXT) | instid1(VALU_DEP_1)
	v_clz_i32_u32_e32 v14, v2
	v_min_u32_e32 v14, 32, v14
	s_delay_alu instid0(VALU_DEP_1) | instskip(NEXT) | instid1(VALU_DEP_1)
	v_subrev_nc_u32_e32 v16, 28, v14
	v_lshlrev_b64_e32 v[16:17], v16, v[2:3]
	s_delay_alu instid0(VALU_DEP_1)
	v_dual_sub_nc_u32 v14, 29, v14 :: v_dual_bitop2_b32 v2, 7, v16 bitop3:0x40
; %bb.1978:                             ;   in Loop: Header=BB4_1857 Depth=4
	s_or_b32 exec_lo, exec_lo, s76
	s_delay_alu instid0(VALU_DEP_1) | instskip(NEXT) | instid1(VALU_DEP_2)
	v_dual_lshlrev_b32 v16, 24, v72 :: v_dual_lshlrev_b32 v2, 20, v2
	v_lshl_add_u32 v14, v14, 23, 0x3c000000
	s_delay_alu instid0(VALU_DEP_2) | instskip(NEXT) | instid1(VALU_DEP_1)
	v_and_b32_e32 v16, 0x80000000, v16
	v_or3_b32 v14, v2, v16, v14
.LBB4_1979:                             ;   in Loop: Header=BB4_1857 Depth=4
	s_or_b32 exec_lo, exec_lo, s75
.LBB4_1980:                             ;   in Loop: Header=BB4_1857 Depth=4
	s_delay_alu instid0(SALU_CYCLE_1)
	s_or_b32 exec_lo, exec_lo, s74
.LBB4_1981:                             ;   in Loop: Header=BB4_1857 Depth=4
	s_delay_alu instid0(SALU_CYCLE_1) | instskip(NEXT) | instid1(VALU_DEP_1)
	s_or_b32 exec_lo, exec_lo, s13
	v_add_f32_e32 v14, v15, v14
                                        ; implicit-def: $vgpr72
	s_mov_b32 s13, exec_lo
	s_delay_alu instid0(VALU_DEP_1) | instskip(SKIP_1) | instid1(VALU_DEP_2)
	v_and_b32_e32 v2, 0x7f800000, v14
	v_lshrrev_b32_e32 v15, 24, v14
	v_cmpx_ne_u64_e32 0x7f800000, v[2:3]
	s_xor_b32 s74, exec_lo, s13
	s_cbranch_execz .LBB4_1999
; %bb.1982:                             ;   in Loop: Header=BB4_1857 Depth=4
	v_and_b32_e32 v2, 0x7fffffff, v14
	v_and_b32_e32 v28, 0x80, v15
                                        ; implicit-def: $vgpr72
	s_mov_b32 s13, exec_lo
	s_delay_alu instid0(VALU_DEP_2)
	v_cmpx_gt_u64_e32 0x43e00001, v[2:3]
	s_xor_b32 s75, exec_lo, s13
	s_cbranch_execz .LBB4_1996
; %bb.1983:                             ;   in Loop: Header=BB4_1857 Depth=4
	v_mov_b32_e32 v72, 0
	s_mov_b32 s76, exec_lo
	v_cmpx_ne_u32_e32 0, v14
	s_cbranch_execz .LBB4_1995
; %bb.1984:                             ;   in Loop: Header=BB4_1857 Depth=4
	v_bfe_u32 v24, v14, 23, 8
	s_delay_alu instid0(VALU_DEP_1) | instskip(SKIP_1) | instid1(VALU_DEP_2)
	v_sub_nc_u32_e32 v2, 0x79, v24
	v_cmp_gt_u32_e32 vcc_lo, 0x7a, v24
	v_cndmask_b32_e32 v2, 0, v2, vcc_lo
	v_cmp_eq_u32_e32 vcc_lo, 0, v24
	s_delay_alu instid0(VALU_DEP_2) | instskip(SKIP_1) | instid1(VALU_DEP_2)
	v_cndmask_b32_e64 v25, v2, 0x78, vcc_lo
	v_and_b32_e32 v2, 0x7fffff, v14
	v_add_nc_u32_e32 v14, 20, v25
	s_delay_alu instid0(VALU_DEP_2) | instskip(SKIP_1) | instid1(VALU_DEP_3)
	v_or_b32_e32 v16, 0x800000, v2
	v_add_nc_u32_e32 v17, 19, v25
	v_lshlrev_b64_e64 v[14:15], v14, -1
	s_delay_alu instid0(VALU_DEP_3) | instskip(NEXT) | instid1(VALU_DEP_3)
	v_cndmask_b32_e32 v2, v16, v2, vcc_lo
	v_lshlrev_b64_e64 v[16:17], v17, 1
	s_delay_alu instid0(VALU_DEP_3) | instskip(NEXT) | instid1(VALU_DEP_3)
	v_bfi_b32 v69, v15, 0, 0
	v_bfi_b32 v68, v14, 0, v2
	v_lshrrev_b64 v[14:15], v25, v[2:3]
	s_delay_alu instid0(VALU_DEP_2) | instskip(NEXT) | instid1(VALU_DEP_2)
	v_cmp_eq_u64_e64 s13, v[68:69], v[16:17]
	v_mov_b64_e32 v[16:17], v[14:15]
	s_and_saveexec_b32 s77, s13
; %bb.1985:                             ;   in Loop: Header=BB4_1857 Depth=4
	v_bfe_u32 v2, v14, 20, 1
	s_delay_alu instid0(VALU_DEP_1) | instskip(NEXT) | instid1(VALU_DEP_1)
	v_add_nc_u64_e32 v[16:17], v[14:15], v[2:3]
	v_add_nc_u64_e32 v[16:17], -1, v[16:17]
; %bb.1986:                             ;   in Loop: Header=BB4_1857 Depth=4
	s_or_b32 exec_lo, exec_lo, s77
	v_add_nc_u32_e32 v2, 0xffffff81, v24
	v_lshrrev_b32_e32 v15, 23, v14
	s_mov_b32 s13, exec_lo
	s_delay_alu instid0(VALU_DEP_2) | instskip(NEXT) | instid1(VALU_DEP_1)
	v_cndmask_b32_e64 v2, v2, 0xffffff82, vcc_lo
	v_add3_u32 v17, v25, v2, v15
	v_and_b32_e32 v2, 0xfffff, v16
                                        ; implicit-def: $vgpr16
	s_delay_alu instid0(VALU_DEP_1) | instskip(NEXT) | instid1(VALU_DEP_1)
	v_dual_add_nc_u32 v24, 6, v17 :: v_dual_add_nc_u32 v2, v2, v14
                                        ; implicit-def: $vgpr14_vgpr15
	v_cmpx_ne_u32_e32 0, v24
	s_xor_b32 s13, exec_lo, s13
; %bb.1987:                             ;   in Loop: Header=BB4_1857 Depth=4
	s_delay_alu instid0(VALU_DEP_2) | instskip(SKIP_1) | instid1(VALU_DEP_1)
	v_cmp_lt_u64_e32 vcc_lo, 0xffffff, v[2:3]
	v_add_nc_u32_e32 v14, 7, v17
	v_cndmask_b32_e32 v16, v24, v14, vcc_lo
	v_cndmask_b32_e64 v14, 0, 1, vcc_lo
	s_delay_alu instid0(VALU_DEP_1)
	v_lshrrev_b64 v[14:15], v14, v[2:3]
; %bb.1988:                             ;   in Loop: Header=BB4_1857 Depth=4
	s_and_not1_saveexec_b32 s13, s13
; %bb.1989:                             ;   in Loop: Header=BB4_1857 Depth=4
	v_mov_b64_e32 v[14:15], v[2:3]
	v_bfe_u32 v16, v2, 23, 1
; %bb.1990:                             ;   in Loop: Header=BB4_1857 Depth=4
	s_or_b32 exec_lo, exec_lo, s13
	s_delay_alu instid0(VALU_DEP_2) | instskip(NEXT) | instid1(VALU_DEP_2)
	v_lshrrev_b64 v[14:15], 20, v[14:15]
	v_cmp_gt_i32_e32 vcc_lo, 16, v16
	v_cmp_ne_u32_e64 s13, 0, v16
                                        ; implicit-def: $vgpr72
	s_delay_alu instid0(VALU_DEP_3) | instskip(NEXT) | instid1(VALU_DEP_1)
	v_dual_cndmask_b32 v15, 0, v15 :: v_dual_cndmask_b32 v14, 7, v14
	v_cmp_ne_u64_e32 vcc_lo, 0, v[14:15]
	s_or_b32 s13, s13, vcc_lo
	s_delay_alu instid0(SALU_CYCLE_1) | instskip(NEXT) | instid1(SALU_CYCLE_1)
	s_and_saveexec_b32 s77, s13
	s_xor_b32 s13, exec_lo, s77
; %bb.1991:                             ;   in Loop: Header=BB4_1857 Depth=4
	v_min_i32_e32 v2, 15, v16
	s_delay_alu instid0(VALU_DEP_1) | instskip(NEXT) | instid1(VALU_DEP_1)
	v_lshl_or_b32 v2, v2, 3, v28
                                        ; implicit-def: $vgpr28
	v_and_or_b32 v72, v14, 7, v2
; %bb.1992:                             ;   in Loop: Header=BB4_1857 Depth=4
	s_and_not1_saveexec_b32 s13, s13
; %bb.1993:                             ;   in Loop: Header=BB4_1857 Depth=4
	v_mov_b32_e32 v72, v28
; %bb.1994:                             ;   in Loop: Header=BB4_1857 Depth=4
	s_or_b32 exec_lo, exec_lo, s13
.LBB4_1995:                             ;   in Loop: Header=BB4_1857 Depth=4
	s_delay_alu instid0(SALU_CYCLE_1)
	s_or_b32 exec_lo, exec_lo, s76
                                        ; implicit-def: $vgpr28
.LBB4_1996:                             ;   in Loop: Header=BB4_1857 Depth=4
	s_and_not1_saveexec_b32 s13, s75
; %bb.1997:                             ;   in Loop: Header=BB4_1857 Depth=4
	v_or_b32_e32 v72, 0x7e, v28
; %bb.1998:                             ;   in Loop: Header=BB4_1857 Depth=4
	s_or_b32 exec_lo, exec_lo, s13
                                        ; implicit-def: $vgpr15
.LBB4_1999:                             ;   in Loop: Header=BB4_1857 Depth=4
	s_and_not1_saveexec_b32 s13, s74
; %bb.2000:                             ;   in Loop: Header=BB4_1857 Depth=4
	v_or_b32_e32 v72, 0x7f, v15
; %bb.2001:                             ;   in Loop: Header=BB4_1857 Depth=4
	s_or_b32 exec_lo, exec_lo, s13
	v_and_b32_e32 v2, 0xff, v79
	v_dual_mov_b32 v14, 0 :: v_dual_mov_b32 v15, 0
	s_mov_b32 s13, exec_lo
	s_delay_alu instid0(VALU_DEP_2)
	v_cmpx_ne_u16_e32 0, v2
	s_cbranch_execz .LBB4_2009
; %bb.2002:                             ;   in Loop: Header=BB4_1857 Depth=4
	v_bfrev_b32_e32 v15, 1
	s_mov_b32 s74, exec_lo
	v_cmpx_ne_u16_e32 0x80, v2
	s_cbranch_execz .LBB4_2008
; %bb.2003:                             ;   in Loop: Header=BB4_1857 Depth=4
	v_and_b32_e32 v16, 0x7f, v79
	v_mov_b32_e32 v15, 0x7f800001
	s_mov_b32 s75, exec_lo
	s_delay_alu instid0(VALU_DEP_2)
	v_cmpx_ne_u32_e32 0x7f, v16
	s_cbranch_execz .LBB4_2007
; %bb.2004:                             ;   in Loop: Header=BB4_1857 Depth=4
	v_dual_lshrrev_b32 v15, 3, v16 :: v_dual_bitop2_b32 v2, 7, v2 bitop3:0x40
	s_mov_b32 s76, exec_lo
	v_cmpx_gt_u32_e32 8, v16
; %bb.2005:                             ;   in Loop: Header=BB4_1857 Depth=4
	s_delay_alu instid0(VALU_DEP_2) | instskip(NEXT) | instid1(VALU_DEP_1)
	v_clz_i32_u32_e32 v15, v2
	v_min_u32_e32 v15, 32, v15
	s_delay_alu instid0(VALU_DEP_1) | instskip(NEXT) | instid1(VALU_DEP_1)
	v_subrev_nc_u32_e32 v16, 28, v15
	v_lshlrev_b64_e32 v[16:17], v16, v[2:3]
	s_delay_alu instid0(VALU_DEP_1)
	v_dual_sub_nc_u32 v15, 29, v15 :: v_dual_bitop2_b32 v2, 7, v16 bitop3:0x40
; %bb.2006:                             ;   in Loop: Header=BB4_1857 Depth=4
	s_or_b32 exec_lo, exec_lo, s76
	s_delay_alu instid0(VALU_DEP_1) | instskip(NEXT) | instid1(VALU_DEP_2)
	v_dual_lshlrev_b32 v16, 24, v79 :: v_dual_lshlrev_b32 v2, 20, v2
	v_lshl_add_u32 v15, v15, 23, 0x3c000000
	s_delay_alu instid0(VALU_DEP_2) | instskip(NEXT) | instid1(VALU_DEP_1)
	v_and_b32_e32 v16, 0x80000000, v16
	v_or3_b32 v15, v2, v16, v15
.LBB4_2007:                             ;   in Loop: Header=BB4_1857 Depth=4
	s_or_b32 exec_lo, exec_lo, s75
.LBB4_2008:                             ;   in Loop: Header=BB4_1857 Depth=4
	s_delay_alu instid0(SALU_CYCLE_1)
	s_or_b32 exec_lo, exec_lo, s74
.LBB4_2009:                             ;   in Loop: Header=BB4_1857 Depth=4
	s_delay_alu instid0(SALU_CYCLE_1) | instskip(SKIP_3) | instid1(VALU_DEP_1)
	s_or_b32 exec_lo, exec_lo, s13
	s_wait_loadcnt_dscnt 0xb0b
	v_and_b32_e32 v2, 0xff, v75
	s_mov_b32 s13, exec_lo
	v_cmpx_ne_u16_e32 0, v2
	s_cbranch_execz .LBB4_2017
; %bb.2010:                             ;   in Loop: Header=BB4_1857 Depth=4
	v_bfrev_b32_e32 v14, 1
	s_mov_b32 s74, exec_lo
	v_cmpx_ne_u16_e32 0x80, v2
	s_cbranch_execz .LBB4_2016
; %bb.2011:                             ;   in Loop: Header=BB4_1857 Depth=4
	v_and_b32_e32 v16, 0x7f, v75
	v_mov_b32_e32 v14, 0x7f800001
	s_mov_b32 s75, exec_lo
	s_delay_alu instid0(VALU_DEP_2)
	v_cmpx_ne_u32_e32 0x7f, v16
	s_cbranch_execz .LBB4_2015
; %bb.2012:                             ;   in Loop: Header=BB4_1857 Depth=4
	v_dual_lshrrev_b32 v14, 3, v16 :: v_dual_bitop2_b32 v2, 7, v2 bitop3:0x40
	s_mov_b32 s76, exec_lo
	v_cmpx_gt_u32_e32 8, v16
; %bb.2013:                             ;   in Loop: Header=BB4_1857 Depth=4
	s_delay_alu instid0(VALU_DEP_2) | instskip(NEXT) | instid1(VALU_DEP_1)
	v_clz_i32_u32_e32 v14, v2
	v_min_u32_e32 v14, 32, v14
	s_delay_alu instid0(VALU_DEP_1) | instskip(NEXT) | instid1(VALU_DEP_1)
	v_subrev_nc_u32_e32 v16, 28, v14
	v_lshlrev_b64_e32 v[16:17], v16, v[2:3]
	s_delay_alu instid0(VALU_DEP_1)
	v_dual_sub_nc_u32 v14, 29, v14 :: v_dual_bitop2_b32 v2, 7, v16 bitop3:0x40
; %bb.2014:                             ;   in Loop: Header=BB4_1857 Depth=4
	s_or_b32 exec_lo, exec_lo, s76
	s_delay_alu instid0(VALU_DEP_1) | instskip(NEXT) | instid1(VALU_DEP_2)
	v_dual_lshlrev_b32 v16, 24, v75 :: v_dual_lshlrev_b32 v2, 20, v2
	v_lshl_add_u32 v14, v14, 23, 0x3c000000
	s_delay_alu instid0(VALU_DEP_2) | instskip(NEXT) | instid1(VALU_DEP_1)
	v_and_b32_e32 v16, 0x80000000, v16
	v_or3_b32 v14, v2, v16, v14
.LBB4_2015:                             ;   in Loop: Header=BB4_1857 Depth=4
	s_or_b32 exec_lo, exec_lo, s75
.LBB4_2016:                             ;   in Loop: Header=BB4_1857 Depth=4
	s_delay_alu instid0(SALU_CYCLE_1)
	s_or_b32 exec_lo, exec_lo, s74
.LBB4_2017:                             ;   in Loop: Header=BB4_1857 Depth=4
	s_delay_alu instid0(SALU_CYCLE_1) | instskip(NEXT) | instid1(VALU_DEP_1)
	s_or_b32 exec_lo, exec_lo, s13
	v_add_f32_e32 v14, v15, v14
                                        ; implicit-def: $vgpr75
	s_mov_b32 s13, exec_lo
	s_delay_alu instid0(VALU_DEP_1) | instskip(SKIP_1) | instid1(VALU_DEP_2)
	v_and_b32_e32 v2, 0x7f800000, v14
	v_lshrrev_b32_e32 v15, 24, v14
	v_cmpx_ne_u64_e32 0x7f800000, v[2:3]
	s_xor_b32 s74, exec_lo, s13
	s_cbranch_execz .LBB4_2035
; %bb.2018:                             ;   in Loop: Header=BB4_1857 Depth=4
	v_and_b32_e32 v2, 0x7fffffff, v14
	v_and_b32_e32 v28, 0x80, v15
                                        ; implicit-def: $vgpr75
	s_mov_b32 s13, exec_lo
	s_delay_alu instid0(VALU_DEP_2)
	v_cmpx_gt_u64_e32 0x43e00001, v[2:3]
	s_xor_b32 s75, exec_lo, s13
	s_cbranch_execz .LBB4_2032
; %bb.2019:                             ;   in Loop: Header=BB4_1857 Depth=4
	v_mov_b32_e32 v75, 0
	s_mov_b32 s76, exec_lo
	v_cmpx_ne_u32_e32 0, v14
	s_cbranch_execz .LBB4_2031
; %bb.2020:                             ;   in Loop: Header=BB4_1857 Depth=4
	v_bfe_u32 v24, v14, 23, 8
	s_delay_alu instid0(VALU_DEP_1) | instskip(SKIP_1) | instid1(VALU_DEP_2)
	v_sub_nc_u32_e32 v2, 0x79, v24
	v_cmp_gt_u32_e32 vcc_lo, 0x7a, v24
	v_cndmask_b32_e32 v2, 0, v2, vcc_lo
	v_cmp_eq_u32_e32 vcc_lo, 0, v24
	s_delay_alu instid0(VALU_DEP_2) | instskip(SKIP_1) | instid1(VALU_DEP_2)
	v_cndmask_b32_e64 v25, v2, 0x78, vcc_lo
	v_and_b32_e32 v2, 0x7fffff, v14
	v_add_nc_u32_e32 v14, 20, v25
	s_delay_alu instid0(VALU_DEP_2) | instskip(SKIP_1) | instid1(VALU_DEP_3)
	v_or_b32_e32 v16, 0x800000, v2
	v_add_nc_u32_e32 v17, 19, v25
	v_lshlrev_b64_e64 v[14:15], v14, -1
	s_delay_alu instid0(VALU_DEP_3) | instskip(NEXT) | instid1(VALU_DEP_3)
	v_cndmask_b32_e32 v2, v16, v2, vcc_lo
	v_lshlrev_b64_e64 v[16:17], v17, 1
	s_delay_alu instid0(VALU_DEP_3) | instskip(NEXT) | instid1(VALU_DEP_3)
	v_bfi_b32 v69, v15, 0, 0
	v_bfi_b32 v68, v14, 0, v2
	v_lshrrev_b64 v[14:15], v25, v[2:3]
	s_delay_alu instid0(VALU_DEP_2) | instskip(NEXT) | instid1(VALU_DEP_2)
	v_cmp_eq_u64_e64 s13, v[68:69], v[16:17]
	v_mov_b64_e32 v[16:17], v[14:15]
	s_and_saveexec_b32 s77, s13
; %bb.2021:                             ;   in Loop: Header=BB4_1857 Depth=4
	v_bfe_u32 v2, v14, 20, 1
	s_delay_alu instid0(VALU_DEP_1) | instskip(NEXT) | instid1(VALU_DEP_1)
	v_add_nc_u64_e32 v[16:17], v[14:15], v[2:3]
	v_add_nc_u64_e32 v[16:17], -1, v[16:17]
; %bb.2022:                             ;   in Loop: Header=BB4_1857 Depth=4
	s_or_b32 exec_lo, exec_lo, s77
	v_add_nc_u32_e32 v2, 0xffffff81, v24
	v_lshrrev_b32_e32 v15, 23, v14
	s_mov_b32 s13, exec_lo
	s_delay_alu instid0(VALU_DEP_2) | instskip(NEXT) | instid1(VALU_DEP_1)
	v_cndmask_b32_e64 v2, v2, 0xffffff82, vcc_lo
	v_add3_u32 v17, v25, v2, v15
	v_and_b32_e32 v2, 0xfffff, v16
                                        ; implicit-def: $vgpr16
	s_delay_alu instid0(VALU_DEP_1) | instskip(NEXT) | instid1(VALU_DEP_1)
	v_dual_add_nc_u32 v24, 6, v17 :: v_dual_add_nc_u32 v2, v2, v14
                                        ; implicit-def: $vgpr14_vgpr15
	v_cmpx_ne_u32_e32 0, v24
	s_xor_b32 s13, exec_lo, s13
; %bb.2023:                             ;   in Loop: Header=BB4_1857 Depth=4
	s_delay_alu instid0(VALU_DEP_2) | instskip(SKIP_1) | instid1(VALU_DEP_1)
	v_cmp_lt_u64_e32 vcc_lo, 0xffffff, v[2:3]
	v_add_nc_u32_e32 v14, 7, v17
	v_cndmask_b32_e32 v16, v24, v14, vcc_lo
	v_cndmask_b32_e64 v14, 0, 1, vcc_lo
	s_delay_alu instid0(VALU_DEP_1)
	v_lshrrev_b64 v[14:15], v14, v[2:3]
; %bb.2024:                             ;   in Loop: Header=BB4_1857 Depth=4
	s_and_not1_saveexec_b32 s13, s13
; %bb.2025:                             ;   in Loop: Header=BB4_1857 Depth=4
	v_mov_b64_e32 v[14:15], v[2:3]
	v_bfe_u32 v16, v2, 23, 1
; %bb.2026:                             ;   in Loop: Header=BB4_1857 Depth=4
	s_or_b32 exec_lo, exec_lo, s13
	s_delay_alu instid0(VALU_DEP_2) | instskip(NEXT) | instid1(VALU_DEP_2)
	v_lshrrev_b64 v[14:15], 20, v[14:15]
	v_cmp_gt_i32_e32 vcc_lo, 16, v16
	v_cmp_ne_u32_e64 s13, 0, v16
                                        ; implicit-def: $vgpr75
	s_delay_alu instid0(VALU_DEP_3) | instskip(NEXT) | instid1(VALU_DEP_1)
	v_dual_cndmask_b32 v15, 0, v15 :: v_dual_cndmask_b32 v14, 7, v14
	v_cmp_ne_u64_e32 vcc_lo, 0, v[14:15]
	s_or_b32 s13, s13, vcc_lo
	s_delay_alu instid0(SALU_CYCLE_1) | instskip(NEXT) | instid1(SALU_CYCLE_1)
	s_and_saveexec_b32 s77, s13
	s_xor_b32 s13, exec_lo, s77
; %bb.2027:                             ;   in Loop: Header=BB4_1857 Depth=4
	v_min_i32_e32 v2, 15, v16
	s_delay_alu instid0(VALU_DEP_1) | instskip(NEXT) | instid1(VALU_DEP_1)
	v_lshl_or_b32 v2, v2, 3, v28
                                        ; implicit-def: $vgpr28
	v_and_or_b32 v75, v14, 7, v2
; %bb.2028:                             ;   in Loop: Header=BB4_1857 Depth=4
	s_and_not1_saveexec_b32 s13, s13
; %bb.2029:                             ;   in Loop: Header=BB4_1857 Depth=4
	v_mov_b32_e32 v75, v28
; %bb.2030:                             ;   in Loop: Header=BB4_1857 Depth=4
	s_or_b32 exec_lo, exec_lo, s13
.LBB4_2031:                             ;   in Loop: Header=BB4_1857 Depth=4
	s_delay_alu instid0(SALU_CYCLE_1)
	s_or_b32 exec_lo, exec_lo, s76
                                        ; implicit-def: $vgpr28
.LBB4_2032:                             ;   in Loop: Header=BB4_1857 Depth=4
	s_and_not1_saveexec_b32 s13, s75
; %bb.2033:                             ;   in Loop: Header=BB4_1857 Depth=4
	v_or_b32_e32 v75, 0x7e, v28
; %bb.2034:                             ;   in Loop: Header=BB4_1857 Depth=4
	s_or_b32 exec_lo, exec_lo, s13
                                        ; implicit-def: $vgpr15
.LBB4_2035:                             ;   in Loop: Header=BB4_1857 Depth=4
	s_and_not1_saveexec_b32 s13, s74
; %bb.2036:                             ;   in Loop: Header=BB4_1857 Depth=4
	v_or_b32_e32 v75, 0x7f, v15
; %bb.2037:                             ;   in Loop: Header=BB4_1857 Depth=4
	s_or_b32 exec_lo, exec_lo, s13
	v_and_b32_e32 v2, 0xff, v27
	v_dual_mov_b32 v14, 0 :: v_dual_mov_b32 v15, 0
	s_mov_b32 s13, exec_lo
	s_delay_alu instid0(VALU_DEP_2)
	v_cmpx_ne_u16_e32 0, v2
	s_cbranch_execz .LBB4_2045
; %bb.2038:                             ;   in Loop: Header=BB4_1857 Depth=4
	v_bfrev_b32_e32 v15, 1
	s_mov_b32 s74, exec_lo
	v_cmpx_ne_u16_e32 0x80, v2
	s_cbranch_execz .LBB4_2044
; %bb.2039:                             ;   in Loop: Header=BB4_1857 Depth=4
	v_and_b32_e32 v16, 0x7f, v27
	v_mov_b32_e32 v15, 0x7f800001
	s_mov_b32 s75, exec_lo
	s_delay_alu instid0(VALU_DEP_2)
	v_cmpx_ne_u32_e32 0x7f, v16
	s_cbranch_execz .LBB4_2043
; %bb.2040:                             ;   in Loop: Header=BB4_1857 Depth=4
	v_dual_lshrrev_b32 v15, 3, v16 :: v_dual_bitop2_b32 v2, 7, v2 bitop3:0x40
	s_mov_b32 s76, exec_lo
	v_cmpx_gt_u32_e32 8, v16
; %bb.2041:                             ;   in Loop: Header=BB4_1857 Depth=4
	s_delay_alu instid0(VALU_DEP_2) | instskip(NEXT) | instid1(VALU_DEP_1)
	v_clz_i32_u32_e32 v15, v2
	v_min_u32_e32 v15, 32, v15
	s_delay_alu instid0(VALU_DEP_1) | instskip(NEXT) | instid1(VALU_DEP_1)
	v_subrev_nc_u32_e32 v16, 28, v15
	v_lshlrev_b64_e32 v[16:17], v16, v[2:3]
	s_delay_alu instid0(VALU_DEP_1)
	v_dual_sub_nc_u32 v15, 29, v15 :: v_dual_bitop2_b32 v2, 7, v16 bitop3:0x40
; %bb.2042:                             ;   in Loop: Header=BB4_1857 Depth=4
	s_or_b32 exec_lo, exec_lo, s76
	s_delay_alu instid0(VALU_DEP_1) | instskip(NEXT) | instid1(VALU_DEP_2)
	v_dual_lshlrev_b32 v16, 24, v27 :: v_dual_lshlrev_b32 v2, 20, v2
	v_lshl_add_u32 v15, v15, 23, 0x3c000000
	s_delay_alu instid0(VALU_DEP_2) | instskip(NEXT) | instid1(VALU_DEP_1)
	v_and_b32_e32 v16, 0x80000000, v16
	v_or3_b32 v15, v2, v16, v15
.LBB4_2043:                             ;   in Loop: Header=BB4_1857 Depth=4
	s_or_b32 exec_lo, exec_lo, s75
.LBB4_2044:                             ;   in Loop: Header=BB4_1857 Depth=4
	s_delay_alu instid0(SALU_CYCLE_1)
	s_or_b32 exec_lo, exec_lo, s74
.LBB4_2045:                             ;   in Loop: Header=BB4_1857 Depth=4
	s_delay_alu instid0(SALU_CYCLE_1) | instskip(SKIP_3) | instid1(VALU_DEP_1)
	s_or_b32 exec_lo, exec_lo, s13
	s_wait_loadcnt_dscnt 0xa0a
	v_and_b32_e32 v2, 0xff, v26
	s_mov_b32 s13, exec_lo
	v_cmpx_ne_u16_e32 0, v2
	s_cbranch_execz .LBB4_2053
; %bb.2046:                             ;   in Loop: Header=BB4_1857 Depth=4
	v_bfrev_b32_e32 v14, 1
	s_mov_b32 s74, exec_lo
	v_cmpx_ne_u16_e32 0x80, v2
	s_cbranch_execz .LBB4_2052
; %bb.2047:                             ;   in Loop: Header=BB4_1857 Depth=4
	v_and_b32_e32 v16, 0x7f, v26
	v_mov_b32_e32 v14, 0x7f800001
	s_mov_b32 s75, exec_lo
	s_delay_alu instid0(VALU_DEP_2)
	v_cmpx_ne_u32_e32 0x7f, v16
	s_cbranch_execz .LBB4_2051
; %bb.2048:                             ;   in Loop: Header=BB4_1857 Depth=4
	v_dual_lshrrev_b32 v14, 3, v16 :: v_dual_bitop2_b32 v2, 7, v2 bitop3:0x40
	s_mov_b32 s76, exec_lo
	v_cmpx_gt_u32_e32 8, v16
; %bb.2049:                             ;   in Loop: Header=BB4_1857 Depth=4
	s_delay_alu instid0(VALU_DEP_2) | instskip(NEXT) | instid1(VALU_DEP_1)
	v_clz_i32_u32_e32 v14, v2
	v_min_u32_e32 v14, 32, v14
	s_delay_alu instid0(VALU_DEP_1) | instskip(NEXT) | instid1(VALU_DEP_1)
	v_subrev_nc_u32_e32 v16, 28, v14
	v_lshlrev_b64_e32 v[16:17], v16, v[2:3]
	s_delay_alu instid0(VALU_DEP_1)
	v_dual_sub_nc_u32 v14, 29, v14 :: v_dual_bitop2_b32 v2, 7, v16 bitop3:0x40
; %bb.2050:                             ;   in Loop: Header=BB4_1857 Depth=4
	s_or_b32 exec_lo, exec_lo, s76
	v_lshlrev_b32_e32 v16, 24, v26
	s_delay_alu instid0(VALU_DEP_2) | instskip(NEXT) | instid1(VALU_DEP_3)
	v_lshlrev_b32_e32 v2, 20, v2
	v_lshl_add_u32 v14, v14, 23, 0x3c000000
	s_delay_alu instid0(VALU_DEP_3) | instskip(NEXT) | instid1(VALU_DEP_1)
	v_and_b32_e32 v16, 0x80000000, v16
	v_or3_b32 v14, v2, v16, v14
.LBB4_2051:                             ;   in Loop: Header=BB4_1857 Depth=4
	s_or_b32 exec_lo, exec_lo, s75
.LBB4_2052:                             ;   in Loop: Header=BB4_1857 Depth=4
	s_delay_alu instid0(SALU_CYCLE_1)
	s_or_b32 exec_lo, exec_lo, s74
.LBB4_2053:                             ;   in Loop: Header=BB4_1857 Depth=4
	s_delay_alu instid0(SALU_CYCLE_1) | instskip(NEXT) | instid1(VALU_DEP_1)
	s_or_b32 exec_lo, exec_lo, s13
	v_add_f32_e32 v14, v15, v14
                                        ; implicit-def: $vgpr79
	s_mov_b32 s13, exec_lo
	s_delay_alu instid0(VALU_DEP_1) | instskip(SKIP_1) | instid1(VALU_DEP_2)
	v_and_b32_e32 v2, 0x7f800000, v14
	v_lshrrev_b32_e32 v15, 24, v14
	v_cmpx_ne_u64_e32 0x7f800000, v[2:3]
	s_xor_b32 s74, exec_lo, s13
	s_cbranch_execz .LBB4_2071
; %bb.2054:                             ;   in Loop: Header=BB4_1857 Depth=4
	v_and_b32_e32 v2, 0x7fffffff, v14
	v_and_b32_e32 v26, 0x80, v15
                                        ; implicit-def: $vgpr79
	s_mov_b32 s13, exec_lo
	s_delay_alu instid0(VALU_DEP_2)
	v_cmpx_gt_u64_e32 0x43e00001, v[2:3]
	s_xor_b32 s75, exec_lo, s13
	s_cbranch_execz .LBB4_2068
; %bb.2055:                             ;   in Loop: Header=BB4_1857 Depth=4
	v_mov_b32_e32 v79, 0
	s_mov_b32 s76, exec_lo
	v_cmpx_ne_u32_e32 0, v14
	s_cbranch_execz .LBB4_2067
; %bb.2056:                             ;   in Loop: Header=BB4_1857 Depth=4
	v_bfe_u32 v24, v14, 23, 8
	s_delay_alu instid0(VALU_DEP_1) | instskip(SKIP_1) | instid1(VALU_DEP_2)
	v_sub_nc_u32_e32 v2, 0x79, v24
	v_cmp_gt_u32_e32 vcc_lo, 0x7a, v24
	v_cndmask_b32_e32 v2, 0, v2, vcc_lo
	v_cmp_eq_u32_e32 vcc_lo, 0, v24
	s_delay_alu instid0(VALU_DEP_2) | instskip(SKIP_1) | instid1(VALU_DEP_2)
	v_cndmask_b32_e64 v25, v2, 0x78, vcc_lo
	v_and_b32_e32 v2, 0x7fffff, v14
	v_add_nc_u32_e32 v14, 20, v25
	s_delay_alu instid0(VALU_DEP_2) | instskip(SKIP_1) | instid1(VALU_DEP_3)
	v_or_b32_e32 v16, 0x800000, v2
	v_add_nc_u32_e32 v17, 19, v25
	v_lshlrev_b64_e64 v[14:15], v14, -1
	s_delay_alu instid0(VALU_DEP_3) | instskip(NEXT) | instid1(VALU_DEP_3)
	v_cndmask_b32_e32 v2, v16, v2, vcc_lo
	v_lshlrev_b64_e64 v[16:17], v17, 1
	s_delay_alu instid0(VALU_DEP_3) | instskip(NEXT) | instid1(VALU_DEP_3)
	v_bfi_b32 v29, v15, 0, 0
	v_bfi_b32 v28, v14, 0, v2
	v_lshrrev_b64 v[14:15], v25, v[2:3]
	s_delay_alu instid0(VALU_DEP_2) | instskip(NEXT) | instid1(VALU_DEP_2)
	v_cmp_eq_u64_e64 s13, v[28:29], v[16:17]
	v_mov_b64_e32 v[16:17], v[14:15]
	s_and_saveexec_b32 s77, s13
; %bb.2057:                             ;   in Loop: Header=BB4_1857 Depth=4
	v_bfe_u32 v2, v14, 20, 1
	s_delay_alu instid0(VALU_DEP_1) | instskip(NEXT) | instid1(VALU_DEP_1)
	v_add_nc_u64_e32 v[16:17], v[14:15], v[2:3]
	v_add_nc_u64_e32 v[16:17], -1, v[16:17]
; %bb.2058:                             ;   in Loop: Header=BB4_1857 Depth=4
	s_or_b32 exec_lo, exec_lo, s77
	v_add_nc_u32_e32 v2, 0xffffff81, v24
	v_lshrrev_b32_e32 v15, 23, v14
	s_mov_b32 s13, exec_lo
	s_delay_alu instid0(VALU_DEP_2) | instskip(NEXT) | instid1(VALU_DEP_1)
	v_cndmask_b32_e64 v2, v2, 0xffffff82, vcc_lo
	v_add3_u32 v17, v25, v2, v15
	v_and_b32_e32 v2, 0xfffff, v16
                                        ; implicit-def: $vgpr16
	s_delay_alu instid0(VALU_DEP_1) | instskip(NEXT) | instid1(VALU_DEP_1)
	v_dual_add_nc_u32 v24, 6, v17 :: v_dual_add_nc_u32 v2, v2, v14
                                        ; implicit-def: $vgpr14_vgpr15
	v_cmpx_ne_u32_e32 0, v24
	s_xor_b32 s13, exec_lo, s13
; %bb.2059:                             ;   in Loop: Header=BB4_1857 Depth=4
	s_delay_alu instid0(VALU_DEP_2) | instskip(SKIP_1) | instid1(VALU_DEP_1)
	v_cmp_lt_u64_e32 vcc_lo, 0xffffff, v[2:3]
	v_add_nc_u32_e32 v14, 7, v17
	v_cndmask_b32_e32 v16, v24, v14, vcc_lo
	v_cndmask_b32_e64 v14, 0, 1, vcc_lo
	s_delay_alu instid0(VALU_DEP_1)
	v_lshrrev_b64 v[14:15], v14, v[2:3]
; %bb.2060:                             ;   in Loop: Header=BB4_1857 Depth=4
	s_and_not1_saveexec_b32 s13, s13
; %bb.2061:                             ;   in Loop: Header=BB4_1857 Depth=4
	v_mov_b64_e32 v[14:15], v[2:3]
	v_bfe_u32 v16, v2, 23, 1
; %bb.2062:                             ;   in Loop: Header=BB4_1857 Depth=4
	s_or_b32 exec_lo, exec_lo, s13
	s_delay_alu instid0(VALU_DEP_2) | instskip(NEXT) | instid1(VALU_DEP_2)
	v_lshrrev_b64 v[14:15], 20, v[14:15]
	v_cmp_gt_i32_e32 vcc_lo, 16, v16
	v_cmp_ne_u32_e64 s13, 0, v16
                                        ; implicit-def: $vgpr79
	s_delay_alu instid0(VALU_DEP_3) | instskip(NEXT) | instid1(VALU_DEP_1)
	v_dual_cndmask_b32 v15, 0, v15 :: v_dual_cndmask_b32 v14, 7, v14
	v_cmp_ne_u64_e32 vcc_lo, 0, v[14:15]
	s_or_b32 s13, s13, vcc_lo
	s_delay_alu instid0(SALU_CYCLE_1) | instskip(NEXT) | instid1(SALU_CYCLE_1)
	s_and_saveexec_b32 s77, s13
	s_xor_b32 s13, exec_lo, s77
; %bb.2063:                             ;   in Loop: Header=BB4_1857 Depth=4
	v_min_i32_e32 v2, 15, v16
	s_delay_alu instid0(VALU_DEP_1) | instskip(NEXT) | instid1(VALU_DEP_1)
	v_lshl_or_b32 v2, v2, 3, v26
                                        ; implicit-def: $vgpr26
	v_and_or_b32 v79, v14, 7, v2
; %bb.2064:                             ;   in Loop: Header=BB4_1857 Depth=4
	s_and_not1_saveexec_b32 s13, s13
; %bb.2065:                             ;   in Loop: Header=BB4_1857 Depth=4
	v_mov_b32_e32 v79, v26
; %bb.2066:                             ;   in Loop: Header=BB4_1857 Depth=4
	s_or_b32 exec_lo, exec_lo, s13
.LBB4_2067:                             ;   in Loop: Header=BB4_1857 Depth=4
	s_delay_alu instid0(SALU_CYCLE_1)
	s_or_b32 exec_lo, exec_lo, s76
                                        ; implicit-def: $vgpr26
.LBB4_2068:                             ;   in Loop: Header=BB4_1857 Depth=4
	s_and_not1_saveexec_b32 s13, s75
; %bb.2069:                             ;   in Loop: Header=BB4_1857 Depth=4
	v_or_b32_e32 v79, 0x7e, v26
; %bb.2070:                             ;   in Loop: Header=BB4_1857 Depth=4
	s_or_b32 exec_lo, exec_lo, s13
                                        ; implicit-def: $vgpr15
.LBB4_2071:                             ;   in Loop: Header=BB4_1857 Depth=4
	s_and_not1_saveexec_b32 s13, s74
; %bb.2072:                             ;   in Loop: Header=BB4_1857 Depth=4
	v_or_b32_e32 v79, 0x7f, v15
; %bb.2073:                             ;   in Loop: Header=BB4_1857 Depth=4
	s_or_b32 exec_lo, exec_lo, s13
	v_and_b32_e32 v2, 0xff, v110
	v_dual_mov_b32 v14, 0 :: v_dual_mov_b32 v15, 0
	s_mov_b32 s13, exec_lo
	s_delay_alu instid0(VALU_DEP_2)
	v_cmpx_ne_u16_e32 0, v2
	s_cbranch_execz .LBB4_2081
; %bb.2074:                             ;   in Loop: Header=BB4_1857 Depth=4
	v_bfrev_b32_e32 v15, 1
	s_mov_b32 s74, exec_lo
	v_cmpx_ne_u16_e32 0x80, v2
	s_cbranch_execz .LBB4_2080
; %bb.2075:                             ;   in Loop: Header=BB4_1857 Depth=4
	v_and_b32_e32 v16, 0x7f, v110
	v_mov_b32_e32 v15, 0x7f800001
	s_mov_b32 s75, exec_lo
	s_delay_alu instid0(VALU_DEP_2)
	v_cmpx_ne_u32_e32 0x7f, v16
	s_cbranch_execz .LBB4_2079
; %bb.2076:                             ;   in Loop: Header=BB4_1857 Depth=4
	v_dual_lshrrev_b32 v15, 3, v16 :: v_dual_bitop2_b32 v2, 7, v2 bitop3:0x40
	s_mov_b32 s76, exec_lo
	v_cmpx_gt_u32_e32 8, v16
; %bb.2077:                             ;   in Loop: Header=BB4_1857 Depth=4
	s_delay_alu instid0(VALU_DEP_2) | instskip(NEXT) | instid1(VALU_DEP_1)
	v_clz_i32_u32_e32 v15, v2
	v_min_u32_e32 v15, 32, v15
	s_delay_alu instid0(VALU_DEP_1) | instskip(NEXT) | instid1(VALU_DEP_1)
	v_subrev_nc_u32_e32 v16, 28, v15
	v_lshlrev_b64_e32 v[16:17], v16, v[2:3]
	s_delay_alu instid0(VALU_DEP_1)
	v_dual_sub_nc_u32 v15, 29, v15 :: v_dual_bitop2_b32 v2, 7, v16 bitop3:0x40
; %bb.2078:                             ;   in Loop: Header=BB4_1857 Depth=4
	s_or_b32 exec_lo, exec_lo, s76
	v_lshlrev_b32_e32 v16, 24, v110
	s_delay_alu instid0(VALU_DEP_2) | instskip(NEXT) | instid1(VALU_DEP_3)
	v_lshlrev_b32_e32 v2, 20, v2
	v_lshl_add_u32 v15, v15, 23, 0x3c000000
	s_delay_alu instid0(VALU_DEP_3) | instskip(NEXT) | instid1(VALU_DEP_1)
	v_and_b32_e32 v16, 0x80000000, v16
	v_or3_b32 v15, v2, v16, v15
.LBB4_2079:                             ;   in Loop: Header=BB4_1857 Depth=4
	s_or_b32 exec_lo, exec_lo, s75
.LBB4_2080:                             ;   in Loop: Header=BB4_1857 Depth=4
	s_delay_alu instid0(SALU_CYCLE_1)
	s_or_b32 exec_lo, exec_lo, s74
.LBB4_2081:                             ;   in Loop: Header=BB4_1857 Depth=4
	s_delay_alu instid0(SALU_CYCLE_1) | instskip(SKIP_3) | instid1(VALU_DEP_1)
	s_or_b32 exec_lo, exec_lo, s13
	s_wait_loadcnt_dscnt 0x909
	v_and_b32_e32 v2, 0xff, v105
	s_mov_b32 s13, exec_lo
	v_cmpx_ne_u16_e32 0, v2
	s_cbranch_execz .LBB4_2089
; %bb.2082:                             ;   in Loop: Header=BB4_1857 Depth=4
	v_bfrev_b32_e32 v14, 1
	s_mov_b32 s74, exec_lo
	v_cmpx_ne_u16_e32 0x80, v2
	s_cbranch_execz .LBB4_2088
; %bb.2083:                             ;   in Loop: Header=BB4_1857 Depth=4
	v_and_b32_e32 v16, 0x7f, v105
	v_mov_b32_e32 v14, 0x7f800001
	s_mov_b32 s75, exec_lo
	s_delay_alu instid0(VALU_DEP_2)
	v_cmpx_ne_u32_e32 0x7f, v16
	s_cbranch_execz .LBB4_2087
; %bb.2084:                             ;   in Loop: Header=BB4_1857 Depth=4
	v_dual_lshrrev_b32 v14, 3, v16 :: v_dual_bitop2_b32 v2, 7, v2 bitop3:0x40
	s_mov_b32 s76, exec_lo
	v_cmpx_gt_u32_e32 8, v16
; %bb.2085:                             ;   in Loop: Header=BB4_1857 Depth=4
	s_delay_alu instid0(VALU_DEP_2) | instskip(NEXT) | instid1(VALU_DEP_1)
	v_clz_i32_u32_e32 v14, v2
	v_min_u32_e32 v14, 32, v14
	s_delay_alu instid0(VALU_DEP_1) | instskip(NEXT) | instid1(VALU_DEP_1)
	v_subrev_nc_u32_e32 v16, 28, v14
	v_lshlrev_b64_e32 v[16:17], v16, v[2:3]
	s_delay_alu instid0(VALU_DEP_1)
	v_dual_sub_nc_u32 v14, 29, v14 :: v_dual_bitop2_b32 v2, 7, v16 bitop3:0x40
; %bb.2086:                             ;   in Loop: Header=BB4_1857 Depth=4
	s_or_b32 exec_lo, exec_lo, s76
	s_delay_alu instid0(VALU_DEP_1) | instskip(NEXT) | instid1(VALU_DEP_2)
	v_dual_lshlrev_b32 v16, 24, v105 :: v_dual_lshlrev_b32 v2, 20, v2
	v_lshl_add_u32 v14, v14, 23, 0x3c000000
	s_delay_alu instid0(VALU_DEP_2) | instskip(NEXT) | instid1(VALU_DEP_1)
	v_and_b32_e32 v16, 0x80000000, v16
	v_or3_b32 v14, v2, v16, v14
.LBB4_2087:                             ;   in Loop: Header=BB4_1857 Depth=4
	s_or_b32 exec_lo, exec_lo, s75
.LBB4_2088:                             ;   in Loop: Header=BB4_1857 Depth=4
	s_delay_alu instid0(SALU_CYCLE_1)
	s_or_b32 exec_lo, exec_lo, s74
.LBB4_2089:                             ;   in Loop: Header=BB4_1857 Depth=4
	s_delay_alu instid0(SALU_CYCLE_1) | instskip(NEXT) | instid1(VALU_DEP_1)
	s_or_b32 exec_lo, exec_lo, s13
	v_add_f32_e32 v14, v15, v14
                                        ; implicit-def: $vgpr105
	s_mov_b32 s13, exec_lo
	s_delay_alu instid0(VALU_DEP_1) | instskip(SKIP_1) | instid1(VALU_DEP_2)
	v_and_b32_e32 v2, 0x7f800000, v14
	v_lshrrev_b32_e32 v15, 24, v14
	v_cmpx_ne_u64_e32 0x7f800000, v[2:3]
	s_xor_b32 s74, exec_lo, s13
	s_cbranch_execz .LBB4_2107
; %bb.2090:                             ;   in Loop: Header=BB4_1857 Depth=4
	v_and_b32_e32 v2, 0x7fffffff, v14
	v_and_b32_e32 v26, 0x80, v15
                                        ; implicit-def: $vgpr105
	s_mov_b32 s13, exec_lo
	s_delay_alu instid0(VALU_DEP_2)
	v_cmpx_gt_u64_e32 0x43e00001, v[2:3]
	s_xor_b32 s75, exec_lo, s13
	s_cbranch_execz .LBB4_2104
; %bb.2091:                             ;   in Loop: Header=BB4_1857 Depth=4
	v_mov_b32_e32 v105, 0
	s_mov_b32 s76, exec_lo
	v_cmpx_ne_u32_e32 0, v14
	s_cbranch_execz .LBB4_2103
; %bb.2092:                             ;   in Loop: Header=BB4_1857 Depth=4
	v_bfe_u32 v24, v14, 23, 8
	s_delay_alu instid0(VALU_DEP_1) | instskip(SKIP_1) | instid1(VALU_DEP_2)
	v_sub_nc_u32_e32 v2, 0x79, v24
	v_cmp_gt_u32_e32 vcc_lo, 0x7a, v24
	v_cndmask_b32_e32 v2, 0, v2, vcc_lo
	v_cmp_eq_u32_e32 vcc_lo, 0, v24
	s_delay_alu instid0(VALU_DEP_2) | instskip(SKIP_1) | instid1(VALU_DEP_2)
	v_cndmask_b32_e64 v25, v2, 0x78, vcc_lo
	v_and_b32_e32 v2, 0x7fffff, v14
	v_add_nc_u32_e32 v14, 20, v25
	s_delay_alu instid0(VALU_DEP_2) | instskip(SKIP_1) | instid1(VALU_DEP_3)
	v_or_b32_e32 v16, 0x800000, v2
	v_add_nc_u32_e32 v17, 19, v25
	v_lshlrev_b64_e64 v[14:15], v14, -1
	s_delay_alu instid0(VALU_DEP_3) | instskip(NEXT) | instid1(VALU_DEP_3)
	v_cndmask_b32_e32 v2, v16, v2, vcc_lo
	v_lshlrev_b64_e64 v[16:17], v17, 1
	s_delay_alu instid0(VALU_DEP_3) | instskip(NEXT) | instid1(VALU_DEP_3)
	v_bfi_b32 v29, v15, 0, 0
	v_bfi_b32 v28, v14, 0, v2
	v_lshrrev_b64 v[14:15], v25, v[2:3]
	s_delay_alu instid0(VALU_DEP_2) | instskip(NEXT) | instid1(VALU_DEP_2)
	v_cmp_eq_u64_e64 s13, v[28:29], v[16:17]
	v_mov_b64_e32 v[16:17], v[14:15]
	s_and_saveexec_b32 s77, s13
; %bb.2093:                             ;   in Loop: Header=BB4_1857 Depth=4
	v_bfe_u32 v2, v14, 20, 1
	s_delay_alu instid0(VALU_DEP_1) | instskip(NEXT) | instid1(VALU_DEP_1)
	v_add_nc_u64_e32 v[16:17], v[14:15], v[2:3]
	v_add_nc_u64_e32 v[16:17], -1, v[16:17]
; %bb.2094:                             ;   in Loop: Header=BB4_1857 Depth=4
	s_or_b32 exec_lo, exec_lo, s77
	v_add_nc_u32_e32 v2, 0xffffff81, v24
	v_lshrrev_b32_e32 v15, 23, v14
	s_mov_b32 s13, exec_lo
	s_delay_alu instid0(VALU_DEP_2) | instskip(NEXT) | instid1(VALU_DEP_1)
	v_cndmask_b32_e64 v2, v2, 0xffffff82, vcc_lo
	v_add3_u32 v17, v25, v2, v15
	v_and_b32_e32 v2, 0xfffff, v16
                                        ; implicit-def: $vgpr16
	s_delay_alu instid0(VALU_DEP_1) | instskip(NEXT) | instid1(VALU_DEP_1)
	v_dual_add_nc_u32 v24, 6, v17 :: v_dual_add_nc_u32 v2, v2, v14
                                        ; implicit-def: $vgpr14_vgpr15
	v_cmpx_ne_u32_e32 0, v24
	s_xor_b32 s13, exec_lo, s13
; %bb.2095:                             ;   in Loop: Header=BB4_1857 Depth=4
	s_delay_alu instid0(VALU_DEP_2) | instskip(SKIP_1) | instid1(VALU_DEP_1)
	v_cmp_lt_u64_e32 vcc_lo, 0xffffff, v[2:3]
	v_add_nc_u32_e32 v14, 7, v17
	v_cndmask_b32_e32 v16, v24, v14, vcc_lo
	v_cndmask_b32_e64 v14, 0, 1, vcc_lo
	s_delay_alu instid0(VALU_DEP_1)
	v_lshrrev_b64 v[14:15], v14, v[2:3]
; %bb.2096:                             ;   in Loop: Header=BB4_1857 Depth=4
	s_and_not1_saveexec_b32 s13, s13
; %bb.2097:                             ;   in Loop: Header=BB4_1857 Depth=4
	v_mov_b64_e32 v[14:15], v[2:3]
	v_bfe_u32 v16, v2, 23, 1
; %bb.2098:                             ;   in Loop: Header=BB4_1857 Depth=4
	s_or_b32 exec_lo, exec_lo, s13
	s_delay_alu instid0(VALU_DEP_2) | instskip(NEXT) | instid1(VALU_DEP_2)
	v_lshrrev_b64 v[14:15], 20, v[14:15]
	v_cmp_gt_i32_e32 vcc_lo, 16, v16
	v_cmp_ne_u32_e64 s13, 0, v16
                                        ; implicit-def: $vgpr105
	s_delay_alu instid0(VALU_DEP_3) | instskip(NEXT) | instid1(VALU_DEP_1)
	v_dual_cndmask_b32 v15, 0, v15 :: v_dual_cndmask_b32 v14, 7, v14
	v_cmp_ne_u64_e32 vcc_lo, 0, v[14:15]
	s_or_b32 s13, s13, vcc_lo
	s_delay_alu instid0(SALU_CYCLE_1) | instskip(NEXT) | instid1(SALU_CYCLE_1)
	s_and_saveexec_b32 s77, s13
	s_xor_b32 s13, exec_lo, s77
; %bb.2099:                             ;   in Loop: Header=BB4_1857 Depth=4
	v_min_i32_e32 v2, 15, v16
	s_delay_alu instid0(VALU_DEP_1) | instskip(NEXT) | instid1(VALU_DEP_1)
	v_lshl_or_b32 v2, v2, 3, v26
                                        ; implicit-def: $vgpr26
	v_and_or_b32 v105, v14, 7, v2
; %bb.2100:                             ;   in Loop: Header=BB4_1857 Depth=4
	s_and_not1_saveexec_b32 s13, s13
; %bb.2101:                             ;   in Loop: Header=BB4_1857 Depth=4
	v_mov_b32_e32 v105, v26
; %bb.2102:                             ;   in Loop: Header=BB4_1857 Depth=4
	s_or_b32 exec_lo, exec_lo, s13
.LBB4_2103:                             ;   in Loop: Header=BB4_1857 Depth=4
	s_delay_alu instid0(SALU_CYCLE_1)
	s_or_b32 exec_lo, exec_lo, s76
                                        ; implicit-def: $vgpr26
.LBB4_2104:                             ;   in Loop: Header=BB4_1857 Depth=4
	s_and_not1_saveexec_b32 s13, s75
; %bb.2105:                             ;   in Loop: Header=BB4_1857 Depth=4
	v_or_b32_e32 v105, 0x7e, v26
; %bb.2106:                             ;   in Loop: Header=BB4_1857 Depth=4
	s_or_b32 exec_lo, exec_lo, s13
                                        ; implicit-def: $vgpr15
.LBB4_2107:                             ;   in Loop: Header=BB4_1857 Depth=4
	s_and_not1_saveexec_b32 s13, s74
; %bb.2108:                             ;   in Loop: Header=BB4_1857 Depth=4
	v_or_b32_e32 v105, 0x7f, v15
; %bb.2109:                             ;   in Loop: Header=BB4_1857 Depth=4
	s_or_b32 exec_lo, exec_lo, s13
	v_and_b32_e32 v2, 0xff, v109
	v_dual_mov_b32 v14, 0 :: v_dual_mov_b32 v15, 0
	s_mov_b32 s13, exec_lo
	s_delay_alu instid0(VALU_DEP_2)
	v_cmpx_ne_u16_e32 0, v2
	s_cbranch_execz .LBB4_2117
; %bb.2110:                             ;   in Loop: Header=BB4_1857 Depth=4
	v_bfrev_b32_e32 v15, 1
	s_mov_b32 s74, exec_lo
	v_cmpx_ne_u16_e32 0x80, v2
	s_cbranch_execz .LBB4_2116
; %bb.2111:                             ;   in Loop: Header=BB4_1857 Depth=4
	v_and_b32_e32 v16, 0x7f, v109
	v_mov_b32_e32 v15, 0x7f800001
	s_mov_b32 s75, exec_lo
	s_delay_alu instid0(VALU_DEP_2)
	v_cmpx_ne_u32_e32 0x7f, v16
	s_cbranch_execz .LBB4_2115
; %bb.2112:                             ;   in Loop: Header=BB4_1857 Depth=4
	v_dual_lshrrev_b32 v15, 3, v16 :: v_dual_bitop2_b32 v2, 7, v2 bitop3:0x40
	s_mov_b32 s76, exec_lo
	v_cmpx_gt_u32_e32 8, v16
; %bb.2113:                             ;   in Loop: Header=BB4_1857 Depth=4
	s_delay_alu instid0(VALU_DEP_2) | instskip(NEXT) | instid1(VALU_DEP_1)
	v_clz_i32_u32_e32 v15, v2
	v_min_u32_e32 v15, 32, v15
	s_delay_alu instid0(VALU_DEP_1) | instskip(NEXT) | instid1(VALU_DEP_1)
	v_subrev_nc_u32_e32 v16, 28, v15
	v_lshlrev_b64_e32 v[16:17], v16, v[2:3]
	s_delay_alu instid0(VALU_DEP_1)
	v_dual_sub_nc_u32 v15, 29, v15 :: v_dual_bitop2_b32 v2, 7, v16 bitop3:0x40
; %bb.2114:                             ;   in Loop: Header=BB4_1857 Depth=4
	s_or_b32 exec_lo, exec_lo, s76
	s_delay_alu instid0(VALU_DEP_1) | instskip(NEXT) | instid1(VALU_DEP_2)
	v_dual_lshlrev_b32 v16, 24, v109 :: v_dual_lshlrev_b32 v2, 20, v2
	v_lshl_add_u32 v15, v15, 23, 0x3c000000
	s_delay_alu instid0(VALU_DEP_2) | instskip(NEXT) | instid1(VALU_DEP_1)
	v_and_b32_e32 v16, 0x80000000, v16
	v_or3_b32 v15, v2, v16, v15
.LBB4_2115:                             ;   in Loop: Header=BB4_1857 Depth=4
	s_or_b32 exec_lo, exec_lo, s75
.LBB4_2116:                             ;   in Loop: Header=BB4_1857 Depth=4
	s_delay_alu instid0(SALU_CYCLE_1)
	s_or_b32 exec_lo, exec_lo, s74
.LBB4_2117:                             ;   in Loop: Header=BB4_1857 Depth=4
	s_delay_alu instid0(SALU_CYCLE_1) | instskip(SKIP_3) | instid1(VALU_DEP_1)
	s_or_b32 exec_lo, exec_lo, s13
	s_wait_loadcnt_dscnt 0x808
	v_and_b32_e32 v2, 0xff, v108
	s_mov_b32 s13, exec_lo
	v_cmpx_ne_u16_e32 0, v2
	s_cbranch_execz .LBB4_2125
; %bb.2118:                             ;   in Loop: Header=BB4_1857 Depth=4
	v_bfrev_b32_e32 v14, 1
	s_mov_b32 s74, exec_lo
	v_cmpx_ne_u16_e32 0x80, v2
	s_cbranch_execz .LBB4_2124
; %bb.2119:                             ;   in Loop: Header=BB4_1857 Depth=4
	v_and_b32_e32 v16, 0x7f, v108
	v_mov_b32_e32 v14, 0x7f800001
	s_mov_b32 s75, exec_lo
	s_delay_alu instid0(VALU_DEP_2)
	v_cmpx_ne_u32_e32 0x7f, v16
	s_cbranch_execz .LBB4_2123
; %bb.2120:                             ;   in Loop: Header=BB4_1857 Depth=4
	v_dual_lshrrev_b32 v14, 3, v16 :: v_dual_bitop2_b32 v2, 7, v2 bitop3:0x40
	s_mov_b32 s76, exec_lo
	v_cmpx_gt_u32_e32 8, v16
; %bb.2121:                             ;   in Loop: Header=BB4_1857 Depth=4
	s_delay_alu instid0(VALU_DEP_2) | instskip(NEXT) | instid1(VALU_DEP_1)
	v_clz_i32_u32_e32 v14, v2
	v_min_u32_e32 v14, 32, v14
	s_delay_alu instid0(VALU_DEP_1) | instskip(NEXT) | instid1(VALU_DEP_1)
	v_subrev_nc_u32_e32 v16, 28, v14
	v_lshlrev_b64_e32 v[16:17], v16, v[2:3]
	s_delay_alu instid0(VALU_DEP_1)
	v_dual_sub_nc_u32 v14, 29, v14 :: v_dual_bitop2_b32 v2, 7, v16 bitop3:0x40
; %bb.2122:                             ;   in Loop: Header=BB4_1857 Depth=4
	s_or_b32 exec_lo, exec_lo, s76
	s_delay_alu instid0(VALU_DEP_1) | instskip(NEXT) | instid1(VALU_DEP_2)
	v_dual_lshlrev_b32 v16, 24, v108 :: v_dual_lshlrev_b32 v2, 20, v2
	v_lshl_add_u32 v14, v14, 23, 0x3c000000
	s_delay_alu instid0(VALU_DEP_2) | instskip(NEXT) | instid1(VALU_DEP_1)
	v_and_b32_e32 v16, 0x80000000, v16
	v_or3_b32 v14, v2, v16, v14
.LBB4_2123:                             ;   in Loop: Header=BB4_1857 Depth=4
	s_or_b32 exec_lo, exec_lo, s75
.LBB4_2124:                             ;   in Loop: Header=BB4_1857 Depth=4
	s_delay_alu instid0(SALU_CYCLE_1)
	s_or_b32 exec_lo, exec_lo, s74
.LBB4_2125:                             ;   in Loop: Header=BB4_1857 Depth=4
	s_delay_alu instid0(SALU_CYCLE_1) | instskip(NEXT) | instid1(VALU_DEP_1)
	s_or_b32 exec_lo, exec_lo, s13
	v_add_f32_e32 v14, v15, v14
                                        ; implicit-def: $vgpr108
	s_mov_b32 s13, exec_lo
	s_delay_alu instid0(VALU_DEP_1) | instskip(SKIP_1) | instid1(VALU_DEP_2)
	v_and_b32_e32 v2, 0x7f800000, v14
	v_lshrrev_b32_e32 v15, 24, v14
	v_cmpx_ne_u64_e32 0x7f800000, v[2:3]
	s_xor_b32 s74, exec_lo, s13
	s_cbranch_execz .LBB4_2143
; %bb.2126:                             ;   in Loop: Header=BB4_1857 Depth=4
	v_and_b32_e32 v2, 0x7fffffff, v14
	v_and_b32_e32 v26, 0x80, v15
                                        ; implicit-def: $vgpr108
	s_mov_b32 s13, exec_lo
	s_delay_alu instid0(VALU_DEP_2)
	v_cmpx_gt_u64_e32 0x43e00001, v[2:3]
	s_xor_b32 s75, exec_lo, s13
	s_cbranch_execz .LBB4_2140
; %bb.2127:                             ;   in Loop: Header=BB4_1857 Depth=4
	v_mov_b32_e32 v108, 0
	s_mov_b32 s76, exec_lo
	v_cmpx_ne_u32_e32 0, v14
	s_cbranch_execz .LBB4_2139
; %bb.2128:                             ;   in Loop: Header=BB4_1857 Depth=4
	v_bfe_u32 v24, v14, 23, 8
	s_delay_alu instid0(VALU_DEP_1) | instskip(SKIP_1) | instid1(VALU_DEP_2)
	v_sub_nc_u32_e32 v2, 0x79, v24
	v_cmp_gt_u32_e32 vcc_lo, 0x7a, v24
	v_cndmask_b32_e32 v2, 0, v2, vcc_lo
	v_cmp_eq_u32_e32 vcc_lo, 0, v24
	s_delay_alu instid0(VALU_DEP_2) | instskip(SKIP_1) | instid1(VALU_DEP_2)
	v_cndmask_b32_e64 v25, v2, 0x78, vcc_lo
	v_and_b32_e32 v2, 0x7fffff, v14
	v_add_nc_u32_e32 v14, 20, v25
	s_delay_alu instid0(VALU_DEP_2) | instskip(SKIP_1) | instid1(VALU_DEP_3)
	v_or_b32_e32 v16, 0x800000, v2
	v_add_nc_u32_e32 v17, 19, v25
	v_lshlrev_b64_e64 v[14:15], v14, -1
	s_delay_alu instid0(VALU_DEP_3) | instskip(NEXT) | instid1(VALU_DEP_3)
	v_cndmask_b32_e32 v2, v16, v2, vcc_lo
	v_lshlrev_b64_e64 v[16:17], v17, 1
	s_delay_alu instid0(VALU_DEP_3) | instskip(NEXT) | instid1(VALU_DEP_3)
	v_bfi_b32 v29, v15, 0, 0
	v_bfi_b32 v28, v14, 0, v2
	v_lshrrev_b64 v[14:15], v25, v[2:3]
	s_delay_alu instid0(VALU_DEP_2) | instskip(NEXT) | instid1(VALU_DEP_2)
	v_cmp_eq_u64_e64 s13, v[28:29], v[16:17]
	v_mov_b64_e32 v[16:17], v[14:15]
	s_and_saveexec_b32 s77, s13
; %bb.2129:                             ;   in Loop: Header=BB4_1857 Depth=4
	v_bfe_u32 v2, v14, 20, 1
	s_delay_alu instid0(VALU_DEP_1) | instskip(NEXT) | instid1(VALU_DEP_1)
	v_add_nc_u64_e32 v[16:17], v[14:15], v[2:3]
	v_add_nc_u64_e32 v[16:17], -1, v[16:17]
; %bb.2130:                             ;   in Loop: Header=BB4_1857 Depth=4
	s_or_b32 exec_lo, exec_lo, s77
	v_add_nc_u32_e32 v2, 0xffffff81, v24
	v_lshrrev_b32_e32 v15, 23, v14
	s_mov_b32 s13, exec_lo
	s_delay_alu instid0(VALU_DEP_2) | instskip(NEXT) | instid1(VALU_DEP_1)
	v_cndmask_b32_e64 v2, v2, 0xffffff82, vcc_lo
	v_add3_u32 v17, v25, v2, v15
	v_and_b32_e32 v2, 0xfffff, v16
                                        ; implicit-def: $vgpr16
	s_delay_alu instid0(VALU_DEP_1) | instskip(NEXT) | instid1(VALU_DEP_1)
	v_dual_add_nc_u32 v24, 6, v17 :: v_dual_add_nc_u32 v2, v2, v14
                                        ; implicit-def: $vgpr14_vgpr15
	v_cmpx_ne_u32_e32 0, v24
	s_xor_b32 s13, exec_lo, s13
; %bb.2131:                             ;   in Loop: Header=BB4_1857 Depth=4
	s_delay_alu instid0(VALU_DEP_2) | instskip(SKIP_1) | instid1(VALU_DEP_1)
	v_cmp_lt_u64_e32 vcc_lo, 0xffffff, v[2:3]
	v_add_nc_u32_e32 v14, 7, v17
	v_cndmask_b32_e32 v16, v24, v14, vcc_lo
	v_cndmask_b32_e64 v14, 0, 1, vcc_lo
	s_delay_alu instid0(VALU_DEP_1)
	v_lshrrev_b64 v[14:15], v14, v[2:3]
; %bb.2132:                             ;   in Loop: Header=BB4_1857 Depth=4
	s_and_not1_saveexec_b32 s13, s13
; %bb.2133:                             ;   in Loop: Header=BB4_1857 Depth=4
	v_mov_b64_e32 v[14:15], v[2:3]
	v_bfe_u32 v16, v2, 23, 1
; %bb.2134:                             ;   in Loop: Header=BB4_1857 Depth=4
	s_or_b32 exec_lo, exec_lo, s13
	s_delay_alu instid0(VALU_DEP_2) | instskip(NEXT) | instid1(VALU_DEP_2)
	v_lshrrev_b64 v[14:15], 20, v[14:15]
	v_cmp_gt_i32_e32 vcc_lo, 16, v16
	v_cmp_ne_u32_e64 s13, 0, v16
                                        ; implicit-def: $vgpr108
	s_delay_alu instid0(VALU_DEP_3) | instskip(NEXT) | instid1(VALU_DEP_1)
	v_dual_cndmask_b32 v15, 0, v15 :: v_dual_cndmask_b32 v14, 7, v14
	v_cmp_ne_u64_e32 vcc_lo, 0, v[14:15]
	s_or_b32 s13, s13, vcc_lo
	s_delay_alu instid0(SALU_CYCLE_1) | instskip(NEXT) | instid1(SALU_CYCLE_1)
	s_and_saveexec_b32 s77, s13
	s_xor_b32 s13, exec_lo, s77
; %bb.2135:                             ;   in Loop: Header=BB4_1857 Depth=4
	v_min_i32_e32 v2, 15, v16
	s_delay_alu instid0(VALU_DEP_1) | instskip(NEXT) | instid1(VALU_DEP_1)
	v_lshl_or_b32 v2, v2, 3, v26
                                        ; implicit-def: $vgpr26
	v_and_or_b32 v108, v14, 7, v2
; %bb.2136:                             ;   in Loop: Header=BB4_1857 Depth=4
	s_and_not1_saveexec_b32 s13, s13
; %bb.2137:                             ;   in Loop: Header=BB4_1857 Depth=4
	v_mov_b32_e32 v108, v26
; %bb.2138:                             ;   in Loop: Header=BB4_1857 Depth=4
	s_or_b32 exec_lo, exec_lo, s13
.LBB4_2139:                             ;   in Loop: Header=BB4_1857 Depth=4
	s_delay_alu instid0(SALU_CYCLE_1)
	s_or_b32 exec_lo, exec_lo, s76
                                        ; implicit-def: $vgpr26
.LBB4_2140:                             ;   in Loop: Header=BB4_1857 Depth=4
	s_and_not1_saveexec_b32 s13, s75
; %bb.2141:                             ;   in Loop: Header=BB4_1857 Depth=4
	v_or_b32_e32 v108, 0x7e, v26
; %bb.2142:                             ;   in Loop: Header=BB4_1857 Depth=4
	s_or_b32 exec_lo, exec_lo, s13
                                        ; implicit-def: $vgpr15
.LBB4_2143:                             ;   in Loop: Header=BB4_1857 Depth=4
	s_and_not1_saveexec_b32 s13, s74
; %bb.2144:                             ;   in Loop: Header=BB4_1857 Depth=4
	v_or_b32_e32 v108, 0x7f, v15
; %bb.2145:                             ;   in Loop: Header=BB4_1857 Depth=4
	s_or_b32 exec_lo, exec_lo, s13
	v_and_b32_e32 v2, 0xff, v107
	v_dual_mov_b32 v14, 0 :: v_dual_mov_b32 v15, 0
	s_mov_b32 s13, exec_lo
	s_delay_alu instid0(VALU_DEP_2)
	v_cmpx_ne_u16_e32 0, v2
	s_cbranch_execz .LBB4_2153
; %bb.2146:                             ;   in Loop: Header=BB4_1857 Depth=4
	v_bfrev_b32_e32 v15, 1
	s_mov_b32 s74, exec_lo
	v_cmpx_ne_u16_e32 0x80, v2
	s_cbranch_execz .LBB4_2152
; %bb.2147:                             ;   in Loop: Header=BB4_1857 Depth=4
	v_and_b32_e32 v16, 0x7f, v107
	v_mov_b32_e32 v15, 0x7f800001
	s_mov_b32 s75, exec_lo
	s_delay_alu instid0(VALU_DEP_2)
	v_cmpx_ne_u32_e32 0x7f, v16
	s_cbranch_execz .LBB4_2151
; %bb.2148:                             ;   in Loop: Header=BB4_1857 Depth=4
	v_dual_lshrrev_b32 v15, 3, v16 :: v_dual_bitop2_b32 v2, 7, v2 bitop3:0x40
	s_mov_b32 s76, exec_lo
	v_cmpx_gt_u32_e32 8, v16
; %bb.2149:                             ;   in Loop: Header=BB4_1857 Depth=4
	s_delay_alu instid0(VALU_DEP_2) | instskip(NEXT) | instid1(VALU_DEP_1)
	v_clz_i32_u32_e32 v15, v2
	v_min_u32_e32 v15, 32, v15
	s_delay_alu instid0(VALU_DEP_1) | instskip(NEXT) | instid1(VALU_DEP_1)
	v_subrev_nc_u32_e32 v16, 28, v15
	v_lshlrev_b64_e32 v[16:17], v16, v[2:3]
	s_delay_alu instid0(VALU_DEP_1)
	v_dual_sub_nc_u32 v15, 29, v15 :: v_dual_bitop2_b32 v2, 7, v16 bitop3:0x40
; %bb.2150:                             ;   in Loop: Header=BB4_1857 Depth=4
	s_or_b32 exec_lo, exec_lo, s76
	s_delay_alu instid0(VALU_DEP_1) | instskip(NEXT) | instid1(VALU_DEP_2)
	v_dual_lshlrev_b32 v16, 24, v107 :: v_dual_lshlrev_b32 v2, 20, v2
	v_lshl_add_u32 v15, v15, 23, 0x3c000000
	s_delay_alu instid0(VALU_DEP_2) | instskip(NEXT) | instid1(VALU_DEP_1)
	v_and_b32_e32 v16, 0x80000000, v16
	v_or3_b32 v15, v2, v16, v15
.LBB4_2151:                             ;   in Loop: Header=BB4_1857 Depth=4
	s_or_b32 exec_lo, exec_lo, s75
.LBB4_2152:                             ;   in Loop: Header=BB4_1857 Depth=4
	s_delay_alu instid0(SALU_CYCLE_1)
	s_or_b32 exec_lo, exec_lo, s74
.LBB4_2153:                             ;   in Loop: Header=BB4_1857 Depth=4
	s_delay_alu instid0(SALU_CYCLE_1) | instskip(SKIP_3) | instid1(VALU_DEP_1)
	s_or_b32 exec_lo, exec_lo, s13
	s_wait_loadcnt_dscnt 0x707
	v_and_b32_e32 v2, 0xff, v106
	s_mov_b32 s13, exec_lo
	v_cmpx_ne_u16_e32 0, v2
	s_cbranch_execz .LBB4_2161
; %bb.2154:                             ;   in Loop: Header=BB4_1857 Depth=4
	v_bfrev_b32_e32 v14, 1
	s_mov_b32 s74, exec_lo
	v_cmpx_ne_u16_e32 0x80, v2
	s_cbranch_execz .LBB4_2160
; %bb.2155:                             ;   in Loop: Header=BB4_1857 Depth=4
	v_and_b32_e32 v16, 0x7f, v106
	v_mov_b32_e32 v14, 0x7f800001
	s_mov_b32 s75, exec_lo
	s_delay_alu instid0(VALU_DEP_2)
	v_cmpx_ne_u32_e32 0x7f, v16
	s_cbranch_execz .LBB4_2159
; %bb.2156:                             ;   in Loop: Header=BB4_1857 Depth=4
	v_dual_lshrrev_b32 v14, 3, v16 :: v_dual_bitop2_b32 v2, 7, v2 bitop3:0x40
	s_mov_b32 s76, exec_lo
	v_cmpx_gt_u32_e32 8, v16
; %bb.2157:                             ;   in Loop: Header=BB4_1857 Depth=4
	s_delay_alu instid0(VALU_DEP_2) | instskip(NEXT) | instid1(VALU_DEP_1)
	v_clz_i32_u32_e32 v14, v2
	v_min_u32_e32 v14, 32, v14
	s_delay_alu instid0(VALU_DEP_1) | instskip(NEXT) | instid1(VALU_DEP_1)
	v_subrev_nc_u32_e32 v16, 28, v14
	v_lshlrev_b64_e32 v[16:17], v16, v[2:3]
	s_delay_alu instid0(VALU_DEP_1)
	v_dual_sub_nc_u32 v14, 29, v14 :: v_dual_bitop2_b32 v2, 7, v16 bitop3:0x40
; %bb.2158:                             ;   in Loop: Header=BB4_1857 Depth=4
	s_or_b32 exec_lo, exec_lo, s76
	v_lshlrev_b32_e32 v16, 24, v106
	s_delay_alu instid0(VALU_DEP_2) | instskip(NEXT) | instid1(VALU_DEP_3)
	v_lshlrev_b32_e32 v2, 20, v2
	v_lshl_add_u32 v14, v14, 23, 0x3c000000
	s_delay_alu instid0(VALU_DEP_3) | instskip(NEXT) | instid1(VALU_DEP_1)
	v_and_b32_e32 v16, 0x80000000, v16
	v_or3_b32 v14, v2, v16, v14
.LBB4_2159:                             ;   in Loop: Header=BB4_1857 Depth=4
	s_or_b32 exec_lo, exec_lo, s75
.LBB4_2160:                             ;   in Loop: Header=BB4_1857 Depth=4
	s_delay_alu instid0(SALU_CYCLE_1)
	s_or_b32 exec_lo, exec_lo, s74
.LBB4_2161:                             ;   in Loop: Header=BB4_1857 Depth=4
	s_delay_alu instid0(SALU_CYCLE_1) | instskip(NEXT) | instid1(VALU_DEP_1)
	s_or_b32 exec_lo, exec_lo, s13
	v_add_f32_e32 v14, v15, v14
                                        ; implicit-def: $vgpr106
	s_mov_b32 s13, exec_lo
	s_delay_alu instid0(VALU_DEP_1) | instskip(SKIP_1) | instid1(VALU_DEP_2)
	v_and_b32_e32 v2, 0x7f800000, v14
	v_lshrrev_b32_e32 v15, 24, v14
	v_cmpx_ne_u64_e32 0x7f800000, v[2:3]
	s_xor_b32 s74, exec_lo, s13
	s_cbranch_execz .LBB4_2179
; %bb.2162:                             ;   in Loop: Header=BB4_1857 Depth=4
	v_and_b32_e32 v2, 0x7fffffff, v14
	v_and_b32_e32 v26, 0x80, v15
                                        ; implicit-def: $vgpr106
	s_mov_b32 s13, exec_lo
	s_delay_alu instid0(VALU_DEP_2)
	v_cmpx_gt_u64_e32 0x43e00001, v[2:3]
	s_xor_b32 s75, exec_lo, s13
	s_cbranch_execz .LBB4_2176
; %bb.2163:                             ;   in Loop: Header=BB4_1857 Depth=4
	v_mov_b32_e32 v106, 0
	s_mov_b32 s76, exec_lo
	v_cmpx_ne_u32_e32 0, v14
	s_cbranch_execz .LBB4_2175
; %bb.2164:                             ;   in Loop: Header=BB4_1857 Depth=4
	v_bfe_u32 v24, v14, 23, 8
	s_delay_alu instid0(VALU_DEP_1) | instskip(SKIP_1) | instid1(VALU_DEP_2)
	v_sub_nc_u32_e32 v2, 0x79, v24
	v_cmp_gt_u32_e32 vcc_lo, 0x7a, v24
	v_cndmask_b32_e32 v2, 0, v2, vcc_lo
	v_cmp_eq_u32_e32 vcc_lo, 0, v24
	s_delay_alu instid0(VALU_DEP_2) | instskip(SKIP_1) | instid1(VALU_DEP_2)
	v_cndmask_b32_e64 v25, v2, 0x78, vcc_lo
	v_and_b32_e32 v2, 0x7fffff, v14
	v_add_nc_u32_e32 v14, 20, v25
	s_delay_alu instid0(VALU_DEP_2) | instskip(SKIP_1) | instid1(VALU_DEP_3)
	v_or_b32_e32 v16, 0x800000, v2
	v_add_nc_u32_e32 v17, 19, v25
	v_lshlrev_b64_e64 v[14:15], v14, -1
	s_delay_alu instid0(VALU_DEP_3) | instskip(NEXT) | instid1(VALU_DEP_3)
	v_cndmask_b32_e32 v2, v16, v2, vcc_lo
	v_lshlrev_b64_e64 v[16:17], v17, 1
	s_delay_alu instid0(VALU_DEP_3) | instskip(NEXT) | instid1(VALU_DEP_3)
	v_bfi_b32 v29, v15, 0, 0
	v_bfi_b32 v28, v14, 0, v2
	v_lshrrev_b64 v[14:15], v25, v[2:3]
	s_delay_alu instid0(VALU_DEP_2) | instskip(NEXT) | instid1(VALU_DEP_2)
	v_cmp_eq_u64_e64 s13, v[28:29], v[16:17]
	v_mov_b64_e32 v[16:17], v[14:15]
	s_and_saveexec_b32 s77, s13
; %bb.2165:                             ;   in Loop: Header=BB4_1857 Depth=4
	v_bfe_u32 v2, v14, 20, 1
	s_delay_alu instid0(VALU_DEP_1) | instskip(NEXT) | instid1(VALU_DEP_1)
	v_add_nc_u64_e32 v[16:17], v[14:15], v[2:3]
	v_add_nc_u64_e32 v[16:17], -1, v[16:17]
; %bb.2166:                             ;   in Loop: Header=BB4_1857 Depth=4
	s_or_b32 exec_lo, exec_lo, s77
	v_add_nc_u32_e32 v2, 0xffffff81, v24
	v_lshrrev_b32_e32 v15, 23, v14
	s_mov_b32 s13, exec_lo
	s_delay_alu instid0(VALU_DEP_2) | instskip(NEXT) | instid1(VALU_DEP_1)
	v_cndmask_b32_e64 v2, v2, 0xffffff82, vcc_lo
	v_add3_u32 v17, v25, v2, v15
	v_and_b32_e32 v2, 0xfffff, v16
                                        ; implicit-def: $vgpr16
	s_delay_alu instid0(VALU_DEP_1) | instskip(NEXT) | instid1(VALU_DEP_1)
	v_dual_add_nc_u32 v24, 6, v17 :: v_dual_add_nc_u32 v2, v2, v14
                                        ; implicit-def: $vgpr14_vgpr15
	v_cmpx_ne_u32_e32 0, v24
	s_xor_b32 s13, exec_lo, s13
; %bb.2167:                             ;   in Loop: Header=BB4_1857 Depth=4
	s_delay_alu instid0(VALU_DEP_2) | instskip(SKIP_1) | instid1(VALU_DEP_1)
	v_cmp_lt_u64_e32 vcc_lo, 0xffffff, v[2:3]
	v_add_nc_u32_e32 v14, 7, v17
	v_cndmask_b32_e32 v16, v24, v14, vcc_lo
	v_cndmask_b32_e64 v14, 0, 1, vcc_lo
	s_delay_alu instid0(VALU_DEP_1)
	v_lshrrev_b64 v[14:15], v14, v[2:3]
; %bb.2168:                             ;   in Loop: Header=BB4_1857 Depth=4
	s_and_not1_saveexec_b32 s13, s13
; %bb.2169:                             ;   in Loop: Header=BB4_1857 Depth=4
	v_mov_b64_e32 v[14:15], v[2:3]
	v_bfe_u32 v16, v2, 23, 1
; %bb.2170:                             ;   in Loop: Header=BB4_1857 Depth=4
	s_or_b32 exec_lo, exec_lo, s13
	s_delay_alu instid0(VALU_DEP_2) | instskip(NEXT) | instid1(VALU_DEP_2)
	v_lshrrev_b64 v[14:15], 20, v[14:15]
	v_cmp_gt_i32_e32 vcc_lo, 16, v16
	v_cmp_ne_u32_e64 s13, 0, v16
                                        ; implicit-def: $vgpr106
	s_delay_alu instid0(VALU_DEP_3) | instskip(NEXT) | instid1(VALU_DEP_1)
	v_dual_cndmask_b32 v15, 0, v15 :: v_dual_cndmask_b32 v14, 7, v14
	v_cmp_ne_u64_e32 vcc_lo, 0, v[14:15]
	s_or_b32 s13, s13, vcc_lo
	s_delay_alu instid0(SALU_CYCLE_1) | instskip(NEXT) | instid1(SALU_CYCLE_1)
	s_and_saveexec_b32 s77, s13
	s_xor_b32 s13, exec_lo, s77
; %bb.2171:                             ;   in Loop: Header=BB4_1857 Depth=4
	v_min_i32_e32 v2, 15, v16
	s_delay_alu instid0(VALU_DEP_1) | instskip(NEXT) | instid1(VALU_DEP_1)
	v_lshl_or_b32 v2, v2, 3, v26
                                        ; implicit-def: $vgpr26
	v_and_or_b32 v106, v14, 7, v2
; %bb.2172:                             ;   in Loop: Header=BB4_1857 Depth=4
	s_and_not1_saveexec_b32 s13, s13
; %bb.2173:                             ;   in Loop: Header=BB4_1857 Depth=4
	v_mov_b32_e32 v106, v26
; %bb.2174:                             ;   in Loop: Header=BB4_1857 Depth=4
	s_or_b32 exec_lo, exec_lo, s13
.LBB4_2175:                             ;   in Loop: Header=BB4_1857 Depth=4
	s_delay_alu instid0(SALU_CYCLE_1)
	s_or_b32 exec_lo, exec_lo, s76
                                        ; implicit-def: $vgpr26
.LBB4_2176:                             ;   in Loop: Header=BB4_1857 Depth=4
	s_and_not1_saveexec_b32 s13, s75
; %bb.2177:                             ;   in Loop: Header=BB4_1857 Depth=4
	v_or_b32_e32 v106, 0x7e, v26
; %bb.2178:                             ;   in Loop: Header=BB4_1857 Depth=4
	s_or_b32 exec_lo, exec_lo, s13
                                        ; implicit-def: $vgpr15
.LBB4_2179:                             ;   in Loop: Header=BB4_1857 Depth=4
	s_and_not1_saveexec_b32 s13, s74
; %bb.2180:                             ;   in Loop: Header=BB4_1857 Depth=4
	v_or_b32_e32 v106, 0x7f, v15
; %bb.2181:                             ;   in Loop: Header=BB4_1857 Depth=4
	s_or_b32 exec_lo, exec_lo, s13
	v_and_b32_e32 v2, 0xff, v104
	v_dual_mov_b32 v14, 0 :: v_dual_mov_b32 v15, 0
	s_mov_b32 s13, exec_lo
	s_delay_alu instid0(VALU_DEP_2)
	v_cmpx_ne_u16_e32 0, v2
	s_cbranch_execz .LBB4_2189
; %bb.2182:                             ;   in Loop: Header=BB4_1857 Depth=4
	v_bfrev_b32_e32 v15, 1
	s_mov_b32 s74, exec_lo
	v_cmpx_ne_u16_e32 0x80, v2
	s_cbranch_execz .LBB4_2188
; %bb.2183:                             ;   in Loop: Header=BB4_1857 Depth=4
	v_and_b32_e32 v16, 0x7f, v104
	v_mov_b32_e32 v15, 0x7f800001
	s_mov_b32 s75, exec_lo
	s_delay_alu instid0(VALU_DEP_2)
	v_cmpx_ne_u32_e32 0x7f, v16
	s_cbranch_execz .LBB4_2187
; %bb.2184:                             ;   in Loop: Header=BB4_1857 Depth=4
	v_dual_lshrrev_b32 v15, 3, v16 :: v_dual_bitop2_b32 v2, 7, v2 bitop3:0x40
	s_mov_b32 s76, exec_lo
	v_cmpx_gt_u32_e32 8, v16
; %bb.2185:                             ;   in Loop: Header=BB4_1857 Depth=4
	s_delay_alu instid0(VALU_DEP_2) | instskip(NEXT) | instid1(VALU_DEP_1)
	v_clz_i32_u32_e32 v15, v2
	v_min_u32_e32 v15, 32, v15
	s_delay_alu instid0(VALU_DEP_1) | instskip(NEXT) | instid1(VALU_DEP_1)
	v_subrev_nc_u32_e32 v16, 28, v15
	v_lshlrev_b64_e32 v[16:17], v16, v[2:3]
	s_delay_alu instid0(VALU_DEP_1)
	v_dual_sub_nc_u32 v15, 29, v15 :: v_dual_bitop2_b32 v2, 7, v16 bitop3:0x40
; %bb.2186:                             ;   in Loop: Header=BB4_1857 Depth=4
	s_or_b32 exec_lo, exec_lo, s76
	s_delay_alu instid0(VALU_DEP_1) | instskip(NEXT) | instid1(VALU_DEP_2)
	v_dual_lshlrev_b32 v16, 24, v104 :: v_dual_lshlrev_b32 v2, 20, v2
	v_lshl_add_u32 v15, v15, 23, 0x3c000000
	s_delay_alu instid0(VALU_DEP_2) | instskip(NEXT) | instid1(VALU_DEP_1)
	v_and_b32_e32 v16, 0x80000000, v16
	v_or3_b32 v15, v2, v16, v15
.LBB4_2187:                             ;   in Loop: Header=BB4_1857 Depth=4
	s_or_b32 exec_lo, exec_lo, s75
.LBB4_2188:                             ;   in Loop: Header=BB4_1857 Depth=4
	s_delay_alu instid0(SALU_CYCLE_1)
	s_or_b32 exec_lo, exec_lo, s74
.LBB4_2189:                             ;   in Loop: Header=BB4_1857 Depth=4
	s_delay_alu instid0(SALU_CYCLE_1) | instskip(SKIP_3) | instid1(VALU_DEP_1)
	s_or_b32 exec_lo, exec_lo, s13
	s_wait_loadcnt_dscnt 0x606
	v_and_b32_e32 v2, 0xff, v95
	s_mov_b32 s13, exec_lo
	v_cmpx_ne_u16_e32 0, v2
	s_cbranch_execz .LBB4_2197
; %bb.2190:                             ;   in Loop: Header=BB4_1857 Depth=4
	v_bfrev_b32_e32 v14, 1
	s_mov_b32 s74, exec_lo
	v_cmpx_ne_u16_e32 0x80, v2
	s_cbranch_execz .LBB4_2196
; %bb.2191:                             ;   in Loop: Header=BB4_1857 Depth=4
	v_and_b32_e32 v16, 0x7f, v95
	v_mov_b32_e32 v14, 0x7f800001
	s_mov_b32 s75, exec_lo
	s_delay_alu instid0(VALU_DEP_2)
	v_cmpx_ne_u32_e32 0x7f, v16
	s_cbranch_execz .LBB4_2195
; %bb.2192:                             ;   in Loop: Header=BB4_1857 Depth=4
	v_dual_lshrrev_b32 v14, 3, v16 :: v_dual_bitop2_b32 v2, 7, v2 bitop3:0x40
	s_mov_b32 s76, exec_lo
	v_cmpx_gt_u32_e32 8, v16
; %bb.2193:                             ;   in Loop: Header=BB4_1857 Depth=4
	s_delay_alu instid0(VALU_DEP_2) | instskip(NEXT) | instid1(VALU_DEP_1)
	v_clz_i32_u32_e32 v14, v2
	v_min_u32_e32 v14, 32, v14
	s_delay_alu instid0(VALU_DEP_1) | instskip(NEXT) | instid1(VALU_DEP_1)
	v_subrev_nc_u32_e32 v16, 28, v14
	v_lshlrev_b64_e32 v[16:17], v16, v[2:3]
	s_delay_alu instid0(VALU_DEP_1)
	v_dual_sub_nc_u32 v14, 29, v14 :: v_dual_bitop2_b32 v2, 7, v16 bitop3:0x40
; %bb.2194:                             ;   in Loop: Header=BB4_1857 Depth=4
	s_or_b32 exec_lo, exec_lo, s76
	s_delay_alu instid0(VALU_DEP_1) | instskip(NEXT) | instid1(VALU_DEP_2)
	v_dual_lshlrev_b32 v16, 24, v95 :: v_dual_lshlrev_b32 v2, 20, v2
	v_lshl_add_u32 v14, v14, 23, 0x3c000000
	s_delay_alu instid0(VALU_DEP_2) | instskip(NEXT) | instid1(VALU_DEP_1)
	v_and_b32_e32 v16, 0x80000000, v16
	v_or3_b32 v14, v2, v16, v14
.LBB4_2195:                             ;   in Loop: Header=BB4_1857 Depth=4
	s_or_b32 exec_lo, exec_lo, s75
.LBB4_2196:                             ;   in Loop: Header=BB4_1857 Depth=4
	s_delay_alu instid0(SALU_CYCLE_1)
	s_or_b32 exec_lo, exec_lo, s74
.LBB4_2197:                             ;   in Loop: Header=BB4_1857 Depth=4
	s_delay_alu instid0(SALU_CYCLE_1) | instskip(NEXT) | instid1(VALU_DEP_1)
	s_or_b32 exec_lo, exec_lo, s13
	v_add_f32_e32 v14, v15, v14
                                        ; implicit-def: $vgpr95
	s_mov_b32 s13, exec_lo
	s_delay_alu instid0(VALU_DEP_1) | instskip(SKIP_1) | instid1(VALU_DEP_2)
	v_and_b32_e32 v2, 0x7f800000, v14
	v_lshrrev_b32_e32 v15, 24, v14
	v_cmpx_ne_u64_e32 0x7f800000, v[2:3]
	s_xor_b32 s74, exec_lo, s13
	s_cbranch_execz .LBB4_2215
; %bb.2198:                             ;   in Loop: Header=BB4_1857 Depth=4
	v_and_b32_e32 v2, 0x7fffffff, v14
	v_and_b32_e32 v26, 0x80, v15
                                        ; implicit-def: $vgpr95
	s_mov_b32 s13, exec_lo
	s_delay_alu instid0(VALU_DEP_2)
	v_cmpx_gt_u64_e32 0x43e00001, v[2:3]
	s_xor_b32 s75, exec_lo, s13
	s_cbranch_execz .LBB4_2212
; %bb.2199:                             ;   in Loop: Header=BB4_1857 Depth=4
	v_mov_b32_e32 v95, 0
	s_mov_b32 s76, exec_lo
	v_cmpx_ne_u32_e32 0, v14
	s_cbranch_execz .LBB4_2211
; %bb.2200:                             ;   in Loop: Header=BB4_1857 Depth=4
	v_bfe_u32 v24, v14, 23, 8
	s_delay_alu instid0(VALU_DEP_1) | instskip(SKIP_1) | instid1(VALU_DEP_2)
	v_sub_nc_u32_e32 v2, 0x79, v24
	v_cmp_gt_u32_e32 vcc_lo, 0x7a, v24
	v_cndmask_b32_e32 v2, 0, v2, vcc_lo
	v_cmp_eq_u32_e32 vcc_lo, 0, v24
	s_delay_alu instid0(VALU_DEP_2) | instskip(SKIP_1) | instid1(VALU_DEP_2)
	v_cndmask_b32_e64 v25, v2, 0x78, vcc_lo
	v_and_b32_e32 v2, 0x7fffff, v14
	v_add_nc_u32_e32 v14, 20, v25
	s_delay_alu instid0(VALU_DEP_2) | instskip(SKIP_1) | instid1(VALU_DEP_3)
	v_or_b32_e32 v16, 0x800000, v2
	v_add_nc_u32_e32 v17, 19, v25
	v_lshlrev_b64_e64 v[14:15], v14, -1
	s_delay_alu instid0(VALU_DEP_3) | instskip(NEXT) | instid1(VALU_DEP_3)
	v_cndmask_b32_e32 v2, v16, v2, vcc_lo
	v_lshlrev_b64_e64 v[16:17], v17, 1
	s_delay_alu instid0(VALU_DEP_3) | instskip(NEXT) | instid1(VALU_DEP_3)
	v_bfi_b32 v29, v15, 0, 0
	v_bfi_b32 v28, v14, 0, v2
	v_lshrrev_b64 v[14:15], v25, v[2:3]
	s_delay_alu instid0(VALU_DEP_2) | instskip(NEXT) | instid1(VALU_DEP_2)
	v_cmp_eq_u64_e64 s13, v[28:29], v[16:17]
	v_mov_b64_e32 v[16:17], v[14:15]
	s_and_saveexec_b32 s77, s13
; %bb.2201:                             ;   in Loop: Header=BB4_1857 Depth=4
	v_bfe_u32 v2, v14, 20, 1
	s_delay_alu instid0(VALU_DEP_1) | instskip(NEXT) | instid1(VALU_DEP_1)
	v_add_nc_u64_e32 v[16:17], v[14:15], v[2:3]
	v_add_nc_u64_e32 v[16:17], -1, v[16:17]
; %bb.2202:                             ;   in Loop: Header=BB4_1857 Depth=4
	s_or_b32 exec_lo, exec_lo, s77
	v_add_nc_u32_e32 v2, 0xffffff81, v24
	v_lshrrev_b32_e32 v15, 23, v14
	s_mov_b32 s13, exec_lo
	s_delay_alu instid0(VALU_DEP_2) | instskip(NEXT) | instid1(VALU_DEP_1)
	v_cndmask_b32_e64 v2, v2, 0xffffff82, vcc_lo
	v_add3_u32 v17, v25, v2, v15
	v_and_b32_e32 v2, 0xfffff, v16
                                        ; implicit-def: $vgpr16
	s_delay_alu instid0(VALU_DEP_1) | instskip(NEXT) | instid1(VALU_DEP_1)
	v_dual_add_nc_u32 v24, 6, v17 :: v_dual_add_nc_u32 v2, v2, v14
                                        ; implicit-def: $vgpr14_vgpr15
	v_cmpx_ne_u32_e32 0, v24
	s_xor_b32 s13, exec_lo, s13
; %bb.2203:                             ;   in Loop: Header=BB4_1857 Depth=4
	s_delay_alu instid0(VALU_DEP_2) | instskip(SKIP_1) | instid1(VALU_DEP_1)
	v_cmp_lt_u64_e32 vcc_lo, 0xffffff, v[2:3]
	v_add_nc_u32_e32 v14, 7, v17
	v_cndmask_b32_e32 v16, v24, v14, vcc_lo
	v_cndmask_b32_e64 v14, 0, 1, vcc_lo
	s_delay_alu instid0(VALU_DEP_1)
	v_lshrrev_b64 v[14:15], v14, v[2:3]
; %bb.2204:                             ;   in Loop: Header=BB4_1857 Depth=4
	s_and_not1_saveexec_b32 s13, s13
; %bb.2205:                             ;   in Loop: Header=BB4_1857 Depth=4
	v_mov_b64_e32 v[14:15], v[2:3]
	v_bfe_u32 v16, v2, 23, 1
; %bb.2206:                             ;   in Loop: Header=BB4_1857 Depth=4
	s_or_b32 exec_lo, exec_lo, s13
	s_delay_alu instid0(VALU_DEP_2) | instskip(NEXT) | instid1(VALU_DEP_2)
	v_lshrrev_b64 v[14:15], 20, v[14:15]
	v_cmp_gt_i32_e32 vcc_lo, 16, v16
	v_cmp_ne_u32_e64 s13, 0, v16
                                        ; implicit-def: $vgpr95
	s_delay_alu instid0(VALU_DEP_3) | instskip(NEXT) | instid1(VALU_DEP_1)
	v_dual_cndmask_b32 v15, 0, v15 :: v_dual_cndmask_b32 v14, 7, v14
	v_cmp_ne_u64_e32 vcc_lo, 0, v[14:15]
	s_or_b32 s13, s13, vcc_lo
	s_delay_alu instid0(SALU_CYCLE_1) | instskip(NEXT) | instid1(SALU_CYCLE_1)
	s_and_saveexec_b32 s77, s13
	s_xor_b32 s13, exec_lo, s77
; %bb.2207:                             ;   in Loop: Header=BB4_1857 Depth=4
	v_min_i32_e32 v2, 15, v16
	s_delay_alu instid0(VALU_DEP_1) | instskip(NEXT) | instid1(VALU_DEP_1)
	v_lshl_or_b32 v2, v2, 3, v26
                                        ; implicit-def: $vgpr26
	v_and_or_b32 v95, v14, 7, v2
; %bb.2208:                             ;   in Loop: Header=BB4_1857 Depth=4
	s_and_not1_saveexec_b32 s13, s13
; %bb.2209:                             ;   in Loop: Header=BB4_1857 Depth=4
	v_mov_b32_e32 v95, v26
; %bb.2210:                             ;   in Loop: Header=BB4_1857 Depth=4
	s_or_b32 exec_lo, exec_lo, s13
.LBB4_2211:                             ;   in Loop: Header=BB4_1857 Depth=4
	s_delay_alu instid0(SALU_CYCLE_1)
	s_or_b32 exec_lo, exec_lo, s76
                                        ; implicit-def: $vgpr26
.LBB4_2212:                             ;   in Loop: Header=BB4_1857 Depth=4
	s_and_not1_saveexec_b32 s13, s75
; %bb.2213:                             ;   in Loop: Header=BB4_1857 Depth=4
	v_or_b32_e32 v95, 0x7e, v26
; %bb.2214:                             ;   in Loop: Header=BB4_1857 Depth=4
	s_or_b32 exec_lo, exec_lo, s13
                                        ; implicit-def: $vgpr15
.LBB4_2215:                             ;   in Loop: Header=BB4_1857 Depth=4
	s_and_not1_saveexec_b32 s13, s74
; %bb.2216:                             ;   in Loop: Header=BB4_1857 Depth=4
	v_or_b32_e32 v95, 0x7f, v15
; %bb.2217:                             ;   in Loop: Header=BB4_1857 Depth=4
	s_or_b32 exec_lo, exec_lo, s13
	v_and_b32_e32 v2, 0xff, v78
	v_dual_mov_b32 v14, 0 :: v_dual_mov_b32 v15, 0
	s_mov_b32 s13, exec_lo
	s_delay_alu instid0(VALU_DEP_2)
	v_cmpx_ne_u16_e32 0, v2
	s_cbranch_execz .LBB4_2225
; %bb.2218:                             ;   in Loop: Header=BB4_1857 Depth=4
	v_bfrev_b32_e32 v15, 1
	s_mov_b32 s74, exec_lo
	v_cmpx_ne_u16_e32 0x80, v2
	s_cbranch_execz .LBB4_2224
; %bb.2219:                             ;   in Loop: Header=BB4_1857 Depth=4
	v_and_b32_e32 v16, 0x7f, v78
	v_mov_b32_e32 v15, 0x7f800001
	s_mov_b32 s75, exec_lo
	s_delay_alu instid0(VALU_DEP_2)
	v_cmpx_ne_u32_e32 0x7f, v16
	s_cbranch_execz .LBB4_2223
; %bb.2220:                             ;   in Loop: Header=BB4_1857 Depth=4
	v_dual_lshrrev_b32 v15, 3, v16 :: v_dual_bitop2_b32 v2, 7, v2 bitop3:0x40
	s_mov_b32 s76, exec_lo
	v_cmpx_gt_u32_e32 8, v16
; %bb.2221:                             ;   in Loop: Header=BB4_1857 Depth=4
	s_delay_alu instid0(VALU_DEP_2) | instskip(NEXT) | instid1(VALU_DEP_1)
	v_clz_i32_u32_e32 v15, v2
	v_min_u32_e32 v15, 32, v15
	s_delay_alu instid0(VALU_DEP_1) | instskip(NEXT) | instid1(VALU_DEP_1)
	v_subrev_nc_u32_e32 v16, 28, v15
	v_lshlrev_b64_e32 v[16:17], v16, v[2:3]
	s_delay_alu instid0(VALU_DEP_1)
	v_dual_sub_nc_u32 v15, 29, v15 :: v_dual_bitop2_b32 v2, 7, v16 bitop3:0x40
; %bb.2222:                             ;   in Loop: Header=BB4_1857 Depth=4
	s_or_b32 exec_lo, exec_lo, s76
	v_lshlrev_b32_e32 v16, 24, v78
	s_delay_alu instid0(VALU_DEP_2) | instskip(NEXT) | instid1(VALU_DEP_3)
	v_lshlrev_b32_e32 v2, 20, v2
	v_lshl_add_u32 v15, v15, 23, 0x3c000000
	s_delay_alu instid0(VALU_DEP_3) | instskip(NEXT) | instid1(VALU_DEP_1)
	v_and_b32_e32 v16, 0x80000000, v16
	v_or3_b32 v15, v2, v16, v15
.LBB4_2223:                             ;   in Loop: Header=BB4_1857 Depth=4
	s_or_b32 exec_lo, exec_lo, s75
.LBB4_2224:                             ;   in Loop: Header=BB4_1857 Depth=4
	s_delay_alu instid0(SALU_CYCLE_1)
	s_or_b32 exec_lo, exec_lo, s74
.LBB4_2225:                             ;   in Loop: Header=BB4_1857 Depth=4
	s_delay_alu instid0(SALU_CYCLE_1) | instskip(SKIP_3) | instid1(VALU_DEP_1)
	s_or_b32 exec_lo, exec_lo, s13
	s_wait_loadcnt_dscnt 0x505
	v_and_b32_e32 v2, 0xff, v77
	s_mov_b32 s13, exec_lo
	v_cmpx_ne_u16_e32 0, v2
	s_cbranch_execz .LBB4_2233
; %bb.2226:                             ;   in Loop: Header=BB4_1857 Depth=4
	v_bfrev_b32_e32 v14, 1
	s_mov_b32 s74, exec_lo
	v_cmpx_ne_u16_e32 0x80, v2
	s_cbranch_execz .LBB4_2232
; %bb.2227:                             ;   in Loop: Header=BB4_1857 Depth=4
	v_and_b32_e32 v16, 0x7f, v77
	v_mov_b32_e32 v14, 0x7f800001
	s_mov_b32 s75, exec_lo
	s_delay_alu instid0(VALU_DEP_2)
	v_cmpx_ne_u32_e32 0x7f, v16
	s_cbranch_execz .LBB4_2231
; %bb.2228:                             ;   in Loop: Header=BB4_1857 Depth=4
	v_dual_lshrrev_b32 v14, 3, v16 :: v_dual_bitop2_b32 v2, 7, v2 bitop3:0x40
	s_mov_b32 s76, exec_lo
	v_cmpx_gt_u32_e32 8, v16
; %bb.2229:                             ;   in Loop: Header=BB4_1857 Depth=4
	s_delay_alu instid0(VALU_DEP_2) | instskip(NEXT) | instid1(VALU_DEP_1)
	v_clz_i32_u32_e32 v14, v2
	v_min_u32_e32 v14, 32, v14
	s_delay_alu instid0(VALU_DEP_1) | instskip(NEXT) | instid1(VALU_DEP_1)
	v_subrev_nc_u32_e32 v16, 28, v14
	v_lshlrev_b64_e32 v[16:17], v16, v[2:3]
	s_delay_alu instid0(VALU_DEP_1)
	v_dual_sub_nc_u32 v14, 29, v14 :: v_dual_bitop2_b32 v2, 7, v16 bitop3:0x40
; %bb.2230:                             ;   in Loop: Header=BB4_1857 Depth=4
	s_or_b32 exec_lo, exec_lo, s76
	s_delay_alu instid0(VALU_DEP_1) | instskip(NEXT) | instid1(VALU_DEP_2)
	v_dual_lshlrev_b32 v16, 24, v77 :: v_dual_lshlrev_b32 v2, 20, v2
	v_lshl_add_u32 v14, v14, 23, 0x3c000000
	s_delay_alu instid0(VALU_DEP_2) | instskip(NEXT) | instid1(VALU_DEP_1)
	v_and_b32_e32 v16, 0x80000000, v16
	v_or3_b32 v14, v2, v16, v14
.LBB4_2231:                             ;   in Loop: Header=BB4_1857 Depth=4
	s_or_b32 exec_lo, exec_lo, s75
.LBB4_2232:                             ;   in Loop: Header=BB4_1857 Depth=4
	s_delay_alu instid0(SALU_CYCLE_1)
	s_or_b32 exec_lo, exec_lo, s74
.LBB4_2233:                             ;   in Loop: Header=BB4_1857 Depth=4
	s_delay_alu instid0(SALU_CYCLE_1) | instskip(NEXT) | instid1(VALU_DEP_1)
	s_or_b32 exec_lo, exec_lo, s13
	v_add_f32_e32 v14, v15, v14
                                        ; implicit-def: $vgpr26
	s_mov_b32 s13, exec_lo
	s_delay_alu instid0(VALU_DEP_1) | instskip(SKIP_1) | instid1(VALU_DEP_2)
	v_and_b32_e32 v2, 0x7f800000, v14
	v_lshrrev_b32_e32 v15, 24, v14
	v_cmpx_ne_u64_e32 0x7f800000, v[2:3]
	s_xor_b32 s74, exec_lo, s13
	s_cbranch_execz .LBB4_2251
; %bb.2234:                             ;   in Loop: Header=BB4_1857 Depth=4
	v_and_b32_e32 v2, 0x7fffffff, v14
	v_and_b32_e32 v27, 0x80, v15
                                        ; implicit-def: $vgpr26
	s_mov_b32 s13, exec_lo
	s_delay_alu instid0(VALU_DEP_2)
	v_cmpx_gt_u64_e32 0x43e00001, v[2:3]
	s_xor_b32 s75, exec_lo, s13
	s_cbranch_execz .LBB4_2248
; %bb.2235:                             ;   in Loop: Header=BB4_1857 Depth=4
	v_mov_b32_e32 v26, 0
	s_mov_b32 s76, exec_lo
	v_cmpx_ne_u32_e32 0, v14
	s_cbranch_execz .LBB4_2247
; %bb.2236:                             ;   in Loop: Header=BB4_1857 Depth=4
	v_bfe_u32 v24, v14, 23, 8
	s_delay_alu instid0(VALU_DEP_1) | instskip(SKIP_1) | instid1(VALU_DEP_2)
	v_sub_nc_u32_e32 v2, 0x79, v24
	v_cmp_gt_u32_e32 vcc_lo, 0x7a, v24
	v_cndmask_b32_e32 v2, 0, v2, vcc_lo
	v_cmp_eq_u32_e32 vcc_lo, 0, v24
	s_delay_alu instid0(VALU_DEP_2) | instskip(SKIP_1) | instid1(VALU_DEP_2)
	v_cndmask_b32_e64 v25, v2, 0x78, vcc_lo
	v_and_b32_e32 v2, 0x7fffff, v14
	v_add_nc_u32_e32 v14, 20, v25
	s_delay_alu instid0(VALU_DEP_2) | instskip(SKIP_1) | instid1(VALU_DEP_3)
	v_or_b32_e32 v16, 0x800000, v2
	v_add_nc_u32_e32 v17, 19, v25
	v_lshlrev_b64_e64 v[14:15], v14, -1
	s_delay_alu instid0(VALU_DEP_3) | instskip(NEXT) | instid1(VALU_DEP_3)
	v_cndmask_b32_e32 v2, v16, v2, vcc_lo
	v_lshlrev_b64_e64 v[16:17], v17, 1
	s_delay_alu instid0(VALU_DEP_3) | instskip(NEXT) | instid1(VALU_DEP_3)
	v_bfi_b32 v29, v15, 0, 0
	v_bfi_b32 v28, v14, 0, v2
	v_lshrrev_b64 v[14:15], v25, v[2:3]
	s_delay_alu instid0(VALU_DEP_2) | instskip(NEXT) | instid1(VALU_DEP_2)
	v_cmp_eq_u64_e64 s13, v[28:29], v[16:17]
	v_mov_b64_e32 v[16:17], v[14:15]
	s_and_saveexec_b32 s77, s13
; %bb.2237:                             ;   in Loop: Header=BB4_1857 Depth=4
	v_bfe_u32 v2, v14, 20, 1
	s_delay_alu instid0(VALU_DEP_1) | instskip(NEXT) | instid1(VALU_DEP_1)
	v_add_nc_u64_e32 v[16:17], v[14:15], v[2:3]
	v_add_nc_u64_e32 v[16:17], -1, v[16:17]
; %bb.2238:                             ;   in Loop: Header=BB4_1857 Depth=4
	s_or_b32 exec_lo, exec_lo, s77
	v_add_nc_u32_e32 v2, 0xffffff81, v24
	v_lshrrev_b32_e32 v15, 23, v14
	s_mov_b32 s13, exec_lo
	s_delay_alu instid0(VALU_DEP_2) | instskip(NEXT) | instid1(VALU_DEP_1)
	v_cndmask_b32_e64 v2, v2, 0xffffff82, vcc_lo
	v_add3_u32 v17, v25, v2, v15
	v_and_b32_e32 v2, 0xfffff, v16
                                        ; implicit-def: $vgpr16
	s_delay_alu instid0(VALU_DEP_1) | instskip(NEXT) | instid1(VALU_DEP_1)
	v_dual_add_nc_u32 v24, 6, v17 :: v_dual_add_nc_u32 v2, v2, v14
                                        ; implicit-def: $vgpr14_vgpr15
	v_cmpx_ne_u32_e32 0, v24
	s_xor_b32 s13, exec_lo, s13
; %bb.2239:                             ;   in Loop: Header=BB4_1857 Depth=4
	s_delay_alu instid0(VALU_DEP_2) | instskip(SKIP_1) | instid1(VALU_DEP_1)
	v_cmp_lt_u64_e32 vcc_lo, 0xffffff, v[2:3]
	v_add_nc_u32_e32 v14, 7, v17
	v_cndmask_b32_e32 v16, v24, v14, vcc_lo
	v_cndmask_b32_e64 v14, 0, 1, vcc_lo
	s_delay_alu instid0(VALU_DEP_1)
	v_lshrrev_b64 v[14:15], v14, v[2:3]
; %bb.2240:                             ;   in Loop: Header=BB4_1857 Depth=4
	s_and_not1_saveexec_b32 s13, s13
; %bb.2241:                             ;   in Loop: Header=BB4_1857 Depth=4
	v_mov_b64_e32 v[14:15], v[2:3]
	v_bfe_u32 v16, v2, 23, 1
; %bb.2242:                             ;   in Loop: Header=BB4_1857 Depth=4
	s_or_b32 exec_lo, exec_lo, s13
	s_delay_alu instid0(VALU_DEP_2) | instskip(NEXT) | instid1(VALU_DEP_2)
	v_lshrrev_b64 v[14:15], 20, v[14:15]
	v_cmp_gt_i32_e32 vcc_lo, 16, v16
	v_cmp_ne_u32_e64 s13, 0, v16
                                        ; implicit-def: $vgpr26
	s_delay_alu instid0(VALU_DEP_3) | instskip(NEXT) | instid1(VALU_DEP_1)
	v_dual_cndmask_b32 v15, 0, v15 :: v_dual_cndmask_b32 v14, 7, v14
	v_cmp_ne_u64_e32 vcc_lo, 0, v[14:15]
	s_or_b32 s13, s13, vcc_lo
	s_delay_alu instid0(SALU_CYCLE_1) | instskip(NEXT) | instid1(SALU_CYCLE_1)
	s_and_saveexec_b32 s77, s13
	s_xor_b32 s13, exec_lo, s77
; %bb.2243:                             ;   in Loop: Header=BB4_1857 Depth=4
	v_min_i32_e32 v2, 15, v16
	s_delay_alu instid0(VALU_DEP_1) | instskip(NEXT) | instid1(VALU_DEP_1)
	v_lshl_or_b32 v2, v2, 3, v27
                                        ; implicit-def: $vgpr27
	v_and_or_b32 v26, v14, 7, v2
; %bb.2244:                             ;   in Loop: Header=BB4_1857 Depth=4
	s_and_not1_saveexec_b32 s13, s13
; %bb.2245:                             ;   in Loop: Header=BB4_1857 Depth=4
	v_mov_b32_e32 v26, v27
; %bb.2246:                             ;   in Loop: Header=BB4_1857 Depth=4
	s_or_b32 exec_lo, exec_lo, s13
.LBB4_2247:                             ;   in Loop: Header=BB4_1857 Depth=4
	s_delay_alu instid0(SALU_CYCLE_1)
	s_or_b32 exec_lo, exec_lo, s76
                                        ; implicit-def: $vgpr27
.LBB4_2248:                             ;   in Loop: Header=BB4_1857 Depth=4
	s_and_not1_saveexec_b32 s13, s75
; %bb.2249:                             ;   in Loop: Header=BB4_1857 Depth=4
	v_or_b32_e32 v26, 0x7e, v27
; %bb.2250:                             ;   in Loop: Header=BB4_1857 Depth=4
	s_or_b32 exec_lo, exec_lo, s13
                                        ; implicit-def: $vgpr15
.LBB4_2251:                             ;   in Loop: Header=BB4_1857 Depth=4
	s_and_not1_saveexec_b32 s13, s74
; %bb.2252:                             ;   in Loop: Header=BB4_1857 Depth=4
	v_or_b32_e32 v26, 0x7f, v15
; %bb.2253:                             ;   in Loop: Header=BB4_1857 Depth=4
	s_or_b32 exec_lo, exec_lo, s13
	v_and_b32_e32 v2, 0xff, v74
	v_dual_mov_b32 v14, 0 :: v_dual_mov_b32 v15, 0
	s_mov_b32 s13, exec_lo
	s_delay_alu instid0(VALU_DEP_2)
	v_cmpx_ne_u16_e32 0, v2
	s_cbranch_execz .LBB4_2261
; %bb.2254:                             ;   in Loop: Header=BB4_1857 Depth=4
	v_bfrev_b32_e32 v15, 1
	s_mov_b32 s74, exec_lo
	v_cmpx_ne_u16_e32 0x80, v2
	s_cbranch_execz .LBB4_2260
; %bb.2255:                             ;   in Loop: Header=BB4_1857 Depth=4
	v_and_b32_e32 v16, 0x7f, v74
	v_mov_b32_e32 v15, 0x7f800001
	s_mov_b32 s75, exec_lo
	s_delay_alu instid0(VALU_DEP_2)
	v_cmpx_ne_u32_e32 0x7f, v16
	s_cbranch_execz .LBB4_2259
; %bb.2256:                             ;   in Loop: Header=BB4_1857 Depth=4
	v_dual_lshrrev_b32 v15, 3, v16 :: v_dual_bitop2_b32 v2, 7, v2 bitop3:0x40
	s_mov_b32 s76, exec_lo
	v_cmpx_gt_u32_e32 8, v16
; %bb.2257:                             ;   in Loop: Header=BB4_1857 Depth=4
	s_delay_alu instid0(VALU_DEP_2) | instskip(NEXT) | instid1(VALU_DEP_1)
	v_clz_i32_u32_e32 v15, v2
	v_min_u32_e32 v15, 32, v15
	s_delay_alu instid0(VALU_DEP_1) | instskip(NEXT) | instid1(VALU_DEP_1)
	v_subrev_nc_u32_e32 v16, 28, v15
	v_lshlrev_b64_e32 v[16:17], v16, v[2:3]
	s_delay_alu instid0(VALU_DEP_1)
	v_dual_sub_nc_u32 v15, 29, v15 :: v_dual_bitop2_b32 v2, 7, v16 bitop3:0x40
; %bb.2258:                             ;   in Loop: Header=BB4_1857 Depth=4
	s_or_b32 exec_lo, exec_lo, s76
	v_lshlrev_b32_e32 v16, 24, v74
	s_delay_alu instid0(VALU_DEP_2) | instskip(NEXT) | instid1(VALU_DEP_3)
	v_lshlrev_b32_e32 v2, 20, v2
	v_lshl_add_u32 v15, v15, 23, 0x3c000000
	s_delay_alu instid0(VALU_DEP_3) | instskip(NEXT) | instid1(VALU_DEP_1)
	v_and_b32_e32 v16, 0x80000000, v16
	v_or3_b32 v15, v2, v16, v15
.LBB4_2259:                             ;   in Loop: Header=BB4_1857 Depth=4
	s_or_b32 exec_lo, exec_lo, s75
.LBB4_2260:                             ;   in Loop: Header=BB4_1857 Depth=4
	s_delay_alu instid0(SALU_CYCLE_1)
	s_or_b32 exec_lo, exec_lo, s74
.LBB4_2261:                             ;   in Loop: Header=BB4_1857 Depth=4
	s_delay_alu instid0(SALU_CYCLE_1) | instskip(SKIP_3) | instid1(VALU_DEP_1)
	s_or_b32 exec_lo, exec_lo, s13
	s_wait_loadcnt_dscnt 0x404
	v_and_b32_e32 v2, 0xff, v73
	s_mov_b32 s13, exec_lo
	v_cmpx_ne_u16_e32 0, v2
	s_cbranch_execz .LBB4_2269
; %bb.2262:                             ;   in Loop: Header=BB4_1857 Depth=4
	v_bfrev_b32_e32 v14, 1
	s_mov_b32 s74, exec_lo
	v_cmpx_ne_u16_e32 0x80, v2
	s_cbranch_execz .LBB4_2268
; %bb.2263:                             ;   in Loop: Header=BB4_1857 Depth=4
	v_and_b32_e32 v16, 0x7f, v73
	v_mov_b32_e32 v14, 0x7f800001
	s_mov_b32 s75, exec_lo
	s_delay_alu instid0(VALU_DEP_2)
	v_cmpx_ne_u32_e32 0x7f, v16
	s_cbranch_execz .LBB4_2267
; %bb.2264:                             ;   in Loop: Header=BB4_1857 Depth=4
	v_dual_lshrrev_b32 v14, 3, v16 :: v_dual_bitop2_b32 v2, 7, v2 bitop3:0x40
	s_mov_b32 s76, exec_lo
	v_cmpx_gt_u32_e32 8, v16
; %bb.2265:                             ;   in Loop: Header=BB4_1857 Depth=4
	s_delay_alu instid0(VALU_DEP_2) | instskip(NEXT) | instid1(VALU_DEP_1)
	v_clz_i32_u32_e32 v14, v2
	v_min_u32_e32 v14, 32, v14
	s_delay_alu instid0(VALU_DEP_1) | instskip(NEXT) | instid1(VALU_DEP_1)
	v_subrev_nc_u32_e32 v16, 28, v14
	v_lshlrev_b64_e32 v[16:17], v16, v[2:3]
	s_delay_alu instid0(VALU_DEP_1)
	v_dual_sub_nc_u32 v14, 29, v14 :: v_dual_bitop2_b32 v2, 7, v16 bitop3:0x40
; %bb.2266:                             ;   in Loop: Header=BB4_1857 Depth=4
	s_or_b32 exec_lo, exec_lo, s76
	s_delay_alu instid0(VALU_DEP_1) | instskip(NEXT) | instid1(VALU_DEP_2)
	v_dual_lshlrev_b32 v16, 24, v73 :: v_dual_lshlrev_b32 v2, 20, v2
	v_lshl_add_u32 v14, v14, 23, 0x3c000000
	s_delay_alu instid0(VALU_DEP_2) | instskip(NEXT) | instid1(VALU_DEP_1)
	v_and_b32_e32 v16, 0x80000000, v16
	v_or3_b32 v14, v2, v16, v14
.LBB4_2267:                             ;   in Loop: Header=BB4_1857 Depth=4
	s_or_b32 exec_lo, exec_lo, s75
.LBB4_2268:                             ;   in Loop: Header=BB4_1857 Depth=4
	s_delay_alu instid0(SALU_CYCLE_1)
	s_or_b32 exec_lo, exec_lo, s74
.LBB4_2269:                             ;   in Loop: Header=BB4_1857 Depth=4
	s_delay_alu instid0(SALU_CYCLE_1) | instskip(NEXT) | instid1(VALU_DEP_1)
	s_or_b32 exec_lo, exec_lo, s13
	v_add_f32_e32 v14, v15, v14
                                        ; implicit-def: $vgpr27
	s_mov_b32 s13, exec_lo
	s_delay_alu instid0(VALU_DEP_1) | instskip(SKIP_1) | instid1(VALU_DEP_2)
	v_and_b32_e32 v2, 0x7f800000, v14
	v_lshrrev_b32_e32 v15, 24, v14
	v_cmpx_ne_u64_e32 0x7f800000, v[2:3]
	s_xor_b32 s74, exec_lo, s13
	s_cbranch_execz .LBB4_2287
; %bb.2270:                             ;   in Loop: Header=BB4_1857 Depth=4
	v_and_b32_e32 v2, 0x7fffffff, v14
	v_and_b32_e32 v28, 0x80, v15
                                        ; implicit-def: $vgpr27
	s_mov_b32 s13, exec_lo
	s_delay_alu instid0(VALU_DEP_2)
	v_cmpx_gt_u64_e32 0x43e00001, v[2:3]
	s_xor_b32 s75, exec_lo, s13
	s_cbranch_execz .LBB4_2284
; %bb.2271:                             ;   in Loop: Header=BB4_1857 Depth=4
	v_mov_b32_e32 v27, 0
	s_mov_b32 s76, exec_lo
	v_cmpx_ne_u32_e32 0, v14
	s_cbranch_execz .LBB4_2283
; %bb.2272:                             ;   in Loop: Header=BB4_1857 Depth=4
	v_bfe_u32 v24, v14, 23, 8
	s_delay_alu instid0(VALU_DEP_1) | instskip(SKIP_1) | instid1(VALU_DEP_2)
	v_sub_nc_u32_e32 v2, 0x79, v24
	v_cmp_gt_u32_e32 vcc_lo, 0x7a, v24
	v_cndmask_b32_e32 v2, 0, v2, vcc_lo
	v_cmp_eq_u32_e32 vcc_lo, 0, v24
	s_delay_alu instid0(VALU_DEP_2) | instskip(SKIP_1) | instid1(VALU_DEP_2)
	v_cndmask_b32_e64 v25, v2, 0x78, vcc_lo
	v_and_b32_e32 v2, 0x7fffff, v14
	v_add_nc_u32_e32 v14, 20, v25
	s_delay_alu instid0(VALU_DEP_2) | instskip(SKIP_1) | instid1(VALU_DEP_3)
	v_or_b32_e32 v16, 0x800000, v2
	v_add_nc_u32_e32 v17, 19, v25
	v_lshlrev_b64_e64 v[14:15], v14, -1
	s_delay_alu instid0(VALU_DEP_3) | instskip(NEXT) | instid1(VALU_DEP_3)
	v_cndmask_b32_e32 v2, v16, v2, vcc_lo
	v_lshlrev_b64_e64 v[16:17], v17, 1
	s_delay_alu instid0(VALU_DEP_3) | instskip(NEXT) | instid1(VALU_DEP_3)
	v_bfi_b32 v69, v15, 0, 0
	v_bfi_b32 v68, v14, 0, v2
	v_lshrrev_b64 v[14:15], v25, v[2:3]
	s_delay_alu instid0(VALU_DEP_2) | instskip(NEXT) | instid1(VALU_DEP_2)
	v_cmp_eq_u64_e64 s13, v[68:69], v[16:17]
	v_mov_b64_e32 v[16:17], v[14:15]
	s_and_saveexec_b32 s77, s13
; %bb.2273:                             ;   in Loop: Header=BB4_1857 Depth=4
	v_bfe_u32 v2, v14, 20, 1
	s_delay_alu instid0(VALU_DEP_1) | instskip(NEXT) | instid1(VALU_DEP_1)
	v_add_nc_u64_e32 v[16:17], v[14:15], v[2:3]
	v_add_nc_u64_e32 v[16:17], -1, v[16:17]
; %bb.2274:                             ;   in Loop: Header=BB4_1857 Depth=4
	s_or_b32 exec_lo, exec_lo, s77
	v_add_nc_u32_e32 v2, 0xffffff81, v24
	v_lshrrev_b32_e32 v15, 23, v14
	s_mov_b32 s13, exec_lo
	s_delay_alu instid0(VALU_DEP_2) | instskip(NEXT) | instid1(VALU_DEP_1)
	v_cndmask_b32_e64 v2, v2, 0xffffff82, vcc_lo
	v_add3_u32 v17, v25, v2, v15
	v_and_b32_e32 v2, 0xfffff, v16
                                        ; implicit-def: $vgpr16
	s_delay_alu instid0(VALU_DEP_1) | instskip(NEXT) | instid1(VALU_DEP_1)
	v_dual_add_nc_u32 v24, 6, v17 :: v_dual_add_nc_u32 v2, v2, v14
                                        ; implicit-def: $vgpr14_vgpr15
	v_cmpx_ne_u32_e32 0, v24
	s_xor_b32 s13, exec_lo, s13
; %bb.2275:                             ;   in Loop: Header=BB4_1857 Depth=4
	s_delay_alu instid0(VALU_DEP_2) | instskip(SKIP_1) | instid1(VALU_DEP_1)
	v_cmp_lt_u64_e32 vcc_lo, 0xffffff, v[2:3]
	v_add_nc_u32_e32 v14, 7, v17
	v_cndmask_b32_e32 v16, v24, v14, vcc_lo
	v_cndmask_b32_e64 v14, 0, 1, vcc_lo
	s_delay_alu instid0(VALU_DEP_1)
	v_lshrrev_b64 v[14:15], v14, v[2:3]
; %bb.2276:                             ;   in Loop: Header=BB4_1857 Depth=4
	s_and_not1_saveexec_b32 s13, s13
; %bb.2277:                             ;   in Loop: Header=BB4_1857 Depth=4
	v_mov_b64_e32 v[14:15], v[2:3]
	v_bfe_u32 v16, v2, 23, 1
; %bb.2278:                             ;   in Loop: Header=BB4_1857 Depth=4
	s_or_b32 exec_lo, exec_lo, s13
	s_delay_alu instid0(VALU_DEP_2) | instskip(NEXT) | instid1(VALU_DEP_2)
	v_lshrrev_b64 v[14:15], 20, v[14:15]
	v_cmp_gt_i32_e32 vcc_lo, 16, v16
	v_cmp_ne_u32_e64 s13, 0, v16
                                        ; implicit-def: $vgpr27
	s_delay_alu instid0(VALU_DEP_3) | instskip(NEXT) | instid1(VALU_DEP_1)
	v_dual_cndmask_b32 v15, 0, v15 :: v_dual_cndmask_b32 v14, 7, v14
	v_cmp_ne_u64_e32 vcc_lo, 0, v[14:15]
	s_or_b32 s13, s13, vcc_lo
	s_delay_alu instid0(SALU_CYCLE_1) | instskip(NEXT) | instid1(SALU_CYCLE_1)
	s_and_saveexec_b32 s77, s13
	s_xor_b32 s13, exec_lo, s77
; %bb.2279:                             ;   in Loop: Header=BB4_1857 Depth=4
	v_min_i32_e32 v2, 15, v16
	s_delay_alu instid0(VALU_DEP_1) | instskip(NEXT) | instid1(VALU_DEP_1)
	v_lshl_or_b32 v2, v2, 3, v28
                                        ; implicit-def: $vgpr28
	v_and_or_b32 v27, v14, 7, v2
; %bb.2280:                             ;   in Loop: Header=BB4_1857 Depth=4
	s_and_not1_saveexec_b32 s13, s13
; %bb.2281:                             ;   in Loop: Header=BB4_1857 Depth=4
	v_mov_b32_e32 v27, v28
; %bb.2282:                             ;   in Loop: Header=BB4_1857 Depth=4
	s_or_b32 exec_lo, exec_lo, s13
.LBB4_2283:                             ;   in Loop: Header=BB4_1857 Depth=4
	s_delay_alu instid0(SALU_CYCLE_1)
	s_or_b32 exec_lo, exec_lo, s76
                                        ; implicit-def: $vgpr28
.LBB4_2284:                             ;   in Loop: Header=BB4_1857 Depth=4
	s_and_not1_saveexec_b32 s13, s75
; %bb.2285:                             ;   in Loop: Header=BB4_1857 Depth=4
	v_or_b32_e32 v27, 0x7e, v28
; %bb.2286:                             ;   in Loop: Header=BB4_1857 Depth=4
	s_or_b32 exec_lo, exec_lo, s13
                                        ; implicit-def: $vgpr15
.LBB4_2287:                             ;   in Loop: Header=BB4_1857 Depth=4
	s_and_not1_saveexec_b32 s13, s74
; %bb.2288:                             ;   in Loop: Header=BB4_1857 Depth=4
	v_or_b32_e32 v27, 0x7f, v15
; %bb.2289:                             ;   in Loop: Header=BB4_1857 Depth=4
	s_or_b32 exec_lo, exec_lo, s13
	v_and_b32_e32 v2, 0xff, v63
	v_dual_mov_b32 v14, 0 :: v_dual_mov_b32 v15, 0
	s_mov_b32 s13, exec_lo
	s_delay_alu instid0(VALU_DEP_2)
	v_cmpx_ne_u16_e32 0, v2
	s_cbranch_execz .LBB4_2297
; %bb.2290:                             ;   in Loop: Header=BB4_1857 Depth=4
	v_bfrev_b32_e32 v15, 1
	s_mov_b32 s74, exec_lo
	v_cmpx_ne_u16_e32 0x80, v2
	s_cbranch_execz .LBB4_2296
; %bb.2291:                             ;   in Loop: Header=BB4_1857 Depth=4
	v_and_b32_e32 v16, 0x7f, v63
	v_mov_b32_e32 v15, 0x7f800001
	s_mov_b32 s75, exec_lo
	s_delay_alu instid0(VALU_DEP_2)
	v_cmpx_ne_u32_e32 0x7f, v16
	s_cbranch_execz .LBB4_2295
; %bb.2292:                             ;   in Loop: Header=BB4_1857 Depth=4
	v_dual_lshrrev_b32 v15, 3, v16 :: v_dual_bitop2_b32 v2, 7, v2 bitop3:0x40
	s_mov_b32 s76, exec_lo
	v_cmpx_gt_u32_e32 8, v16
; %bb.2293:                             ;   in Loop: Header=BB4_1857 Depth=4
	s_delay_alu instid0(VALU_DEP_2) | instskip(NEXT) | instid1(VALU_DEP_1)
	v_clz_i32_u32_e32 v15, v2
	v_min_u32_e32 v15, 32, v15
	s_delay_alu instid0(VALU_DEP_1) | instskip(NEXT) | instid1(VALU_DEP_1)
	v_subrev_nc_u32_e32 v16, 28, v15
	v_lshlrev_b64_e32 v[16:17], v16, v[2:3]
	s_delay_alu instid0(VALU_DEP_1)
	v_dual_sub_nc_u32 v15, 29, v15 :: v_dual_bitop2_b32 v2, 7, v16 bitop3:0x40
; %bb.2294:                             ;   in Loop: Header=BB4_1857 Depth=4
	s_or_b32 exec_lo, exec_lo, s76
	s_delay_alu instid0(VALU_DEP_1) | instskip(NEXT) | instid1(VALU_DEP_2)
	v_dual_lshlrev_b32 v16, 24, v63 :: v_dual_lshlrev_b32 v2, 20, v2
	v_lshl_add_u32 v15, v15, 23, 0x3c000000
	s_delay_alu instid0(VALU_DEP_2) | instskip(NEXT) | instid1(VALU_DEP_1)
	v_and_b32_e32 v16, 0x80000000, v16
	v_or3_b32 v15, v2, v16, v15
.LBB4_2295:                             ;   in Loop: Header=BB4_1857 Depth=4
	s_or_b32 exec_lo, exec_lo, s75
.LBB4_2296:                             ;   in Loop: Header=BB4_1857 Depth=4
	s_delay_alu instid0(SALU_CYCLE_1)
	s_or_b32 exec_lo, exec_lo, s74
.LBB4_2297:                             ;   in Loop: Header=BB4_1857 Depth=4
	s_delay_alu instid0(SALU_CYCLE_1) | instskip(SKIP_3) | instid1(VALU_DEP_1)
	s_or_b32 exec_lo, exec_lo, s13
	s_wait_loadcnt_dscnt 0x303
	v_and_b32_e32 v2, 0xff, v62
	s_mov_b32 s13, exec_lo
	v_cmpx_ne_u16_e32 0, v2
	s_cbranch_execz .LBB4_2305
; %bb.2298:                             ;   in Loop: Header=BB4_1857 Depth=4
	v_bfrev_b32_e32 v14, 1
	s_mov_b32 s74, exec_lo
	v_cmpx_ne_u16_e32 0x80, v2
	s_cbranch_execz .LBB4_2304
; %bb.2299:                             ;   in Loop: Header=BB4_1857 Depth=4
	v_and_b32_e32 v16, 0x7f, v62
	v_mov_b32_e32 v14, 0x7f800001
	s_mov_b32 s75, exec_lo
	s_delay_alu instid0(VALU_DEP_2)
	v_cmpx_ne_u32_e32 0x7f, v16
	s_cbranch_execz .LBB4_2303
; %bb.2300:                             ;   in Loop: Header=BB4_1857 Depth=4
	v_dual_lshrrev_b32 v14, 3, v16 :: v_dual_bitop2_b32 v2, 7, v2 bitop3:0x40
	s_mov_b32 s76, exec_lo
	v_cmpx_gt_u32_e32 8, v16
; %bb.2301:                             ;   in Loop: Header=BB4_1857 Depth=4
	s_delay_alu instid0(VALU_DEP_2) | instskip(NEXT) | instid1(VALU_DEP_1)
	v_clz_i32_u32_e32 v14, v2
	v_min_u32_e32 v14, 32, v14
	s_delay_alu instid0(VALU_DEP_1) | instskip(NEXT) | instid1(VALU_DEP_1)
	v_subrev_nc_u32_e32 v16, 28, v14
	v_lshlrev_b64_e32 v[16:17], v16, v[2:3]
	s_delay_alu instid0(VALU_DEP_1)
	v_dual_sub_nc_u32 v14, 29, v14 :: v_dual_bitop2_b32 v2, 7, v16 bitop3:0x40
; %bb.2302:                             ;   in Loop: Header=BB4_1857 Depth=4
	s_or_b32 exec_lo, exec_lo, s76
	v_lshlrev_b32_e32 v16, 24, v62
	s_delay_alu instid0(VALU_DEP_2) | instskip(NEXT) | instid1(VALU_DEP_3)
	v_lshlrev_b32_e32 v2, 20, v2
	v_lshl_add_u32 v14, v14, 23, 0x3c000000
	s_delay_alu instid0(VALU_DEP_3) | instskip(NEXT) | instid1(VALU_DEP_1)
	v_and_b32_e32 v16, 0x80000000, v16
	v_or3_b32 v14, v2, v16, v14
.LBB4_2303:                             ;   in Loop: Header=BB4_1857 Depth=4
	s_or_b32 exec_lo, exec_lo, s75
.LBB4_2304:                             ;   in Loop: Header=BB4_1857 Depth=4
	s_delay_alu instid0(SALU_CYCLE_1)
	s_or_b32 exec_lo, exec_lo, s74
.LBB4_2305:                             ;   in Loop: Header=BB4_1857 Depth=4
	s_delay_alu instid0(SALU_CYCLE_1) | instskip(NEXT) | instid1(VALU_DEP_1)
	s_or_b32 exec_lo, exec_lo, s13
	v_add_f32_e32 v14, v15, v14
                                        ; implicit-def: $vgpr62
	s_mov_b32 s13, exec_lo
	s_delay_alu instid0(VALU_DEP_1) | instskip(SKIP_1) | instid1(VALU_DEP_2)
	v_and_b32_e32 v2, 0x7f800000, v14
	v_lshrrev_b32_e32 v15, 24, v14
	v_cmpx_ne_u64_e32 0x7f800000, v[2:3]
	s_xor_b32 s74, exec_lo, s13
	s_cbranch_execz .LBB4_2323
; %bb.2306:                             ;   in Loop: Header=BB4_1857 Depth=4
	v_and_b32_e32 v2, 0x7fffffff, v14
	v_and_b32_e32 v28, 0x80, v15
                                        ; implicit-def: $vgpr62
	s_mov_b32 s13, exec_lo
	s_delay_alu instid0(VALU_DEP_2)
	v_cmpx_gt_u64_e32 0x43e00001, v[2:3]
	s_xor_b32 s75, exec_lo, s13
	s_cbranch_execz .LBB4_2320
; %bb.2307:                             ;   in Loop: Header=BB4_1857 Depth=4
	v_mov_b32_e32 v62, 0
	s_mov_b32 s76, exec_lo
	v_cmpx_ne_u32_e32 0, v14
	s_cbranch_execz .LBB4_2319
; %bb.2308:                             ;   in Loop: Header=BB4_1857 Depth=4
	v_bfe_u32 v24, v14, 23, 8
	s_delay_alu instid0(VALU_DEP_1) | instskip(SKIP_1) | instid1(VALU_DEP_2)
	v_sub_nc_u32_e32 v2, 0x79, v24
	v_cmp_gt_u32_e32 vcc_lo, 0x7a, v24
	v_cndmask_b32_e32 v2, 0, v2, vcc_lo
	v_cmp_eq_u32_e32 vcc_lo, 0, v24
	s_delay_alu instid0(VALU_DEP_2) | instskip(SKIP_1) | instid1(VALU_DEP_2)
	v_cndmask_b32_e64 v25, v2, 0x78, vcc_lo
	v_and_b32_e32 v2, 0x7fffff, v14
	v_add_nc_u32_e32 v14, 20, v25
	s_delay_alu instid0(VALU_DEP_2) | instskip(SKIP_1) | instid1(VALU_DEP_3)
	v_or_b32_e32 v16, 0x800000, v2
	v_add_nc_u32_e32 v17, 19, v25
	v_lshlrev_b64_e64 v[14:15], v14, -1
	s_delay_alu instid0(VALU_DEP_3) | instskip(NEXT) | instid1(VALU_DEP_3)
	v_cndmask_b32_e32 v2, v16, v2, vcc_lo
	v_lshlrev_b64_e64 v[16:17], v17, 1
	s_delay_alu instid0(VALU_DEP_3) | instskip(NEXT) | instid1(VALU_DEP_3)
	v_bfi_b32 v69, v15, 0, 0
	v_bfi_b32 v68, v14, 0, v2
	v_lshrrev_b64 v[14:15], v25, v[2:3]
	s_delay_alu instid0(VALU_DEP_2) | instskip(NEXT) | instid1(VALU_DEP_2)
	v_cmp_eq_u64_e64 s13, v[68:69], v[16:17]
	v_mov_b64_e32 v[16:17], v[14:15]
	s_and_saveexec_b32 s77, s13
; %bb.2309:                             ;   in Loop: Header=BB4_1857 Depth=4
	v_bfe_u32 v2, v14, 20, 1
	s_delay_alu instid0(VALU_DEP_1) | instskip(NEXT) | instid1(VALU_DEP_1)
	v_add_nc_u64_e32 v[16:17], v[14:15], v[2:3]
	v_add_nc_u64_e32 v[16:17], -1, v[16:17]
; %bb.2310:                             ;   in Loop: Header=BB4_1857 Depth=4
	s_or_b32 exec_lo, exec_lo, s77
	v_add_nc_u32_e32 v2, 0xffffff81, v24
	v_lshrrev_b32_e32 v15, 23, v14
	s_mov_b32 s13, exec_lo
	s_delay_alu instid0(VALU_DEP_2) | instskip(NEXT) | instid1(VALU_DEP_1)
	v_cndmask_b32_e64 v2, v2, 0xffffff82, vcc_lo
	v_add3_u32 v17, v25, v2, v15
	v_and_b32_e32 v2, 0xfffff, v16
                                        ; implicit-def: $vgpr16
	s_delay_alu instid0(VALU_DEP_1) | instskip(NEXT) | instid1(VALU_DEP_1)
	v_dual_add_nc_u32 v24, 6, v17 :: v_dual_add_nc_u32 v2, v2, v14
                                        ; implicit-def: $vgpr14_vgpr15
	v_cmpx_ne_u32_e32 0, v24
	s_xor_b32 s13, exec_lo, s13
; %bb.2311:                             ;   in Loop: Header=BB4_1857 Depth=4
	s_delay_alu instid0(VALU_DEP_2) | instskip(SKIP_1) | instid1(VALU_DEP_1)
	v_cmp_lt_u64_e32 vcc_lo, 0xffffff, v[2:3]
	v_add_nc_u32_e32 v14, 7, v17
	v_cndmask_b32_e32 v16, v24, v14, vcc_lo
	v_cndmask_b32_e64 v14, 0, 1, vcc_lo
	s_delay_alu instid0(VALU_DEP_1)
	v_lshrrev_b64 v[14:15], v14, v[2:3]
; %bb.2312:                             ;   in Loop: Header=BB4_1857 Depth=4
	s_and_not1_saveexec_b32 s13, s13
; %bb.2313:                             ;   in Loop: Header=BB4_1857 Depth=4
	v_mov_b64_e32 v[14:15], v[2:3]
	v_bfe_u32 v16, v2, 23, 1
; %bb.2314:                             ;   in Loop: Header=BB4_1857 Depth=4
	s_or_b32 exec_lo, exec_lo, s13
	s_delay_alu instid0(VALU_DEP_2) | instskip(NEXT) | instid1(VALU_DEP_2)
	v_lshrrev_b64 v[14:15], 20, v[14:15]
	v_cmp_gt_i32_e32 vcc_lo, 16, v16
	v_cmp_ne_u32_e64 s13, 0, v16
                                        ; implicit-def: $vgpr62
	s_delay_alu instid0(VALU_DEP_3) | instskip(NEXT) | instid1(VALU_DEP_1)
	v_dual_cndmask_b32 v15, 0, v15 :: v_dual_cndmask_b32 v14, 7, v14
	v_cmp_ne_u64_e32 vcc_lo, 0, v[14:15]
	s_or_b32 s13, s13, vcc_lo
	s_delay_alu instid0(SALU_CYCLE_1) | instskip(NEXT) | instid1(SALU_CYCLE_1)
	s_and_saveexec_b32 s77, s13
	s_xor_b32 s13, exec_lo, s77
; %bb.2315:                             ;   in Loop: Header=BB4_1857 Depth=4
	v_min_i32_e32 v2, 15, v16
	s_delay_alu instid0(VALU_DEP_1) | instskip(NEXT) | instid1(VALU_DEP_1)
	v_lshl_or_b32 v2, v2, 3, v28
                                        ; implicit-def: $vgpr28
	v_and_or_b32 v62, v14, 7, v2
; %bb.2316:                             ;   in Loop: Header=BB4_1857 Depth=4
	s_and_not1_saveexec_b32 s13, s13
; %bb.2317:                             ;   in Loop: Header=BB4_1857 Depth=4
	v_mov_b32_e32 v62, v28
; %bb.2318:                             ;   in Loop: Header=BB4_1857 Depth=4
	s_or_b32 exec_lo, exec_lo, s13
.LBB4_2319:                             ;   in Loop: Header=BB4_1857 Depth=4
	s_delay_alu instid0(SALU_CYCLE_1)
	s_or_b32 exec_lo, exec_lo, s76
                                        ; implicit-def: $vgpr28
.LBB4_2320:                             ;   in Loop: Header=BB4_1857 Depth=4
	s_and_not1_saveexec_b32 s13, s75
; %bb.2321:                             ;   in Loop: Header=BB4_1857 Depth=4
	v_or_b32_e32 v62, 0x7e, v28
; %bb.2322:                             ;   in Loop: Header=BB4_1857 Depth=4
	s_or_b32 exec_lo, exec_lo, s13
                                        ; implicit-def: $vgpr15
.LBB4_2323:                             ;   in Loop: Header=BB4_1857 Depth=4
	s_and_not1_saveexec_b32 s13, s74
; %bb.2324:                             ;   in Loop: Header=BB4_1857 Depth=4
	v_or_b32_e32 v62, 0x7f, v15
; %bb.2325:                             ;   in Loop: Header=BB4_1857 Depth=4
	s_or_b32 exec_lo, exec_lo, s13
	v_and_b32_e32 v2, 0xff, v60
	v_dual_mov_b32 v14, 0 :: v_dual_mov_b32 v15, 0
	s_mov_b32 s13, exec_lo
	s_delay_alu instid0(VALU_DEP_2)
	v_cmpx_ne_u16_e32 0, v2
	s_cbranch_execz .LBB4_2333
; %bb.2326:                             ;   in Loop: Header=BB4_1857 Depth=4
	v_bfrev_b32_e32 v15, 1
	s_mov_b32 s74, exec_lo
	v_cmpx_ne_u16_e32 0x80, v2
	s_cbranch_execz .LBB4_2332
; %bb.2327:                             ;   in Loop: Header=BB4_1857 Depth=4
	v_and_b32_e32 v16, 0x7f, v60
	v_mov_b32_e32 v15, 0x7f800001
	s_mov_b32 s75, exec_lo
	s_delay_alu instid0(VALU_DEP_2)
	v_cmpx_ne_u32_e32 0x7f, v16
	s_cbranch_execz .LBB4_2331
; %bb.2328:                             ;   in Loop: Header=BB4_1857 Depth=4
	v_dual_lshrrev_b32 v15, 3, v16 :: v_dual_bitop2_b32 v2, 7, v2 bitop3:0x40
	s_mov_b32 s76, exec_lo
	v_cmpx_gt_u32_e32 8, v16
; %bb.2329:                             ;   in Loop: Header=BB4_1857 Depth=4
	s_delay_alu instid0(VALU_DEP_2) | instskip(NEXT) | instid1(VALU_DEP_1)
	v_clz_i32_u32_e32 v15, v2
	v_min_u32_e32 v15, 32, v15
	s_delay_alu instid0(VALU_DEP_1) | instskip(NEXT) | instid1(VALU_DEP_1)
	v_subrev_nc_u32_e32 v16, 28, v15
	v_lshlrev_b64_e32 v[16:17], v16, v[2:3]
	s_delay_alu instid0(VALU_DEP_1)
	v_dual_sub_nc_u32 v15, 29, v15 :: v_dual_bitop2_b32 v2, 7, v16 bitop3:0x40
; %bb.2330:                             ;   in Loop: Header=BB4_1857 Depth=4
	s_or_b32 exec_lo, exec_lo, s76
	s_delay_alu instid0(VALU_DEP_1) | instskip(NEXT) | instid1(VALU_DEP_2)
	v_dual_lshlrev_b32 v16, 24, v60 :: v_dual_lshlrev_b32 v2, 20, v2
	v_lshl_add_u32 v15, v15, 23, 0x3c000000
	s_delay_alu instid0(VALU_DEP_2) | instskip(NEXT) | instid1(VALU_DEP_1)
	v_and_b32_e32 v16, 0x80000000, v16
	v_or3_b32 v15, v2, v16, v15
.LBB4_2331:                             ;   in Loop: Header=BB4_1857 Depth=4
	s_or_b32 exec_lo, exec_lo, s75
.LBB4_2332:                             ;   in Loop: Header=BB4_1857 Depth=4
	s_delay_alu instid0(SALU_CYCLE_1)
	s_or_b32 exec_lo, exec_lo, s74
.LBB4_2333:                             ;   in Loop: Header=BB4_1857 Depth=4
	s_delay_alu instid0(SALU_CYCLE_1) | instskip(SKIP_3) | instid1(VALU_DEP_1)
	s_or_b32 exec_lo, exec_lo, s13
	s_wait_loadcnt_dscnt 0x202
	v_and_b32_e32 v2, 0xff, v59
	s_mov_b32 s13, exec_lo
	v_cmpx_ne_u16_e32 0, v2
	s_cbranch_execz .LBB4_2341
; %bb.2334:                             ;   in Loop: Header=BB4_1857 Depth=4
	v_bfrev_b32_e32 v14, 1
	s_mov_b32 s74, exec_lo
	v_cmpx_ne_u16_e32 0x80, v2
	s_cbranch_execz .LBB4_2340
; %bb.2335:                             ;   in Loop: Header=BB4_1857 Depth=4
	v_and_b32_e32 v16, 0x7f, v59
	v_mov_b32_e32 v14, 0x7f800001
	s_mov_b32 s75, exec_lo
	s_delay_alu instid0(VALU_DEP_2)
	v_cmpx_ne_u32_e32 0x7f, v16
	s_cbranch_execz .LBB4_2339
; %bb.2336:                             ;   in Loop: Header=BB4_1857 Depth=4
	v_dual_lshrrev_b32 v14, 3, v16 :: v_dual_bitop2_b32 v2, 7, v2 bitop3:0x40
	s_mov_b32 s76, exec_lo
	v_cmpx_gt_u32_e32 8, v16
; %bb.2337:                             ;   in Loop: Header=BB4_1857 Depth=4
	s_delay_alu instid0(VALU_DEP_2) | instskip(NEXT) | instid1(VALU_DEP_1)
	v_clz_i32_u32_e32 v14, v2
	v_min_u32_e32 v14, 32, v14
	s_delay_alu instid0(VALU_DEP_1) | instskip(NEXT) | instid1(VALU_DEP_1)
	v_subrev_nc_u32_e32 v16, 28, v14
	v_lshlrev_b64_e32 v[16:17], v16, v[2:3]
	s_delay_alu instid0(VALU_DEP_1)
	v_dual_sub_nc_u32 v14, 29, v14 :: v_dual_bitop2_b32 v2, 7, v16 bitop3:0x40
; %bb.2338:                             ;   in Loop: Header=BB4_1857 Depth=4
	s_or_b32 exec_lo, exec_lo, s76
	s_delay_alu instid0(VALU_DEP_1) | instskip(NEXT) | instid1(VALU_DEP_2)
	v_dual_lshlrev_b32 v16, 24, v59 :: v_dual_lshlrev_b32 v2, 20, v2
	v_lshl_add_u32 v14, v14, 23, 0x3c000000
	s_delay_alu instid0(VALU_DEP_2) | instskip(NEXT) | instid1(VALU_DEP_1)
	v_and_b32_e32 v16, 0x80000000, v16
	v_or3_b32 v14, v2, v16, v14
.LBB4_2339:                             ;   in Loop: Header=BB4_1857 Depth=4
	s_or_b32 exec_lo, exec_lo, s75
.LBB4_2340:                             ;   in Loop: Header=BB4_1857 Depth=4
	s_delay_alu instid0(SALU_CYCLE_1)
	s_or_b32 exec_lo, exec_lo, s74
.LBB4_2341:                             ;   in Loop: Header=BB4_1857 Depth=4
	s_delay_alu instid0(SALU_CYCLE_1) | instskip(NEXT) | instid1(VALU_DEP_1)
	s_or_b32 exec_lo, exec_lo, s13
	v_add_f32_e32 v14, v15, v14
                                        ; implicit-def: $vgpr28
	s_mov_b32 s13, exec_lo
	s_delay_alu instid0(VALU_DEP_1) | instskip(SKIP_1) | instid1(VALU_DEP_2)
	v_and_b32_e32 v2, 0x7f800000, v14
	v_lshrrev_b32_e32 v15, 24, v14
	v_cmpx_ne_u64_e32 0x7f800000, v[2:3]
	s_xor_b32 s74, exec_lo, s13
	s_cbranch_execz .LBB4_2359
; %bb.2342:                             ;   in Loop: Header=BB4_1857 Depth=4
	v_and_b32_e32 v2, 0x7fffffff, v14
	v_and_b32_e32 v29, 0x80, v15
                                        ; implicit-def: $vgpr28
	s_mov_b32 s13, exec_lo
	s_delay_alu instid0(VALU_DEP_2)
	v_cmpx_gt_u64_e32 0x43e00001, v[2:3]
	s_xor_b32 s75, exec_lo, s13
	s_cbranch_execz .LBB4_2356
; %bb.2343:                             ;   in Loop: Header=BB4_1857 Depth=4
	v_mov_b32_e32 v28, 0
	s_mov_b32 s76, exec_lo
	v_cmpx_ne_u32_e32 0, v14
	s_cbranch_execz .LBB4_2355
; %bb.2344:                             ;   in Loop: Header=BB4_1857 Depth=4
	v_bfe_u32 v24, v14, 23, 8
	s_delay_alu instid0(VALU_DEP_1) | instskip(SKIP_1) | instid1(VALU_DEP_2)
	v_sub_nc_u32_e32 v2, 0x79, v24
	v_cmp_gt_u32_e32 vcc_lo, 0x7a, v24
	v_cndmask_b32_e32 v2, 0, v2, vcc_lo
	v_cmp_eq_u32_e32 vcc_lo, 0, v24
	s_delay_alu instid0(VALU_DEP_2) | instskip(SKIP_1) | instid1(VALU_DEP_2)
	v_cndmask_b32_e64 v25, v2, 0x78, vcc_lo
	v_and_b32_e32 v2, 0x7fffff, v14
	v_add_nc_u32_e32 v14, 20, v25
	s_delay_alu instid0(VALU_DEP_2) | instskip(SKIP_1) | instid1(VALU_DEP_3)
	v_or_b32_e32 v16, 0x800000, v2
	v_add_nc_u32_e32 v17, 19, v25
	v_lshlrev_b64_e64 v[14:15], v14, -1
	s_delay_alu instid0(VALU_DEP_3) | instskip(NEXT) | instid1(VALU_DEP_3)
	v_cndmask_b32_e32 v2, v16, v2, vcc_lo
	v_lshlrev_b64_e64 v[16:17], v17, 1
	s_delay_alu instid0(VALU_DEP_3) | instskip(NEXT) | instid1(VALU_DEP_3)
	v_bfi_b32 v69, v15, 0, 0
	v_bfi_b32 v68, v14, 0, v2
	v_lshrrev_b64 v[14:15], v25, v[2:3]
	s_delay_alu instid0(VALU_DEP_2) | instskip(NEXT) | instid1(VALU_DEP_2)
	v_cmp_eq_u64_e64 s13, v[68:69], v[16:17]
	v_mov_b64_e32 v[16:17], v[14:15]
	s_and_saveexec_b32 s77, s13
; %bb.2345:                             ;   in Loop: Header=BB4_1857 Depth=4
	v_bfe_u32 v2, v14, 20, 1
	s_delay_alu instid0(VALU_DEP_1) | instskip(NEXT) | instid1(VALU_DEP_1)
	v_add_nc_u64_e32 v[16:17], v[14:15], v[2:3]
	v_add_nc_u64_e32 v[16:17], -1, v[16:17]
; %bb.2346:                             ;   in Loop: Header=BB4_1857 Depth=4
	s_or_b32 exec_lo, exec_lo, s77
	v_add_nc_u32_e32 v2, 0xffffff81, v24
	v_lshrrev_b32_e32 v15, 23, v14
	s_mov_b32 s13, exec_lo
	s_delay_alu instid0(VALU_DEP_2) | instskip(NEXT) | instid1(VALU_DEP_1)
	v_cndmask_b32_e64 v2, v2, 0xffffff82, vcc_lo
	v_add3_u32 v17, v25, v2, v15
	v_and_b32_e32 v2, 0xfffff, v16
                                        ; implicit-def: $vgpr16
	s_delay_alu instid0(VALU_DEP_1) | instskip(NEXT) | instid1(VALU_DEP_1)
	v_dual_add_nc_u32 v24, 6, v17 :: v_dual_add_nc_u32 v2, v2, v14
                                        ; implicit-def: $vgpr14_vgpr15
	v_cmpx_ne_u32_e32 0, v24
	s_xor_b32 s13, exec_lo, s13
; %bb.2347:                             ;   in Loop: Header=BB4_1857 Depth=4
	s_delay_alu instid0(VALU_DEP_2) | instskip(SKIP_1) | instid1(VALU_DEP_1)
	v_cmp_lt_u64_e32 vcc_lo, 0xffffff, v[2:3]
	v_add_nc_u32_e32 v14, 7, v17
	v_cndmask_b32_e32 v16, v24, v14, vcc_lo
	v_cndmask_b32_e64 v14, 0, 1, vcc_lo
	s_delay_alu instid0(VALU_DEP_1)
	v_lshrrev_b64 v[14:15], v14, v[2:3]
; %bb.2348:                             ;   in Loop: Header=BB4_1857 Depth=4
	s_and_not1_saveexec_b32 s13, s13
; %bb.2349:                             ;   in Loop: Header=BB4_1857 Depth=4
	v_mov_b64_e32 v[14:15], v[2:3]
	v_bfe_u32 v16, v2, 23, 1
; %bb.2350:                             ;   in Loop: Header=BB4_1857 Depth=4
	s_or_b32 exec_lo, exec_lo, s13
	s_delay_alu instid0(VALU_DEP_2) | instskip(NEXT) | instid1(VALU_DEP_2)
	v_lshrrev_b64 v[14:15], 20, v[14:15]
	v_cmp_gt_i32_e32 vcc_lo, 16, v16
	v_cmp_ne_u32_e64 s13, 0, v16
                                        ; implicit-def: $vgpr28
	s_delay_alu instid0(VALU_DEP_3) | instskip(NEXT) | instid1(VALU_DEP_1)
	v_dual_cndmask_b32 v15, 0, v15 :: v_dual_cndmask_b32 v14, 7, v14
	v_cmp_ne_u64_e32 vcc_lo, 0, v[14:15]
	s_or_b32 s13, s13, vcc_lo
	s_delay_alu instid0(SALU_CYCLE_1) | instskip(NEXT) | instid1(SALU_CYCLE_1)
	s_and_saveexec_b32 s77, s13
	s_xor_b32 s13, exec_lo, s77
; %bb.2351:                             ;   in Loop: Header=BB4_1857 Depth=4
	v_min_i32_e32 v2, 15, v16
	s_delay_alu instid0(VALU_DEP_1) | instskip(NEXT) | instid1(VALU_DEP_1)
	v_lshl_or_b32 v2, v2, 3, v29
                                        ; implicit-def: $vgpr29
	v_and_or_b32 v28, v14, 7, v2
; %bb.2352:                             ;   in Loop: Header=BB4_1857 Depth=4
	s_and_not1_saveexec_b32 s13, s13
; %bb.2353:                             ;   in Loop: Header=BB4_1857 Depth=4
	v_mov_b32_e32 v28, v29
; %bb.2354:                             ;   in Loop: Header=BB4_1857 Depth=4
	s_or_b32 exec_lo, exec_lo, s13
.LBB4_2355:                             ;   in Loop: Header=BB4_1857 Depth=4
	s_delay_alu instid0(SALU_CYCLE_1)
	s_or_b32 exec_lo, exec_lo, s76
                                        ; implicit-def: $vgpr29
.LBB4_2356:                             ;   in Loop: Header=BB4_1857 Depth=4
	s_and_not1_saveexec_b32 s13, s75
; %bb.2357:                             ;   in Loop: Header=BB4_1857 Depth=4
	v_or_b32_e32 v28, 0x7e, v29
; %bb.2358:                             ;   in Loop: Header=BB4_1857 Depth=4
	s_or_b32 exec_lo, exec_lo, s13
                                        ; implicit-def: $vgpr15
.LBB4_2359:                             ;   in Loop: Header=BB4_1857 Depth=4
	s_and_not1_saveexec_b32 s13, s74
; %bb.2360:                             ;   in Loop: Header=BB4_1857 Depth=4
	v_or_b32_e32 v28, 0x7f, v15
; %bb.2361:                             ;   in Loop: Header=BB4_1857 Depth=4
	s_or_b32 exec_lo, exec_lo, s13
	v_and_b32_e32 v2, 0xff, v57
	v_dual_mov_b32 v14, 0 :: v_dual_mov_b32 v15, 0
	s_mov_b32 s13, exec_lo
	s_delay_alu instid0(VALU_DEP_2)
	v_cmpx_ne_u16_e32 0, v2
	s_cbranch_execz .LBB4_2369
; %bb.2362:                             ;   in Loop: Header=BB4_1857 Depth=4
	v_bfrev_b32_e32 v15, 1
	s_mov_b32 s74, exec_lo
	v_cmpx_ne_u16_e32 0x80, v2
	s_cbranch_execz .LBB4_2368
; %bb.2363:                             ;   in Loop: Header=BB4_1857 Depth=4
	v_and_b32_e32 v16, 0x7f, v57
	v_mov_b32_e32 v15, 0x7f800001
	s_mov_b32 s75, exec_lo
	s_delay_alu instid0(VALU_DEP_2)
	v_cmpx_ne_u32_e32 0x7f, v16
	s_cbranch_execz .LBB4_2367
; %bb.2364:                             ;   in Loop: Header=BB4_1857 Depth=4
	v_dual_lshrrev_b32 v15, 3, v16 :: v_dual_bitop2_b32 v2, 7, v2 bitop3:0x40
	s_mov_b32 s76, exec_lo
	v_cmpx_gt_u32_e32 8, v16
; %bb.2365:                             ;   in Loop: Header=BB4_1857 Depth=4
	s_delay_alu instid0(VALU_DEP_2) | instskip(NEXT) | instid1(VALU_DEP_1)
	v_clz_i32_u32_e32 v15, v2
	v_min_u32_e32 v15, 32, v15
	s_delay_alu instid0(VALU_DEP_1) | instskip(NEXT) | instid1(VALU_DEP_1)
	v_subrev_nc_u32_e32 v16, 28, v15
	v_lshlrev_b64_e32 v[16:17], v16, v[2:3]
	s_delay_alu instid0(VALU_DEP_1)
	v_dual_sub_nc_u32 v15, 29, v15 :: v_dual_bitop2_b32 v2, 7, v16 bitop3:0x40
; %bb.2366:                             ;   in Loop: Header=BB4_1857 Depth=4
	s_or_b32 exec_lo, exec_lo, s76
	s_delay_alu instid0(VALU_DEP_1) | instskip(NEXT) | instid1(VALU_DEP_2)
	v_dual_lshlrev_b32 v16, 24, v57 :: v_dual_lshlrev_b32 v2, 20, v2
	v_lshl_add_u32 v15, v15, 23, 0x3c000000
	s_delay_alu instid0(VALU_DEP_2) | instskip(NEXT) | instid1(VALU_DEP_1)
	v_and_b32_e32 v16, 0x80000000, v16
	v_or3_b32 v15, v2, v16, v15
.LBB4_2367:                             ;   in Loop: Header=BB4_1857 Depth=4
	s_or_b32 exec_lo, exec_lo, s75
.LBB4_2368:                             ;   in Loop: Header=BB4_1857 Depth=4
	s_delay_alu instid0(SALU_CYCLE_1)
	s_or_b32 exec_lo, exec_lo, s74
.LBB4_2369:                             ;   in Loop: Header=BB4_1857 Depth=4
	s_delay_alu instid0(SALU_CYCLE_1) | instskip(SKIP_3) | instid1(VALU_DEP_1)
	s_or_b32 exec_lo, exec_lo, s13
	s_wait_loadcnt_dscnt 0x101
	v_and_b32_e32 v2, 0xff, v56
	s_mov_b32 s13, exec_lo
	v_cmpx_ne_u16_e32 0, v2
	s_cbranch_execz .LBB4_2377
; %bb.2370:                             ;   in Loop: Header=BB4_1857 Depth=4
	v_bfrev_b32_e32 v14, 1
	s_mov_b32 s74, exec_lo
	v_cmpx_ne_u16_e32 0x80, v2
	s_cbranch_execz .LBB4_2376
; %bb.2371:                             ;   in Loop: Header=BB4_1857 Depth=4
	v_and_b32_e32 v16, 0x7f, v56
	v_mov_b32_e32 v14, 0x7f800001
	s_mov_b32 s75, exec_lo
	s_delay_alu instid0(VALU_DEP_2)
	v_cmpx_ne_u32_e32 0x7f, v16
	s_cbranch_execz .LBB4_2375
; %bb.2372:                             ;   in Loop: Header=BB4_1857 Depth=4
	v_dual_lshrrev_b32 v14, 3, v16 :: v_dual_bitop2_b32 v2, 7, v2 bitop3:0x40
	s_mov_b32 s76, exec_lo
	v_cmpx_gt_u32_e32 8, v16
; %bb.2373:                             ;   in Loop: Header=BB4_1857 Depth=4
	s_delay_alu instid0(VALU_DEP_2) | instskip(NEXT) | instid1(VALU_DEP_1)
	v_clz_i32_u32_e32 v14, v2
	v_min_u32_e32 v14, 32, v14
	s_delay_alu instid0(VALU_DEP_1) | instskip(NEXT) | instid1(VALU_DEP_1)
	v_subrev_nc_u32_e32 v16, 28, v14
	v_lshlrev_b64_e32 v[16:17], v16, v[2:3]
	s_delay_alu instid0(VALU_DEP_1)
	v_dual_sub_nc_u32 v14, 29, v14 :: v_dual_bitop2_b32 v2, 7, v16 bitop3:0x40
; %bb.2374:                             ;   in Loop: Header=BB4_1857 Depth=4
	s_or_b32 exec_lo, exec_lo, s76
	s_delay_alu instid0(VALU_DEP_1) | instskip(NEXT) | instid1(VALU_DEP_2)
	v_dual_lshlrev_b32 v16, 24, v56 :: v_dual_lshlrev_b32 v2, 20, v2
	v_lshl_add_u32 v14, v14, 23, 0x3c000000
	s_delay_alu instid0(VALU_DEP_2) | instskip(NEXT) | instid1(VALU_DEP_1)
	v_and_b32_e32 v16, 0x80000000, v16
	v_or3_b32 v14, v2, v16, v14
.LBB4_2375:                             ;   in Loop: Header=BB4_1857 Depth=4
	s_or_b32 exec_lo, exec_lo, s75
.LBB4_2376:                             ;   in Loop: Header=BB4_1857 Depth=4
	s_delay_alu instid0(SALU_CYCLE_1)
	s_or_b32 exec_lo, exec_lo, s74
.LBB4_2377:                             ;   in Loop: Header=BB4_1857 Depth=4
	s_delay_alu instid0(SALU_CYCLE_1) | instskip(NEXT) | instid1(VALU_DEP_1)
	s_or_b32 exec_lo, exec_lo, s13
	v_add_f32_e32 v14, v15, v14
                                        ; implicit-def: $vgpr29
	s_mov_b32 s13, exec_lo
	s_delay_alu instid0(VALU_DEP_1) | instskip(SKIP_1) | instid1(VALU_DEP_2)
	v_and_b32_e32 v2, 0x7f800000, v14
	v_lshrrev_b32_e32 v15, 24, v14
	v_cmpx_ne_u64_e32 0x7f800000, v[2:3]
	s_xor_b32 s74, exec_lo, s13
	s_cbranch_execz .LBB4_2395
; %bb.2378:                             ;   in Loop: Header=BB4_1857 Depth=4
	v_and_b32_e32 v2, 0x7fffffff, v14
	v_and_b32_e32 v56, 0x80, v15
                                        ; implicit-def: $vgpr29
	s_mov_b32 s13, exec_lo
	s_delay_alu instid0(VALU_DEP_2)
	v_cmpx_gt_u64_e32 0x43e00001, v[2:3]
	s_xor_b32 s75, exec_lo, s13
	s_cbranch_execz .LBB4_2392
; %bb.2379:                             ;   in Loop: Header=BB4_1857 Depth=4
	v_mov_b32_e32 v29, 0
	s_mov_b32 s76, exec_lo
	v_cmpx_ne_u32_e32 0, v14
	s_cbranch_execz .LBB4_2391
; %bb.2380:                             ;   in Loop: Header=BB4_1857 Depth=4
	v_bfe_u32 v24, v14, 23, 8
	s_delay_alu instid0(VALU_DEP_1) | instskip(SKIP_1) | instid1(VALU_DEP_2)
	v_sub_nc_u32_e32 v2, 0x79, v24
	v_cmp_gt_u32_e32 vcc_lo, 0x7a, v24
	v_cndmask_b32_e32 v2, 0, v2, vcc_lo
	v_cmp_eq_u32_e32 vcc_lo, 0, v24
	s_delay_alu instid0(VALU_DEP_2) | instskip(SKIP_1) | instid1(VALU_DEP_2)
	v_cndmask_b32_e64 v25, v2, 0x78, vcc_lo
	v_and_b32_e32 v2, 0x7fffff, v14
	v_add_nc_u32_e32 v14, 20, v25
	s_delay_alu instid0(VALU_DEP_2) | instskip(SKIP_1) | instid1(VALU_DEP_3)
	v_or_b32_e32 v16, 0x800000, v2
	v_add_nc_u32_e32 v17, 19, v25
	v_lshlrev_b64_e64 v[14:15], v14, -1
	s_delay_alu instid0(VALU_DEP_3) | instskip(NEXT) | instid1(VALU_DEP_3)
	v_cndmask_b32_e32 v2, v16, v2, vcc_lo
	v_lshlrev_b64_e64 v[16:17], v17, 1
	s_delay_alu instid0(VALU_DEP_3) | instskip(NEXT) | instid1(VALU_DEP_3)
	v_bfi_b32 v69, v15, 0, 0
	v_bfi_b32 v68, v14, 0, v2
	v_lshrrev_b64 v[14:15], v25, v[2:3]
	s_delay_alu instid0(VALU_DEP_2) | instskip(NEXT) | instid1(VALU_DEP_2)
	v_cmp_eq_u64_e64 s13, v[68:69], v[16:17]
	v_mov_b64_e32 v[16:17], v[14:15]
	s_and_saveexec_b32 s77, s13
; %bb.2381:                             ;   in Loop: Header=BB4_1857 Depth=4
	v_bfe_u32 v2, v14, 20, 1
	s_delay_alu instid0(VALU_DEP_1) | instskip(NEXT) | instid1(VALU_DEP_1)
	v_add_nc_u64_e32 v[16:17], v[14:15], v[2:3]
	v_add_nc_u64_e32 v[16:17], -1, v[16:17]
; %bb.2382:                             ;   in Loop: Header=BB4_1857 Depth=4
	s_or_b32 exec_lo, exec_lo, s77
	v_add_nc_u32_e32 v2, 0xffffff81, v24
	v_lshrrev_b32_e32 v15, 23, v14
	s_mov_b32 s13, exec_lo
	s_delay_alu instid0(VALU_DEP_2) | instskip(NEXT) | instid1(VALU_DEP_1)
	v_cndmask_b32_e64 v2, v2, 0xffffff82, vcc_lo
	v_add3_u32 v17, v25, v2, v15
	v_and_b32_e32 v2, 0xfffff, v16
                                        ; implicit-def: $vgpr16
	s_delay_alu instid0(VALU_DEP_1) | instskip(NEXT) | instid1(VALU_DEP_1)
	v_dual_add_nc_u32 v24, 6, v17 :: v_dual_add_nc_u32 v2, v2, v14
                                        ; implicit-def: $vgpr14_vgpr15
	v_cmpx_ne_u32_e32 0, v24
	s_xor_b32 s13, exec_lo, s13
; %bb.2383:                             ;   in Loop: Header=BB4_1857 Depth=4
	s_delay_alu instid0(VALU_DEP_2) | instskip(SKIP_1) | instid1(VALU_DEP_1)
	v_cmp_lt_u64_e32 vcc_lo, 0xffffff, v[2:3]
	v_add_nc_u32_e32 v14, 7, v17
	v_cndmask_b32_e32 v16, v24, v14, vcc_lo
	v_cndmask_b32_e64 v14, 0, 1, vcc_lo
	s_delay_alu instid0(VALU_DEP_1)
	v_lshrrev_b64 v[14:15], v14, v[2:3]
; %bb.2384:                             ;   in Loop: Header=BB4_1857 Depth=4
	s_and_not1_saveexec_b32 s13, s13
; %bb.2385:                             ;   in Loop: Header=BB4_1857 Depth=4
	v_mov_b64_e32 v[14:15], v[2:3]
	v_bfe_u32 v16, v2, 23, 1
; %bb.2386:                             ;   in Loop: Header=BB4_1857 Depth=4
	s_or_b32 exec_lo, exec_lo, s13
	s_delay_alu instid0(VALU_DEP_2) | instskip(NEXT) | instid1(VALU_DEP_2)
	v_lshrrev_b64 v[14:15], 20, v[14:15]
	v_cmp_gt_i32_e32 vcc_lo, 16, v16
	v_cmp_ne_u32_e64 s13, 0, v16
                                        ; implicit-def: $vgpr29
	s_delay_alu instid0(VALU_DEP_3) | instskip(NEXT) | instid1(VALU_DEP_1)
	v_dual_cndmask_b32 v15, 0, v15 :: v_dual_cndmask_b32 v14, 7, v14
	v_cmp_ne_u64_e32 vcc_lo, 0, v[14:15]
	s_or_b32 s13, s13, vcc_lo
	s_delay_alu instid0(SALU_CYCLE_1) | instskip(NEXT) | instid1(SALU_CYCLE_1)
	s_and_saveexec_b32 s77, s13
	s_xor_b32 s13, exec_lo, s77
; %bb.2387:                             ;   in Loop: Header=BB4_1857 Depth=4
	v_min_i32_e32 v2, 15, v16
	s_delay_alu instid0(VALU_DEP_1) | instskip(NEXT) | instid1(VALU_DEP_1)
	v_lshl_or_b32 v2, v2, 3, v56
                                        ; implicit-def: $vgpr56
	v_and_or_b32 v29, v14, 7, v2
; %bb.2388:                             ;   in Loop: Header=BB4_1857 Depth=4
	s_and_not1_saveexec_b32 s13, s13
; %bb.2389:                             ;   in Loop: Header=BB4_1857 Depth=4
	v_mov_b32_e32 v29, v56
; %bb.2390:                             ;   in Loop: Header=BB4_1857 Depth=4
	s_or_b32 exec_lo, exec_lo, s13
.LBB4_2391:                             ;   in Loop: Header=BB4_1857 Depth=4
	s_delay_alu instid0(SALU_CYCLE_1)
	s_or_b32 exec_lo, exec_lo, s76
                                        ; implicit-def: $vgpr56
.LBB4_2392:                             ;   in Loop: Header=BB4_1857 Depth=4
	s_and_not1_saveexec_b32 s13, s75
; %bb.2393:                             ;   in Loop: Header=BB4_1857 Depth=4
	v_or_b32_e32 v29, 0x7e, v56
; %bb.2394:                             ;   in Loop: Header=BB4_1857 Depth=4
	s_or_b32 exec_lo, exec_lo, s13
                                        ; implicit-def: $vgpr15
.LBB4_2395:                             ;   in Loop: Header=BB4_1857 Depth=4
	s_and_not1_saveexec_b32 s13, s74
; %bb.2396:                             ;   in Loop: Header=BB4_1857 Depth=4
	v_or_b32_e32 v29, 0x7f, v15
; %bb.2397:                             ;   in Loop: Header=BB4_1857 Depth=4
	s_or_b32 exec_lo, exec_lo, s13
	v_and_b32_e32 v2, 0xff, v46
	v_dual_mov_b32 v14, 0 :: v_dual_mov_b32 v15, 0
	s_mov_b32 s13, exec_lo
	s_delay_alu instid0(VALU_DEP_2)
	v_cmpx_ne_u16_e32 0, v2
	s_cbranch_execz .LBB4_2405
; %bb.2398:                             ;   in Loop: Header=BB4_1857 Depth=4
	v_bfrev_b32_e32 v15, 1
	s_mov_b32 s74, exec_lo
	v_cmpx_ne_u16_e32 0x80, v2
	s_cbranch_execz .LBB4_2404
; %bb.2399:                             ;   in Loop: Header=BB4_1857 Depth=4
	v_and_b32_e32 v16, 0x7f, v46
	v_mov_b32_e32 v15, 0x7f800001
	s_mov_b32 s75, exec_lo
	s_delay_alu instid0(VALU_DEP_2)
	v_cmpx_ne_u32_e32 0x7f, v16
	s_cbranch_execz .LBB4_2403
; %bb.2400:                             ;   in Loop: Header=BB4_1857 Depth=4
	v_dual_lshrrev_b32 v15, 3, v16 :: v_dual_bitop2_b32 v2, 7, v2 bitop3:0x40
	s_mov_b32 s76, exec_lo
	v_cmpx_gt_u32_e32 8, v16
; %bb.2401:                             ;   in Loop: Header=BB4_1857 Depth=4
	s_delay_alu instid0(VALU_DEP_2) | instskip(NEXT) | instid1(VALU_DEP_1)
	v_clz_i32_u32_e32 v15, v2
	v_min_u32_e32 v15, 32, v15
	s_delay_alu instid0(VALU_DEP_1) | instskip(NEXT) | instid1(VALU_DEP_1)
	v_subrev_nc_u32_e32 v16, 28, v15
	v_lshlrev_b64_e32 v[16:17], v16, v[2:3]
	s_delay_alu instid0(VALU_DEP_1)
	v_dual_sub_nc_u32 v15, 29, v15 :: v_dual_bitop2_b32 v2, 7, v16 bitop3:0x40
; %bb.2402:                             ;   in Loop: Header=BB4_1857 Depth=4
	s_or_b32 exec_lo, exec_lo, s76
	v_lshlrev_b32_e32 v16, 24, v46
	s_delay_alu instid0(VALU_DEP_2) | instskip(NEXT) | instid1(VALU_DEP_3)
	v_lshlrev_b32_e32 v2, 20, v2
	v_lshl_add_u32 v15, v15, 23, 0x3c000000
	s_delay_alu instid0(VALU_DEP_3) | instskip(NEXT) | instid1(VALU_DEP_1)
	v_and_b32_e32 v16, 0x80000000, v16
	v_or3_b32 v15, v2, v16, v15
.LBB4_2403:                             ;   in Loop: Header=BB4_1857 Depth=4
	s_or_b32 exec_lo, exec_lo, s75
.LBB4_2404:                             ;   in Loop: Header=BB4_1857 Depth=4
	s_delay_alu instid0(SALU_CYCLE_1)
	s_or_b32 exec_lo, exec_lo, s74
.LBB4_2405:                             ;   in Loop: Header=BB4_1857 Depth=4
	s_delay_alu instid0(SALU_CYCLE_1) | instskip(SKIP_3) | instid1(VALU_DEP_1)
	s_or_b32 exec_lo, exec_lo, s13
	s_wait_loadcnt_dscnt 0x0
	v_and_b32_e32 v2, 0xff, v43
	s_mov_b32 s13, exec_lo
	v_cmpx_ne_u16_e32 0, v2
	s_cbranch_execz .LBB4_2413
; %bb.2406:                             ;   in Loop: Header=BB4_1857 Depth=4
	v_bfrev_b32_e32 v14, 1
	s_mov_b32 s74, exec_lo
	v_cmpx_ne_u16_e32 0x80, v2
	s_cbranch_execz .LBB4_2412
; %bb.2407:                             ;   in Loop: Header=BB4_1857 Depth=4
	v_and_b32_e32 v16, 0x7f, v43
	v_mov_b32_e32 v14, 0x7f800001
	s_mov_b32 s75, exec_lo
	s_delay_alu instid0(VALU_DEP_2)
	v_cmpx_ne_u32_e32 0x7f, v16
	s_cbranch_execz .LBB4_2411
; %bb.2408:                             ;   in Loop: Header=BB4_1857 Depth=4
	v_dual_lshrrev_b32 v14, 3, v16 :: v_dual_bitop2_b32 v2, 7, v2 bitop3:0x40
	s_mov_b32 s76, exec_lo
	v_cmpx_gt_u32_e32 8, v16
; %bb.2409:                             ;   in Loop: Header=BB4_1857 Depth=4
	s_delay_alu instid0(VALU_DEP_2) | instskip(NEXT) | instid1(VALU_DEP_1)
	v_clz_i32_u32_e32 v14, v2
	v_min_u32_e32 v14, 32, v14
	s_delay_alu instid0(VALU_DEP_1) | instskip(NEXT) | instid1(VALU_DEP_1)
	v_subrev_nc_u32_e32 v16, 28, v14
	v_lshlrev_b64_e32 v[16:17], v16, v[2:3]
	s_delay_alu instid0(VALU_DEP_1)
	v_dual_sub_nc_u32 v14, 29, v14 :: v_dual_bitop2_b32 v2, 7, v16 bitop3:0x40
; %bb.2410:                             ;   in Loop: Header=BB4_1857 Depth=4
	s_or_b32 exec_lo, exec_lo, s76
	s_delay_alu instid0(VALU_DEP_1) | instskip(NEXT) | instid1(VALU_DEP_2)
	v_dual_lshlrev_b32 v16, 24, v43 :: v_dual_lshlrev_b32 v2, 20, v2
	v_lshl_add_u32 v14, v14, 23, 0x3c000000
	s_delay_alu instid0(VALU_DEP_2) | instskip(NEXT) | instid1(VALU_DEP_1)
	v_and_b32_e32 v16, 0x80000000, v16
	v_or3_b32 v14, v2, v16, v14
.LBB4_2411:                             ;   in Loop: Header=BB4_1857 Depth=4
	s_or_b32 exec_lo, exec_lo, s75
.LBB4_2412:                             ;   in Loop: Header=BB4_1857 Depth=4
	s_delay_alu instid0(SALU_CYCLE_1)
	s_or_b32 exec_lo, exec_lo, s74
.LBB4_2413:                             ;   in Loop: Header=BB4_1857 Depth=4
	s_delay_alu instid0(SALU_CYCLE_1) | instskip(NEXT) | instid1(VALU_DEP_1)
	s_or_b32 exec_lo, exec_lo, s13
	v_add_f32_e32 v14, v15, v14
	s_delay_alu instid0(VALU_DEP_1) | instskip(SKIP_1) | instid1(VALU_DEP_2)
	v_and_b32_e32 v2, 0x7f800000, v14
	v_lshrrev_b32_e32 v15, 24, v14
	v_cmp_ne_u64_e32 vcc_lo, 0x7f800000, v[2:3]
                                        ; implicit-def: $vgpr2
	s_and_saveexec_b32 s13, vcc_lo
	s_delay_alu instid0(SALU_CYCLE_1)
	s_xor_b32 s74, exec_lo, s13
	s_cbranch_execz .LBB4_2431
; %bb.2414:                             ;   in Loop: Header=BB4_1857 Depth=4
	v_and_b32_e32 v2, 0x7fffffff, v14
	v_and_b32_e32 v43, 0x80, v15
	s_delay_alu instid0(VALU_DEP_2) | instskip(SKIP_1) | instid1(SALU_CYCLE_1)
	v_cmp_gt_u64_e32 vcc_lo, 0x43e00001, v[2:3]
                                        ; implicit-def: $vgpr2
	s_and_saveexec_b32 s13, vcc_lo
	s_xor_b32 s75, exec_lo, s13
	s_cbranch_execz .LBB4_2428
; %bb.2415:                             ;   in Loop: Header=BB4_1857 Depth=4
	v_mov_b32_e32 v2, 0
	s_mov_b32 s76, exec_lo
	v_cmpx_ne_u32_e32 0, v14
	s_cbranch_execz .LBB4_2427
; %bb.2416:                             ;   in Loop: Header=BB4_1857 Depth=4
	v_bfe_u32 v24, v14, 23, 8
	s_delay_alu instid0(VALU_DEP_1) | instskip(SKIP_1) | instid1(VALU_DEP_2)
	v_sub_nc_u32_e32 v2, 0x79, v24
	v_cmp_gt_u32_e32 vcc_lo, 0x7a, v24
	v_cndmask_b32_e32 v2, 0, v2, vcc_lo
	v_cmp_eq_u32_e32 vcc_lo, 0, v24
	s_delay_alu instid0(VALU_DEP_2) | instskip(SKIP_1) | instid1(VALU_DEP_2)
	v_cndmask_b32_e64 v25, v2, 0x78, vcc_lo
	v_and_b32_e32 v2, 0x7fffff, v14
	v_add_nc_u32_e32 v14, 20, v25
	s_delay_alu instid0(VALU_DEP_2) | instskip(SKIP_1) | instid1(VALU_DEP_3)
	v_or_b32_e32 v16, 0x800000, v2
	v_add_nc_u32_e32 v17, 19, v25
	v_lshlrev_b64_e64 v[14:15], v14, -1
	s_delay_alu instid0(VALU_DEP_3) | instskip(NEXT) | instid1(VALU_DEP_3)
	v_cndmask_b32_e32 v2, v16, v2, vcc_lo
	v_lshlrev_b64_e64 v[16:17], v17, 1
	s_delay_alu instid0(VALU_DEP_3) | instskip(NEXT) | instid1(VALU_DEP_3)
	v_bfi_b32 v69, v15, 0, 0
	v_bfi_b32 v68, v14, 0, v2
	v_lshrrev_b64 v[14:15], v25, v[2:3]
	s_delay_alu instid0(VALU_DEP_2) | instskip(NEXT) | instid1(VALU_DEP_2)
	v_cmp_eq_u64_e64 s13, v[68:69], v[16:17]
	v_mov_b64_e32 v[16:17], v[14:15]
	s_and_saveexec_b32 s77, s13
; %bb.2417:                             ;   in Loop: Header=BB4_1857 Depth=4
	v_bfe_u32 v2, v14, 20, 1
	s_delay_alu instid0(VALU_DEP_1) | instskip(NEXT) | instid1(VALU_DEP_1)
	v_add_nc_u64_e32 v[16:17], v[14:15], v[2:3]
	v_add_nc_u64_e32 v[16:17], -1, v[16:17]
; %bb.2418:                             ;   in Loop: Header=BB4_1857 Depth=4
	s_or_b32 exec_lo, exec_lo, s77
	v_add_nc_u32_e32 v2, 0xffffff81, v24
	v_lshrrev_b32_e32 v15, 23, v14
	s_mov_b32 s13, exec_lo
	s_delay_alu instid0(VALU_DEP_2) | instskip(NEXT) | instid1(VALU_DEP_1)
	v_cndmask_b32_e64 v2, v2, 0xffffff82, vcc_lo
	v_add3_u32 v17, v25, v2, v15
	v_and_b32_e32 v2, 0xfffff, v16
                                        ; implicit-def: $vgpr16
	s_delay_alu instid0(VALU_DEP_1) | instskip(NEXT) | instid1(VALU_DEP_1)
	v_dual_add_nc_u32 v24, 6, v17 :: v_dual_add_nc_u32 v2, v2, v14
                                        ; implicit-def: $vgpr14_vgpr15
	v_cmpx_ne_u32_e32 0, v24
	s_xor_b32 s13, exec_lo, s13
; %bb.2419:                             ;   in Loop: Header=BB4_1857 Depth=4
	s_delay_alu instid0(VALU_DEP_2) | instskip(SKIP_1) | instid1(VALU_DEP_1)
	v_cmp_lt_u64_e32 vcc_lo, 0xffffff, v[2:3]
	v_add_nc_u32_e32 v14, 7, v17
	v_cndmask_b32_e32 v16, v24, v14, vcc_lo
	v_cndmask_b32_e64 v14, 0, 1, vcc_lo
	s_delay_alu instid0(VALU_DEP_1)
	v_lshrrev_b64 v[14:15], v14, v[2:3]
; %bb.2420:                             ;   in Loop: Header=BB4_1857 Depth=4
	s_and_not1_saveexec_b32 s13, s13
; %bb.2421:                             ;   in Loop: Header=BB4_1857 Depth=4
	v_mov_b64_e32 v[14:15], v[2:3]
	v_bfe_u32 v16, v2, 23, 1
; %bb.2422:                             ;   in Loop: Header=BB4_1857 Depth=4
	s_or_b32 exec_lo, exec_lo, s13
	s_delay_alu instid0(VALU_DEP_2) | instskip(NEXT) | instid1(VALU_DEP_2)
	v_lshrrev_b64 v[14:15], 20, v[14:15]
	v_cmp_gt_i32_e32 vcc_lo, 16, v16
	v_cmp_ne_u32_e64 s13, 0, v16
                                        ; implicit-def: $vgpr2
	s_delay_alu instid0(VALU_DEP_3) | instskip(NEXT) | instid1(VALU_DEP_1)
	v_dual_cndmask_b32 v15, 0, v15 :: v_dual_cndmask_b32 v14, 7, v14
	v_cmp_ne_u64_e32 vcc_lo, 0, v[14:15]
	s_or_b32 s13, s13, vcc_lo
	s_delay_alu instid0(SALU_CYCLE_1) | instskip(NEXT) | instid1(SALU_CYCLE_1)
	s_and_saveexec_b32 s77, s13
	s_xor_b32 s13, exec_lo, s77
; %bb.2423:                             ;   in Loop: Header=BB4_1857 Depth=4
	v_min_i32_e32 v2, 15, v16
	s_delay_alu instid0(VALU_DEP_1) | instskip(NEXT) | instid1(VALU_DEP_1)
	v_lshl_or_b32 v2, v2, 3, v43
                                        ; implicit-def: $vgpr43
	v_and_or_b32 v2, v14, 7, v2
; %bb.2424:                             ;   in Loop: Header=BB4_1857 Depth=4
	s_and_not1_saveexec_b32 s13, s13
; %bb.2425:                             ;   in Loop: Header=BB4_1857 Depth=4
	v_mov_b32_e32 v2, v43
; %bb.2426:                             ;   in Loop: Header=BB4_1857 Depth=4
	s_or_b32 exec_lo, exec_lo, s13
.LBB4_2427:                             ;   in Loop: Header=BB4_1857 Depth=4
	s_delay_alu instid0(SALU_CYCLE_1)
	s_or_b32 exec_lo, exec_lo, s76
                                        ; implicit-def: $vgpr43
.LBB4_2428:                             ;   in Loop: Header=BB4_1857 Depth=4
	s_and_not1_saveexec_b32 s13, s75
; %bb.2429:                             ;   in Loop: Header=BB4_1857 Depth=4
	v_or_b32_e32 v2, 0x7e, v43
; %bb.2430:                             ;   in Loop: Header=BB4_1857 Depth=4
	s_or_b32 exec_lo, exec_lo, s13
                                        ; implicit-def: $vgpr15
.LBB4_2431:                             ;   in Loop: Header=BB4_1857 Depth=4
	s_and_not1_saveexec_b32 s13, s74
	s_cbranch_execz .LBB4_1856
; %bb.2432:                             ;   in Loop: Header=BB4_1857 Depth=4
	v_or_b32_e32 v2, 0x7f, v15
	s_branch .LBB4_1856
.LBB4_2433:                             ;   in Loop: Header=BB4_274 Depth=3
	s_or_b32 exec_lo, exec_lo, s73
.LBB4_2434:                             ;   in Loop: Header=BB4_274 Depth=3
	s_delay_alu instid0(SALU_CYCLE_1) | instskip(SKIP_1) | instid1(VALU_DEP_1)
	s_or_b32 exec_lo, exec_lo, s15
	v_lshlrev_b32_e32 v2, 9, v23
	v_cmp_ne_u32_e32 vcc_lo, v19, v2
	s_and_b32 exec_lo, exec_lo, vcc_lo
	s_cbranch_execz .LBB4_2474
; %bb.2435:                             ;   in Loop: Header=BB4_274 Depth=3
	v_dual_add_nc_u32 v8, v20, v22 :: v_dual_lshlrev_b32 v9, 5, v21
	s_delay_alu instid0(VALU_DEP_1) | instskip(NEXT) | instid1(VALU_DEP_1)
	v_and_b32_e32 v8, 0xffffffe0, v8
	v_sub_nc_u32_e32 v8, v20, v8
	s_delay_alu instid0(VALU_DEP_1) | instskip(NEXT) | instid1(VALU_DEP_1)
	v_sub_nc_u32_e32 v8, v8, v9
	v_add_nc_u32_e32 v2, v2, v8
	s_delay_alu instid0(VALU_DEP_1) | instskip(NEXT) | instid1(VALU_DEP_1)
	v_sub_nc_u32_e32 v19, v19, v2
	v_cmp_lt_i32_e32 vcc_lo, 0, v19
	s_and_b32 exec_lo, exec_lo, vcc_lo
	s_cbranch_execz .LBB4_2474
; %bb.2436:                             ;   in Loop: Header=BB4_274 Depth=3
	s_trap 2
	ds_load_b128 v[8:11], v0
	ds_load_b64 v[12:13], v0
	v_add_nc_u32_e32 v14, v2, v18
	s_mov_b32 s15, 0
	s_delay_alu instid0(VALU_DEP_1) | instskip(SKIP_1) | instid1(VALU_DEP_1)
	v_ashrrev_i32_e32 v15, 31, v14
	s_wait_dscnt 0x1
	v_add_nc_u64_e32 v[8:9], v[8:9], v[14:15]
	v_add_nc_u64_e32 v[10:11], v[10:11], v[14:15]
	s_wait_dscnt 0x0
	v_add_nc_u64_e32 v[12:13], v[12:13], v[14:15]
	s_branch .LBB4_2438
.LBB4_2437:                             ;   in Loop: Header=BB4_2438 Depth=4
	s_or_b32 exec_lo, exec_lo, s13
	v_sub_nc_u32_e32 v19, v19, v54
	flat_store_b8 v[12:13], v2 th:TH_STORE_NT
	v_add_nc_u64_e32 v[8:9], v[8:9], v[54:55]
	v_add_nc_u64_e32 v[10:11], v[10:11], v[54:55]
	s_wait_xcnt 0x0
	v_add_nc_u64_e32 v[12:13], v[12:13], v[54:55]
	v_cmp_gt_i32_e32 vcc_lo, 1, v19
	s_or_b32 s15, vcc_lo, s15
	s_delay_alu instid0(SALU_CYCLE_1)
	s_and_not1_b32 exec_lo, exec_lo, s15
	s_cbranch_execz .LBB4_2474
.LBB4_2438:                             ;   Parent Loop BB4_47 Depth=1
                                        ;     Parent Loop BB4_271 Depth=2
                                        ;       Parent Loop BB4_274 Depth=3
                                        ; =>      This Inner Loop Header: Depth=4
	flat_load_u8 v17, v[8:9] th:TH_LOAD_NT
	flat_load_u8 v14, v[10:11] th:TH_LOAD_NT
	v_dual_mov_b32 v15, 0 :: v_dual_mov_b32 v16, 0
	s_mov_b32 s13, exec_lo
	s_wait_loadcnt_dscnt 0x101
	s_wait_xcnt 0x0
	v_cmpx_ne_u16_e32 0, v17
	s_cbranch_execz .LBB4_2446
; %bb.2439:                             ;   in Loop: Header=BB4_2438 Depth=4
	v_bfrev_b32_e32 v16, 1
	s_mov_b32 s73, exec_lo
	v_cmpx_ne_u16_e32 0x80, v17
	s_cbranch_execz .LBB4_2445
; %bb.2440:                             ;   in Loop: Header=BB4_2438 Depth=4
	v_and_b32_e32 v2, 0xffff, v17
	v_mov_b32_e32 v16, 0x7f800001
	s_mov_b32 s74, exec_lo
	s_delay_alu instid0(VALU_DEP_2) | instskip(NEXT) | instid1(VALU_DEP_1)
	v_and_b32_e32 v18, 0x7f, v2
	v_cmpx_ne_u32_e32 0x7f, v18
	s_cbranch_execz .LBB4_2444
; %bb.2441:                             ;   in Loop: Header=BB4_2438 Depth=4
	v_and_b32_e32 v2, 7, v2
	v_lshrrev_b32_e32 v16, 3, v18
	s_mov_b32 s75, exec_lo
	v_cmpx_gt_u32_e32 8, v18
; %bb.2442:                             ;   in Loop: Header=BB4_2438 Depth=4
	s_delay_alu instid0(VALU_DEP_3) | instskip(NEXT) | instid1(VALU_DEP_1)
	v_clz_i32_u32_e32 v16, v2
	v_min_u32_e32 v16, 32, v16
	s_delay_alu instid0(VALU_DEP_1) | instskip(SKIP_1) | instid1(VALU_DEP_2)
	v_subrev_nc_u32_e32 v18, 28, v16
	v_sub_nc_u32_e32 v16, 29, v16
	v_lshlrev_b64_e32 v[20:21], v18, v[2:3]
	s_delay_alu instid0(VALU_DEP_1)
	v_and_b32_e32 v2, 7, v20
; %bb.2443:                             ;   in Loop: Header=BB4_2438 Depth=4
	s_or_b32 exec_lo, exec_lo, s75
	s_delay_alu instid0(VALU_DEP_1) | instskip(SKIP_1) | instid1(VALU_DEP_2)
	v_dual_lshlrev_b32 v17, 24, v17 :: v_dual_lshlrev_b32 v2, 20, v2
	v_lshl_add_u32 v16, v16, 23, 0x3c000000
	v_and_b32_e32 v17, 0x80000000, v17
	s_delay_alu instid0(VALU_DEP_1)
	v_or3_b32 v16, v2, v17, v16
.LBB4_2444:                             ;   in Loop: Header=BB4_2438 Depth=4
	s_or_b32 exec_lo, exec_lo, s74
.LBB4_2445:                             ;   in Loop: Header=BB4_2438 Depth=4
	s_delay_alu instid0(SALU_CYCLE_1)
	s_or_b32 exec_lo, exec_lo, s73
.LBB4_2446:                             ;   in Loop: Header=BB4_2438 Depth=4
	s_delay_alu instid0(SALU_CYCLE_1) | instskip(SKIP_3) | instid1(VALU_DEP_1)
	s_or_b32 exec_lo, exec_lo, s13
	s_wait_loadcnt_dscnt 0x0
	v_and_b32_e32 v2, 0xff, v14
	s_mov_b32 s13, exec_lo
	v_cmpx_ne_u16_e32 0, v2
	s_cbranch_execz .LBB4_2454
; %bb.2447:                             ;   in Loop: Header=BB4_2438 Depth=4
	v_bfrev_b32_e32 v15, 1
	s_mov_b32 s73, exec_lo
	v_cmpx_ne_u16_e32 0x80, v2
	s_cbranch_execz .LBB4_2453
; %bb.2448:                             ;   in Loop: Header=BB4_2438 Depth=4
	v_and_b32_e32 v17, 0x7f, v14
	v_mov_b32_e32 v15, 0x7f800001
	s_mov_b32 s74, exec_lo
	s_delay_alu instid0(VALU_DEP_2)
	v_cmpx_ne_u32_e32 0x7f, v17
	s_cbranch_execz .LBB4_2452
; %bb.2449:                             ;   in Loop: Header=BB4_2438 Depth=4
	v_dual_lshrrev_b32 v15, 3, v17 :: v_dual_bitop2_b32 v2, 7, v2 bitop3:0x40
	s_mov_b32 s75, exec_lo
	v_cmpx_gt_u32_e32 8, v17
; %bb.2450:                             ;   in Loop: Header=BB4_2438 Depth=4
	s_delay_alu instid0(VALU_DEP_2) | instskip(NEXT) | instid1(VALU_DEP_1)
	v_clz_i32_u32_e32 v15, v2
	v_min_u32_e32 v15, 32, v15
	s_delay_alu instid0(VALU_DEP_1) | instskip(NEXT) | instid1(VALU_DEP_1)
	v_subrev_nc_u32_e32 v17, 28, v15
	v_lshlrev_b64_e32 v[20:21], v17, v[2:3]
	s_delay_alu instid0(VALU_DEP_1)
	v_dual_sub_nc_u32 v15, 29, v15 :: v_dual_bitop2_b32 v2, 7, v20 bitop3:0x40
; %bb.2451:                             ;   in Loop: Header=BB4_2438 Depth=4
	s_or_b32 exec_lo, exec_lo, s75
	v_lshlrev_b32_e32 v14, 24, v14
	s_delay_alu instid0(VALU_DEP_2) | instskip(NEXT) | instid1(VALU_DEP_3)
	v_lshlrev_b32_e32 v2, 20, v2
	v_lshl_add_u32 v15, v15, 23, 0x3c000000
	s_delay_alu instid0(VALU_DEP_3) | instskip(NEXT) | instid1(VALU_DEP_1)
	v_and_b32_e32 v14, 0x80000000, v14
	v_or3_b32 v15, v2, v14, v15
.LBB4_2452:                             ;   in Loop: Header=BB4_2438 Depth=4
	s_or_b32 exec_lo, exec_lo, s74
.LBB4_2453:                             ;   in Loop: Header=BB4_2438 Depth=4
	s_delay_alu instid0(SALU_CYCLE_1)
	s_or_b32 exec_lo, exec_lo, s73
.LBB4_2454:                             ;   in Loop: Header=BB4_2438 Depth=4
	s_delay_alu instid0(SALU_CYCLE_1) | instskip(NEXT) | instid1(VALU_DEP_1)
	s_or_b32 exec_lo, exec_lo, s13
	v_add_f32_e32 v14, v16, v15
	s_delay_alu instid0(VALU_DEP_1) | instskip(NEXT) | instid1(VALU_DEP_1)
	v_and_b32_e32 v2, 0x7f800000, v14
	v_cmp_ne_u64_e32 vcc_lo, 0x7f800000, v[2:3]
                                        ; implicit-def: $vgpr2
	s_and_saveexec_b32 s13, vcc_lo
	s_delay_alu instid0(SALU_CYCLE_1)
	s_xor_b32 s73, exec_lo, s13
	s_cbranch_execz .LBB4_2472
; %bb.2455:                             ;   in Loop: Header=BB4_2438 Depth=4
	v_and_b32_e32 v2, 0x7fffffff, v14
	v_lshrrev_b32_e32 v15, 24, v14
	s_delay_alu instid0(VALU_DEP_2) | instskip(NEXT) | instid1(VALU_DEP_2)
	v_cmp_gt_u64_e32 vcc_lo, 0x43e00001, v[2:3]
	v_and_b32_e32 v18, 0x80, v15
                                        ; implicit-def: $vgpr2
	s_and_saveexec_b32 s13, vcc_lo
	s_delay_alu instid0(SALU_CYCLE_1)
	s_xor_b32 s74, exec_lo, s13
	s_cbranch_execz .LBB4_2469
; %bb.2456:                             ;   in Loop: Header=BB4_2438 Depth=4
	v_mov_b32_e32 v2, 0
	s_mov_b32 s75, exec_lo
	v_cmpx_ne_u32_e32 0, v14
	s_cbranch_execz .LBB4_2468
; %bb.2457:                             ;   in Loop: Header=BB4_2438 Depth=4
	v_bfe_u32 v20, v14, 23, 8
	s_delay_alu instid0(VALU_DEP_1) | instskip(SKIP_1) | instid1(VALU_DEP_2)
	v_sub_nc_u32_e32 v2, 0x79, v20
	v_cmp_gt_u32_e32 vcc_lo, 0x7a, v20
	v_cndmask_b32_e32 v2, 0, v2, vcc_lo
	v_cmp_eq_u32_e32 vcc_lo, 0, v20
	s_delay_alu instid0(VALU_DEP_2) | instskip(SKIP_1) | instid1(VALU_DEP_2)
	v_cndmask_b32_e64 v21, v2, 0x78, vcc_lo
	v_and_b32_e32 v2, 0x7fffff, v14
	v_add_nc_u32_e32 v14, 20, v21
	s_delay_alu instid0(VALU_DEP_2) | instskip(SKIP_1) | instid1(VALU_DEP_3)
	v_or_b32_e32 v16, 0x800000, v2
	v_add_nc_u32_e32 v17, 19, v21
	v_lshlrev_b64_e64 v[14:15], v14, -1
	s_delay_alu instid0(VALU_DEP_3) | instskip(NEXT) | instid1(VALU_DEP_3)
	v_cndmask_b32_e32 v2, v16, v2, vcc_lo
	v_lshlrev_b64_e64 v[16:17], v17, 1
	s_delay_alu instid0(VALU_DEP_3) | instskip(NEXT) | instid1(VALU_DEP_3)
	v_bfi_b32 v23, v15, 0, 0
	v_bfi_b32 v22, v14, 0, v2
	v_lshrrev_b64 v[14:15], v21, v[2:3]
	s_delay_alu instid0(VALU_DEP_2) | instskip(NEXT) | instid1(VALU_DEP_2)
	v_cmp_eq_u64_e64 s13, v[22:23], v[16:17]
	v_mov_b64_e32 v[16:17], v[14:15]
	s_and_saveexec_b32 s76, s13
; %bb.2458:                             ;   in Loop: Header=BB4_2438 Depth=4
	v_bfe_u32 v2, v14, 20, 1
	s_delay_alu instid0(VALU_DEP_1) | instskip(NEXT) | instid1(VALU_DEP_1)
	v_add_nc_u64_e32 v[16:17], v[14:15], v[2:3]
	v_add_nc_u64_e32 v[16:17], -1, v[16:17]
; %bb.2459:                             ;   in Loop: Header=BB4_2438 Depth=4
	s_or_b32 exec_lo, exec_lo, s76
	v_add_nc_u32_e32 v2, 0xffffff81, v20
	v_lshrrev_b32_e32 v15, 23, v14
	s_mov_b32 s13, exec_lo
	s_delay_alu instid0(VALU_DEP_2) | instskip(NEXT) | instid1(VALU_DEP_1)
	v_cndmask_b32_e64 v2, v2, 0xffffff82, vcc_lo
	v_add3_u32 v17, v21, v2, v15
	v_and_b32_e32 v2, 0xfffff, v16
                                        ; implicit-def: $vgpr16
	s_delay_alu instid0(VALU_DEP_1) | instskip(NEXT) | instid1(VALU_DEP_1)
	v_dual_add_nc_u32 v20, 6, v17 :: v_dual_add_nc_u32 v2, v2, v14
                                        ; implicit-def: $vgpr14_vgpr15
	v_cmpx_ne_u32_e32 0, v20
	s_xor_b32 s13, exec_lo, s13
; %bb.2460:                             ;   in Loop: Header=BB4_2438 Depth=4
	s_delay_alu instid0(VALU_DEP_2) | instskip(SKIP_1) | instid1(VALU_DEP_1)
	v_cmp_lt_u64_e32 vcc_lo, 0xffffff, v[2:3]
	v_add_nc_u32_e32 v14, 7, v17
	v_cndmask_b32_e32 v16, v20, v14, vcc_lo
	v_cndmask_b32_e64 v14, 0, 1, vcc_lo
	s_delay_alu instid0(VALU_DEP_1)
	v_lshrrev_b64 v[14:15], v14, v[2:3]
; %bb.2461:                             ;   in Loop: Header=BB4_2438 Depth=4
	s_and_not1_saveexec_b32 s13, s13
; %bb.2462:                             ;   in Loop: Header=BB4_2438 Depth=4
	v_mov_b64_e32 v[14:15], v[2:3]
	v_bfe_u32 v16, v2, 23, 1
; %bb.2463:                             ;   in Loop: Header=BB4_2438 Depth=4
	s_or_b32 exec_lo, exec_lo, s13
	s_delay_alu instid0(VALU_DEP_2) | instskip(NEXT) | instid1(VALU_DEP_2)
	v_lshrrev_b64 v[14:15], 20, v[14:15]
	v_cmp_gt_i32_e32 vcc_lo, 16, v16
	v_cmp_ne_u32_e64 s13, 0, v16
                                        ; implicit-def: $vgpr2
	s_delay_alu instid0(VALU_DEP_3) | instskip(NEXT) | instid1(VALU_DEP_1)
	v_dual_cndmask_b32 v15, 0, v15 :: v_dual_cndmask_b32 v14, 7, v14
	v_cmp_ne_u64_e32 vcc_lo, 0, v[14:15]
	s_or_b32 s13, s13, vcc_lo
	s_delay_alu instid0(SALU_CYCLE_1) | instskip(NEXT) | instid1(SALU_CYCLE_1)
	s_and_saveexec_b32 s76, s13
	s_xor_b32 s13, exec_lo, s76
; %bb.2464:                             ;   in Loop: Header=BB4_2438 Depth=4
	v_min_i32_e32 v2, 15, v16
	s_delay_alu instid0(VALU_DEP_1) | instskip(NEXT) | instid1(VALU_DEP_1)
	v_lshl_or_b32 v2, v2, 3, v18
                                        ; implicit-def: $vgpr18
	v_and_or_b32 v2, v14, 7, v2
; %bb.2465:                             ;   in Loop: Header=BB4_2438 Depth=4
	s_and_not1_saveexec_b32 s13, s13
; %bb.2466:                             ;   in Loop: Header=BB4_2438 Depth=4
	v_mov_b32_e32 v2, v18
; %bb.2467:                             ;   in Loop: Header=BB4_2438 Depth=4
	s_or_b32 exec_lo, exec_lo, s13
.LBB4_2468:                             ;   in Loop: Header=BB4_2438 Depth=4
	s_delay_alu instid0(SALU_CYCLE_1)
	s_or_b32 exec_lo, exec_lo, s75
                                        ; implicit-def: $vgpr18
.LBB4_2469:                             ;   in Loop: Header=BB4_2438 Depth=4
	s_and_not1_saveexec_b32 s13, s74
; %bb.2470:                             ;   in Loop: Header=BB4_2438 Depth=4
	v_or_b32_e32 v2, 0x7e, v18
; %bb.2471:                             ;   in Loop: Header=BB4_2438 Depth=4
	s_or_b32 exec_lo, exec_lo, s13
                                        ; implicit-def: $vgpr14
.LBB4_2472:                             ;   in Loop: Header=BB4_2438 Depth=4
	s_and_not1_saveexec_b32 s13, s73
	s_cbranch_execz .LBB4_2437
; %bb.2473:                             ;   in Loop: Header=BB4_2438 Depth=4
	v_lshrrev_b32_e32 v2, 24, v14
	s_delay_alu instid0(VALU_DEP_1)
	v_or_b32_e32 v2, 0x7f, v2
	s_branch .LBB4_2437
.LBB4_2474:                             ;   in Loop: Header=BB4_274 Depth=3
	s_or_b32 exec_lo, exec_lo, s14
	v_cmp_lt_i32_e64 s13, 0, v41
	s_and_saveexec_b32 s14, s2
	s_cbranch_execz .LBB4_349
.LBB4_2475:                             ;   in Loop: Header=BB4_274 Depth=3
	s_and_saveexec_b32 s15, s3
	s_delay_alu instid0(SALU_CYCLE_1)
	s_xor_b32 s15, exec_lo, s15
	s_cbranch_execz .LBB4_2490
; %bb.2476:                             ;   in Loop: Header=BB4_274 Depth=3
	s_and_saveexec_b32 s73, s6
	s_cbranch_execz .LBB4_2489
; %bb.2477:                             ;   in Loop: Header=BB4_274 Depth=3
	s_mov_b32 s75, exec_lo
	s_mov_b32 s74, exec_lo
	v_mbcnt_lo_u32_b32 v2, s75, 0
	global_wb scope:SCOPE_DEV
	s_wait_storecnt 0x0
	s_wait_loadcnt_dscnt 0x0
	global_inv scope:SCOPE_DEV
	v_cmpx_eq_u32_e32 0, v2
	s_cbranch_execz .LBB4_2479
; %bb.2478:                             ;   in Loop: Header=BB4_274 Depth=3
	s_bcnt1_i32_b32 s75, s75
	s_delay_alu instid0(SALU_CYCLE_1)
	v_mov_b32_e32 v2, s75
	s_wait_loadcnt 0x0
	ds_add_u64 v0, v[2:3]
	s_trap 2
.LBB4_2479:                             ;   in Loop: Header=BB4_274 Depth=3
	s_or_b32 exec_lo, exec_lo, s74
	s_trap 2
	ds_load_b64 v[8:9], v0
	s_wait_dscnt 0x0
	v_add_nc_u64_e32 v[48:49], v[48:49], v[52:53]
	s_mov_b32 s74, exec_lo
	s_delay_alu instid0(VALU_DEP_1)
	v_cmpx_lt_u64_e64 v[8:9], v[48:49]
	s_cbranch_execz .LBB4_2488
; %bb.2480:                             ;   in Loop: Header=BB4_274 Depth=3
	s_mov_b32 s75, 0
	s_mov_b32 s78, 0
                                        ; implicit-def: $sgpr76
                                        ; implicit-def: $sgpr77
	s_branch .LBB4_2482
.LBB4_2481:                             ;   in Loop: Header=BB4_2482 Depth=4
	s_or_b32 exec_lo, exec_lo, s88
	s_delay_alu instid0(SALU_CYCLE_1) | instskip(NEXT) | instid1(SALU_CYCLE_1)
	s_and_b32 s79, exec_lo, s89
	s_or_b32 s75, s79, s75
	s_and_not1_b32 s76, s76, exec_lo
	s_and_b32 s79, s77, exec_lo
	s_delay_alu instid0(SALU_CYCLE_1)
	s_or_b32 s76, s76, s79
	s_and_not1_b32 exec_lo, exec_lo, s75
	s_cbranch_execz .LBB4_2486
.LBB4_2482:                             ;   Parent Loop BB4_47 Depth=1
                                        ;     Parent Loop BB4_271 Depth=2
                                        ;       Parent Loop BB4_274 Depth=3
                                        ; =>      This Inner Loop Header: Depth=4
	s_add_co_i32 s78, s78, 1
	s_delay_alu instid0(SALU_CYCLE_1) | instskip(SKIP_1) | instid1(SALU_CYCLE_1)
	s_cmp_lg_u32 s78, 0x2710
	s_cselect_b32 s79, -1, 0
	s_and_b32 vcc_lo, exec_lo, s79
	s_cbranch_vccz .LBB4_2484
; %bb.2483:                             ;   in Loop: Header=BB4_2482 Depth=4
	s_mov_b32 s89, -1
	s_or_b32 s77, s77, exec_lo
	s_and_saveexec_b32 s88, s79
	s_cbranch_execz .LBB4_2481
	s_branch .LBB4_2485
.LBB4_2484:                             ;   in Loop: Header=BB4_2482 Depth=4
	s_trap 2
	ds_load_b64 v[8:9], v0
	s_and_not1_b32 s79, s79, exec_lo
	s_mov_b32 s78, 0
	s_wait_loadcnt_dscnt 0x0
	flat_load_b32 v2, v[8:9] scope:SCOPE_SYS
	s_wait_loadcnt_dscnt 0x0
	global_inv scope:SCOPE_SYS
	v_cmp_eq_u32_e32 vcc_lo, 0, v2
	s_and_b32 s88, vcc_lo, exec_lo
	s_delay_alu instid0(SALU_CYCLE_1)
	s_or_b32 s79, s79, s88
	s_mov_b32 s89, -1
	s_or_b32 s77, s77, exec_lo
	s_and_saveexec_b32 s88, s79
	s_cbranch_execz .LBB4_2481
.LBB4_2485:                             ;   in Loop: Header=BB4_2482 Depth=4
	s_sleep 1
	s_trap 2
	ds_load_b64 v[8:9], v0
	s_wait_dscnt 0x0
	s_and_not1_b32 s77, s77, exec_lo
	v_cmp_ge_u64_e32 vcc_lo, v[8:9], v[48:49]
	s_or_not1_b32 s89, vcc_lo, exec_lo
	s_branch .LBB4_2481
.LBB4_2486:                             ;   in Loop: Header=BB4_274 Depth=3
	s_or_b32 exec_lo, exec_lo, s75
	s_and_saveexec_b32 s75, s76
	s_delay_alu instid0(SALU_CYCLE_1)
	s_xor_b32 s75, exec_lo, s75
	s_cbranch_execz .LBB4_2488
; %bb.2487:                             ;   in Loop: Header=BB4_274 Depth=3
	ds_store_b32 v0, v89
	s_trap 2
.LBB4_2488:                             ;   in Loop: Header=BB4_274 Depth=3
	s_or_b32 exec_lo, exec_lo, s74
	;;#ASMSTART
	s_wakeup
	;;#ASMEND
.LBB4_2489:                             ;   in Loop: Header=BB4_274 Depth=3
	s_or_b32 exec_lo, exec_lo, s73
.LBB4_2490:                             ;   in Loop: Header=BB4_274 Depth=3
	s_and_not1_saveexec_b32 s15, s15
	s_cbranch_execz .LBB4_2492
; %bb.2491:                             ;   in Loop: Header=BB4_274 Depth=3
	global_wb scope:SCOPE_DEV
	s_wait_storecnt 0x0
	s_wait_loadcnt_dscnt 0x0
	global_inv scope:SCOPE_DEV
	s_barrier_signal -1
	s_barrier_wait -1
.LBB4_2492:                             ;   in Loop: Header=BB4_274 Depth=3
	s_or_b32 exec_lo, exec_lo, s15
	s_delay_alu instid0(SALU_CYCLE_1) | instskip(SKIP_1) | instid1(SALU_CYCLE_1)
	s_or_b32 exec_lo, exec_lo, s14
                                        ; implicit-def: $vgpr2
	s_and_saveexec_b32 s14, s10
	s_xor_b32 s14, exec_lo, s14
	s_cbranch_execnz .LBB4_350
.LBB4_2493:                             ;   in Loop: Header=BB4_274 Depth=3
	s_and_not1_saveexec_b32 s13, s14
	s_cbranch_execz .LBB4_2512
.LBB4_2494:                             ;   in Loop: Header=BB4_274 Depth=3
	s_and_saveexec_b32 s14, s3
	s_delay_alu instid0(SALU_CYCLE_1)
	s_xor_b32 s14, exec_lo, s14
	s_cbranch_execz .LBB4_2509
; %bb.2495:                             ;   in Loop: Header=BB4_274 Depth=3
	s_and_saveexec_b32 s15, s6
	s_cbranch_execz .LBB4_2508
; %bb.2496:                             ;   in Loop: Header=BB4_274 Depth=3
	s_mov_b32 s74, exec_lo
	s_mov_b32 s73, exec_lo
	v_mbcnt_lo_u32_b32 v2, s74, 0
	;;#ASMSTART
	s_waitcnt lgkmcnt(0) vmcnt(0)
	;;#ASMEND
	s_delay_alu instid0(VALU_DEP_1)
	v_cmpx_eq_u32_e32 0, v2
	s_cbranch_execz .LBB4_2498
; %bb.2497:                             ;   in Loop: Header=BB4_274 Depth=3
	s_bcnt1_i32_b32 s74, s74
	s_delay_alu instid0(SALU_CYCLE_1)
	v_mov_b32_e32 v2, s74
	s_wait_storecnt 0x0
	s_wait_loadcnt_dscnt 0x0
	ds_add_u64 v0, v[2:3]
	s_trap 2
.LBB4_2498:                             ;   in Loop: Header=BB4_274 Depth=3
	s_or_b32 exec_lo, exec_lo, s73
	s_trap 2
	ds_load_b64 v[8:9], v0
	s_wait_dscnt 0x0
	v_add_nc_u64_e32 v[48:49], v[48:49], v[52:53]
	s_mov_b32 s73, exec_lo
	s_delay_alu instid0(VALU_DEP_1)
	v_cmpx_lt_u64_e64 v[8:9], v[48:49]
	s_cbranch_execz .LBB4_2507
; %bb.2499:                             ;   in Loop: Header=BB4_274 Depth=3
	s_mov_b32 s74, 0
	s_mov_b32 s77, 0
                                        ; implicit-def: $sgpr75
                                        ; implicit-def: $sgpr76
	s_branch .LBB4_2501
.LBB4_2500:                             ;   in Loop: Header=BB4_2501 Depth=4
	s_or_b32 exec_lo, exec_lo, s79
	s_delay_alu instid0(SALU_CYCLE_1) | instskip(NEXT) | instid1(SALU_CYCLE_1)
	s_and_b32 s78, exec_lo, s88
	s_or_b32 s74, s78, s74
	s_and_not1_b32 s75, s75, exec_lo
	s_and_b32 s78, s76, exec_lo
	s_delay_alu instid0(SALU_CYCLE_1)
	s_or_b32 s75, s75, s78
	s_and_not1_b32 exec_lo, exec_lo, s74
	s_cbranch_execz .LBB4_2505
.LBB4_2501:                             ;   Parent Loop BB4_47 Depth=1
                                        ;     Parent Loop BB4_271 Depth=2
                                        ;       Parent Loop BB4_274 Depth=3
                                        ; =>      This Inner Loop Header: Depth=4
	s_add_co_i32 s77, s77, 1
	s_delay_alu instid0(SALU_CYCLE_1) | instskip(SKIP_1) | instid1(SALU_CYCLE_1)
	s_cmp_lg_u32 s77, 0x2710
	s_cselect_b32 s78, -1, 0
	s_and_b32 vcc_lo, exec_lo, s78
	s_cbranch_vccz .LBB4_2503
; %bb.2502:                             ;   in Loop: Header=BB4_2501 Depth=4
	s_mov_b32 s88, -1
	s_or_b32 s76, s76, exec_lo
	s_and_saveexec_b32 s79, s78
	s_cbranch_execz .LBB4_2500
	s_branch .LBB4_2504
.LBB4_2503:                             ;   in Loop: Header=BB4_2501 Depth=4
	s_trap 2
	ds_load_b64 v[8:9], v0
	s_and_not1_b32 s78, s78, exec_lo
	s_mov_b32 s77, 0
	s_wait_storecnt 0x0
	s_wait_loadcnt_dscnt 0x0
	flat_load_b32 v2, v[8:9] scope:SCOPE_SYS
	s_wait_loadcnt_dscnt 0x0
	global_inv scope:SCOPE_SYS
	v_cmp_eq_u32_e32 vcc_lo, 0, v2
	s_and_b32 s79, vcc_lo, exec_lo
	s_delay_alu instid0(SALU_CYCLE_1)
	s_or_b32 s78, s78, s79
	s_mov_b32 s88, -1
	s_or_b32 s76, s76, exec_lo
	s_and_saveexec_b32 s79, s78
	s_cbranch_execz .LBB4_2500
.LBB4_2504:                             ;   in Loop: Header=BB4_2501 Depth=4
	s_sleep 1
	s_trap 2
	ds_load_b64 v[8:9], v0
	s_wait_dscnt 0x0
	s_and_not1_b32 s76, s76, exec_lo
	v_cmp_ge_u64_e32 vcc_lo, v[8:9], v[48:49]
	s_or_not1_b32 s88, vcc_lo, exec_lo
	s_branch .LBB4_2500
.LBB4_2505:                             ;   in Loop: Header=BB4_274 Depth=3
	s_or_b32 exec_lo, exec_lo, s74
	s_and_saveexec_b32 s74, s75
	s_delay_alu instid0(SALU_CYCLE_1)
	s_xor_b32 s74, exec_lo, s74
	s_cbranch_execz .LBB4_2507
; %bb.2506:                             ;   in Loop: Header=BB4_274 Depth=3
	ds_store_b32 v0, v89
	s_trap 2
.LBB4_2507:                             ;   in Loop: Header=BB4_274 Depth=3
	s_or_b32 exec_lo, exec_lo, s73
	;;#ASMSTART
	s_wakeup
	;;#ASMEND
.LBB4_2508:                             ;   in Loop: Header=BB4_274 Depth=3
	s_or_b32 exec_lo, exec_lo, s15
.LBB4_2509:                             ;   in Loop: Header=BB4_274 Depth=3
	s_and_not1_saveexec_b32 s14, s14
	s_cbranch_execz .LBB4_2511
; %bb.2510:                             ;   in Loop: Header=BB4_274 Depth=3
	;;#ASMSTART
	s_waitcnt lgkmcnt(0) vmcnt(0)
	;;#ASMEND
	s_barrier_signal -1
	s_barrier_wait -1
.LBB4_2511:                             ;   in Loop: Header=BB4_274 Depth=3
	s_or_b32 exec_lo, exec_lo, s14
	v_and_b32_e32 v2, 16, v30
.LBB4_2512:                             ;   in Loop: Header=BB4_274 Depth=3
	s_or_b32 exec_lo, exec_lo, s13
	s_delay_alu instid0(VALU_DEP_1) | instskip(SKIP_1) | instid1(SALU_CYCLE_1)
	v_cmp_ne_u32_e32 vcc_lo, 0, v2
	s_xor_b32 s13, s4, -1
	s_and_b32 s14, vcc_lo, s13
	s_delay_alu instid0(SALU_CYCLE_1)
	s_and_saveexec_b32 s13, s14
	s_cbranch_execz .LBB4_2514
; %bb.2513:                             ;   in Loop: Header=BB4_274 Depth=3
	global_wb scope:SCOPE_SYS
	s_wait_storecnt 0x0
	s_wait_loadcnt_dscnt 0x0
	flat_store_b32 v[38:39], v89 scope:SCOPE_SYS
.LBB4_2514:                             ;   in Loop: Header=BB4_274 Depth=3
	s_wait_xcnt 0x0
	s_or_b32 exec_lo, exec_lo, s13
	v_and_b32_e32 v2, 48, v30
	s_mov_b32 s13, exec_lo
	s_delay_alu instid0(VALU_DEP_1)
	v_cmpx_ne_u32_e32 0, v2
	s_cbranch_execz .LBB4_273
; %bb.2515:                             ;   in Loop: Header=BB4_274 Depth=3
	v_add_nc_u64_e32 v[114:115], 2, v[114:115]
	global_wb scope:SCOPE_SYS
	s_wait_storecnt 0x0
	s_wait_loadcnt_dscnt 0x0
	flat_store_b64 v[32:33], v[114:115] scope:SCOPE_SYS
	s_branch .LBB4_273
.LBB4_2516:                             ;   in Loop: Header=BB4_271 Depth=2
	s_or_b32 exec_lo, exec_lo, s44
.LBB4_2517:                             ;   in Loop: Header=BB4_271 Depth=2
	s_delay_alu instid0(SALU_CYCLE_1) | instskip(NEXT) | instid1(SALU_CYCLE_1)
	s_or_b32 exec_lo, exec_lo, s41
	s_mov_b32 s14, exec_lo
	v_cmpx_gt_i32_e32 2, v2
	s_cbranch_execz .LBB4_270
; %bb.2518:                             ;   in Loop: Header=BB4_271 Depth=2
	v_cmp_eq_u32_e64 s41, 0, v2
	s_mov_b32 s15, 0
	s_branch .LBB4_2520
.LBB4_2519:                             ;   in Loop: Header=BB4_2520 Depth=3
	s_wait_xcnt 0x0
	s_or_b32 exec_lo, exec_lo, s13
	v_add_nc_u32_e32 v42, v40, v42
	s_mov_b32 s41, 0
	s_and_not1_b32 exec_lo, exec_lo, s15
	s_cbranch_execz .LBB4_269
.LBB4_2520:                             ;   Parent Loop BB4_47 Depth=1
                                        ;     Parent Loop BB4_271 Depth=2
                                        ; =>    This Loop Header: Depth=3
                                        ;         Child Loop BB4_2526 Depth 4
                                        ;         Child Loop BB4_2554 Depth 4
	;; [unrolled: 1-line block ×3, first 2 shown]
	s_delay_alu instid0(VALU_DEP_1) | instskip(SKIP_2) | instid1(VALU_DEP_2)
	v_sub_nc_u32_e32 v2, v76, v42
	v_and_b32_e32 v8, 12, v30
	s_mov_b32 s44, exec_lo
	v_min_i32_e32 v40, v40, v2
	s_delay_alu instid0(VALU_DEP_2)
	v_cmpx_ne_u32_e32 0, v8
	s_cbranch_execz .LBB4_2546
; %bb.2521:                             ;   in Loop: Header=BB4_2520 Depth=3
	v_and_b32_e32 v2, 8, v30
	v_add_nc_u64_e32 v[8:9], 2, v[114:115]
	s_mov_b32 s45, exec_lo
	s_wait_loadcnt_dscnt 0x1
	s_delay_alu instid0(VALU_DEP_2) | instskip(NEXT) | instid1(VALU_DEP_1)
	v_add_nc_u64_e32 v[10:11], v[50:51], v[2:3]
	v_cmpx_lt_u64_e64 v[10:11], v[8:9]
	s_cbranch_execz .LBB4_2533
; %bb.2522:                             ;   in Loop: Header=BB4_2520 Depth=3
	v_and_b32_e32 v10, 64, v30
	s_mov_b32 s72, 0
	s_mov_b32 s76, 0
                                        ; implicit-def: $sgpr73
                                        ; implicit-def: $sgpr74
                                        ; implicit-def: $sgpr75
	s_delay_alu instid0(VALU_DEP_1)
	v_cmp_eq_u32_e32 vcc_lo, 0, v10
	s_branch .LBB4_2526
.LBB4_2523:                             ;   in Loop: Header=BB4_2526 Depth=4
	s_wait_loadcnt_dscnt 0x0
	v_add_nc_u64_e32 v[12:13], v[50:51], v[2:3]
	s_or_b32 s79, s79, exec_lo
	s_delay_alu instid0(VALU_DEP_1)
	v_cmp_ge_u64_e64 s13, v[12:13], v[8:9]
	s_or_not1_b32 s78, s13, exec_lo
.LBB4_2524:                             ;   in Loop: Header=BB4_2526 Depth=4
	s_or_b32 exec_lo, exec_lo, s89
	s_delay_alu instid0(SALU_CYCLE_1)
	s_and_not1_b32 s13, s75, exec_lo
	s_and_b32 s75, s79, exec_lo
	s_and_not1_b32 s74, s74, exec_lo
	s_and_b32 s78, s78, exec_lo
	s_or_b32 s75, s13, s75
	s_or_b32 s74, s74, s78
.LBB4_2525:                             ;   in Loop: Header=BB4_2526 Depth=4
	s_or_b32 exec_lo, exec_lo, s77
	s_delay_alu instid0(SALU_CYCLE_1) | instskip(NEXT) | instid1(SALU_CYCLE_1)
	s_and_b32 s13, exec_lo, s74
	s_or_b32 s72, s13, s72
	s_and_not1_b32 s13, s73, exec_lo
	s_and_b32 s73, s75, exec_lo
	s_delay_alu instid0(SALU_CYCLE_1)
	s_or_b32 s73, s13, s73
	s_and_not1_b32 exec_lo, exec_lo, s72
	s_cbranch_execz .LBB4_2530
.LBB4_2526:                             ;   Parent Loop BB4_47 Depth=1
                                        ;     Parent Loop BB4_271 Depth=2
                                        ;       Parent Loop BB4_2520 Depth=3
                                        ; =>      This Inner Loop Header: Depth=4
	s_sleep 1
	s_wait_loadcnt_dscnt 0x0
	flat_load_b64 v[50:51], v[32:33] scope:SCOPE_SYS
	s_or_b32 s75, s75, exec_lo
	s_or_b32 s74, s74, exec_lo
                                        ; implicit-def: $vgpr10
	s_wait_xcnt 0x0
	s_and_saveexec_b32 s77, vcc_lo
	s_cbranch_execz .LBB4_2525
; %bb.2527:                             ;   in Loop: Header=BB4_2526 Depth=4
	s_cmp_lt_i32 s76, 0x270f
	s_mov_b32 s78, -1
	s_cselect_b32 s88, -1, 0
	s_cmp_gt_i32 s76, 0x270e
	s_cbranch_scc0 .LBB4_2529
; %bb.2528:                             ;   in Loop: Header=BB4_2526 Depth=4
	s_trap 2
	ds_load_b64 v[10:11], v0
	s_and_not1_b32 s76, s88, exec_lo
	s_mov_b32 s79, 0
	s_wait_storecnt 0x0
	s_wait_loadcnt_dscnt 0x0
	flat_load_b32 v10, v[10:11] scope:SCOPE_SYS
	s_wait_loadcnt_dscnt 0x0
	global_inv scope:SCOPE_SYS
	v_cmp_eq_u32_e64 s13, 0, v10
	s_and_b32 s13, s13, exec_lo
	s_delay_alu instid0(SALU_CYCLE_1)
	s_or_b32 s88, s76, s13
	s_mov_b32 s76, 0
	s_and_saveexec_b32 s89, s88
	s_cbranch_execz .LBB4_2524
	s_branch .LBB4_2523
.LBB4_2529:                             ;   in Loop: Header=BB4_2526 Depth=4
	s_add_co_i32 s76, s76, 1
	s_mov_b32 s79, -1
                                        ; implicit-def: $vgpr10
	s_and_saveexec_b32 s89, s88
	s_cbranch_execz .LBB4_2524
	s_branch .LBB4_2523
.LBB4_2530:                             ;   in Loop: Header=BB4_2520 Depth=3
	s_or_b32 exec_lo, exec_lo, s72
	s_xor_b32 s13, s73, -1
	s_delay_alu instid0(SALU_CYCLE_1) | instskip(NEXT) | instid1(SALU_CYCLE_1)
	s_and_saveexec_b32 s72, s13
	s_xor_b32 s13, exec_lo, s72
	s_cbranch_execz .LBB4_2532
; %bb.2531:                             ;   in Loop: Header=BB4_2520 Depth=3
	v_or_b32_e32 v30, 64, v30
	s_wait_storecnt 0x0
	s_wait_loadcnt_dscnt 0x0
	ds_store_b32 v0, v10
	s_trap 2
.LBB4_2532:                             ;   in Loop: Header=BB4_2520 Depth=3
	s_or_b32 exec_lo, exec_lo, s13
.LBB4_2533:                             ;   in Loop: Header=BB4_2520 Depth=3
	s_delay_alu instid0(SALU_CYCLE_1) | instskip(SKIP_2) | instid1(VALU_DEP_1)
	s_or_b32 exec_lo, exec_lo, s45
	v_and_b32_e32 v10, 0x108, v30
	;;#ASMSTART
	s_wakeup
	;;#ASMEND
	v_cmp_ne_u32_e32 vcc_lo, 0x108, v10
                                        ; implicit-def: $vgpr10_vgpr11
	s_and_saveexec_b32 s13, vcc_lo
	s_delay_alu instid0(SALU_CYCLE_1)
	s_xor_b32 s13, exec_lo, s13
; %bb.2534:                             ;   in Loop: Header=BB4_2520 Depth=3
	v_dual_mov_b32 v11, v3 :: v_dual_bitop2_b32 v10, 7, v114 bitop3:0x40
                                        ; implicit-def: $vgpr114_vgpr115
; %bb.2535:                             ;   in Loop: Header=BB4_2520 Depth=3
	s_and_not1_saveexec_b32 s13, s13
	s_cbranch_execz .LBB4_2537
; %bb.2536:                             ;   in Loop: Header=BB4_2520 Depth=3
	v_dual_ashrrev_i32 v41, 31, v40 :: v_dual_bitop2_b32 v10, 7, v114 bitop3:0x40
	v_mov_b32_e32 v11, v3
	s_delay_alu instid0(VALU_DEP_2)
	v_mad_nc_u64_u32 v[12:13], v10, 24, v[6:7]
	flat_store_b64 v[12:13], v[40:41] offset:8
.LBB4_2537:                             ;   in Loop: Header=BB4_2520 Depth=3
	s_wait_xcnt 0x0
	s_or_b32 exec_lo, exec_lo, s13
	v_and_b32_e32 v12, 0x100, v30
	s_mov_b32 s13, -1
	s_delay_alu instid0(VALU_DEP_1)
	v_cmp_ne_u32_e32 vcc_lo, 0, v12
                                        ; implicit-def: $vgpr12_vgpr13
	s_and_saveexec_b32 s45, vcc_lo
	s_cbranch_execz .LBB4_2541
; %bb.2538:                             ;   in Loop: Header=BB4_2520 Depth=3
	v_mad_nc_u64_u32 v[14:15], v10, 24, v[6:7]
	s_delay_alu instid0(VALU_DEP_1)
	v_mad_u32 v15, v11, 24, v15
	flat_load_b32 v12, v[14:15]
	s_wait_loadcnt_dscnt 0x0
	v_cmp_eq_u32_e64 s13, 1, v12
	v_cmp_ne_u32_e32 vcc_lo, 1, v12
                                        ; implicit-def: $vgpr12_vgpr13
	s_wait_xcnt 0x0
	s_and_saveexec_b32 s72, s13
	s_cbranch_execz .LBB4_2540
; %bb.2539:                             ;   in Loop: Header=BB4_2520 Depth=3
	flat_load_b32 v12, v[14:15] offset:4 scope:SCOPE_SYS
	s_wait_loadcnt_dscnt 0x0
	v_ashrrev_i32_e32 v13, 31, v12
.LBB4_2540:                             ;   in Loop: Header=BB4_2520 Depth=3
	s_wait_xcnt 0x0
	s_or_b32 exec_lo, exec_lo, s72
	s_delay_alu instid0(SALU_CYCLE_1)
	s_or_not1_b32 s13, vcc_lo, exec_lo
.LBB4_2541:                             ;   in Loop: Header=BB4_2520 Depth=3
	s_or_b32 exec_lo, exec_lo, s45
	s_and_saveexec_b32 s45, s13
; %bb.2542:                             ;   in Loop: Header=BB4_2520 Depth=3
	v_mul_u64_e32 v[12:13], v[10:11], v[34:35]
; %bb.2543:                             ;   in Loop: Header=BB4_2520 Depth=3
	s_or_b32 exec_lo, exec_lo, s45
	v_cmp_eq_u32_e32 vcc_lo, 0, v2
	s_delay_alu instid0(VALU_DEP_2) | instskip(SKIP_3) | instid1(VALU_DEP_1)
	v_add_nc_u64_e32 v[10:11], v[36:37], v[12:13]
	v_and_b32_e32 v14, 0x2000, v30
	s_mov_b32 s13, exec_lo
	v_cndmask_b32_e32 v2, 0xc8, v90, vcc_lo
	v_add_nc_u32_e32 v2, v0, v2
	ds_store_b64 v2, v[10:11] offset:584
	v_cmpx_ne_u32_e32 0, v14
	s_cbranch_execz .LBB4_2545
; %bb.2544:                             ;   in Loop: Header=BB4_2520 Depth=3
	ds_load_b64 v[10:11], v0 offset:872
	s_wait_dscnt 0x0
	v_add_nc_u64_e32 v[10:11], 1, v[10:11]
	ds_store_b64 v0, v[10:11] offset:872
.LBB4_2545:                             ;   in Loop: Header=BB4_2520 Depth=3
	s_or_b32 exec_lo, exec_lo, s13
	v_mov_b64_e32 v[114:115], v[8:9]
.LBB4_2546:                             ;   in Loop: Header=BB4_2520 Depth=3
	s_or_b32 exec_lo, exec_lo, s44
	s_xor_b32 s13, s41, -1
	s_delay_alu instid0(SALU_CYCLE_1) | instskip(NEXT) | instid1(SALU_CYCLE_1)
	s_and_b32 s13, exec_lo, s13
	s_or_b32 s15, s13, s15
	s_and_saveexec_b32 s13, s2
	s_cbranch_execz .LBB4_2565
; %bb.2547:                             ;   in Loop: Header=BB4_2520 Depth=3
	s_and_saveexec_b32 s41, s3
	s_delay_alu instid0(SALU_CYCLE_1)
	s_xor_b32 s41, exec_lo, s41
	s_cbranch_execz .LBB4_2562
; %bb.2548:                             ;   in Loop: Header=BB4_2520 Depth=3
	s_and_saveexec_b32 s44, s6
	s_cbranch_execz .LBB4_2561
; %bb.2549:                             ;   in Loop: Header=BB4_2520 Depth=3
	s_mov_b32 s72, exec_lo
	s_mov_b32 s45, exec_lo
	v_mbcnt_lo_u32_b32 v2, s72, 0
	global_wb scope:SCOPE_DEV
	s_wait_storecnt 0x0
	s_wait_loadcnt_dscnt 0x0
	global_inv scope:SCOPE_DEV
	v_cmpx_eq_u32_e32 0, v2
	s_cbranch_execz .LBB4_2551
; %bb.2550:                             ;   in Loop: Header=BB4_2520 Depth=3
	s_bcnt1_i32_b32 s72, s72
	s_delay_alu instid0(SALU_CYCLE_1)
	v_mov_b32_e32 v2, s72
	s_wait_loadcnt 0x0
	ds_add_u64 v0, v[2:3]
	s_trap 2
.LBB4_2551:                             ;   in Loop: Header=BB4_2520 Depth=3
	s_or_b32 exec_lo, exec_lo, s45
	s_trap 2
	ds_load_b64 v[8:9], v0
	s_wait_dscnt 0x0
	v_add_nc_u64_e32 v[48:49], v[48:49], v[52:53]
	s_mov_b32 s45, exec_lo
	s_delay_alu instid0(VALU_DEP_1)
	v_cmpx_lt_u64_e64 v[8:9], v[48:49]
	s_cbranch_execz .LBB4_2560
; %bb.2552:                             ;   in Loop: Header=BB4_2520 Depth=3
	s_mov_b32 s72, 0
	s_mov_b32 s75, 0
                                        ; implicit-def: $sgpr73
                                        ; implicit-def: $sgpr74
	s_branch .LBB4_2554
.LBB4_2553:                             ;   in Loop: Header=BB4_2554 Depth=4
	s_or_b32 exec_lo, exec_lo, s77
	s_delay_alu instid0(SALU_CYCLE_1) | instskip(NEXT) | instid1(SALU_CYCLE_1)
	s_and_b32 s76, exec_lo, s78
	s_or_b32 s72, s76, s72
	s_and_not1_b32 s73, s73, exec_lo
	s_and_b32 s76, s74, exec_lo
	s_delay_alu instid0(SALU_CYCLE_1)
	s_or_b32 s73, s73, s76
	s_and_not1_b32 exec_lo, exec_lo, s72
	s_cbranch_execz .LBB4_2558
.LBB4_2554:                             ;   Parent Loop BB4_47 Depth=1
                                        ;     Parent Loop BB4_271 Depth=2
                                        ;       Parent Loop BB4_2520 Depth=3
                                        ; =>      This Inner Loop Header: Depth=4
	s_add_co_i32 s75, s75, 1
	s_delay_alu instid0(SALU_CYCLE_1) | instskip(SKIP_1) | instid1(SALU_CYCLE_1)
	s_cmp_lg_u32 s75, 0x2710
	s_cselect_b32 s76, -1, 0
	s_and_b32 vcc_lo, exec_lo, s76
	s_cbranch_vccz .LBB4_2556
; %bb.2555:                             ;   in Loop: Header=BB4_2554 Depth=4
	s_mov_b32 s78, -1
	s_or_b32 s74, s74, exec_lo
	s_and_saveexec_b32 s77, s76
	s_cbranch_execz .LBB4_2553
	s_branch .LBB4_2557
.LBB4_2556:                             ;   in Loop: Header=BB4_2554 Depth=4
	s_trap 2
	ds_load_b64 v[8:9], v0
	s_and_not1_b32 s76, s76, exec_lo
	s_mov_b32 s75, 0
	s_wait_loadcnt_dscnt 0x0
	flat_load_b32 v2, v[8:9] scope:SCOPE_SYS
	s_wait_loadcnt_dscnt 0x0
	global_inv scope:SCOPE_SYS
	v_cmp_eq_u32_e32 vcc_lo, 0, v2
	s_and_b32 s77, vcc_lo, exec_lo
	s_delay_alu instid0(SALU_CYCLE_1)
	s_or_b32 s76, s76, s77
	s_mov_b32 s78, -1
	s_or_b32 s74, s74, exec_lo
	s_and_saveexec_b32 s77, s76
	s_cbranch_execz .LBB4_2553
.LBB4_2557:                             ;   in Loop: Header=BB4_2554 Depth=4
	s_sleep 1
	s_trap 2
	ds_load_b64 v[8:9], v0
	s_wait_dscnt 0x0
	s_and_not1_b32 s74, s74, exec_lo
	v_cmp_ge_u64_e32 vcc_lo, v[8:9], v[48:49]
	s_or_not1_b32 s78, vcc_lo, exec_lo
	s_branch .LBB4_2553
.LBB4_2558:                             ;   in Loop: Header=BB4_2520 Depth=3
	s_or_b32 exec_lo, exec_lo, s72
	s_and_saveexec_b32 s72, s73
	s_delay_alu instid0(SALU_CYCLE_1)
	s_xor_b32 s72, exec_lo, s72
	s_cbranch_execz .LBB4_2560
; %bb.2559:                             ;   in Loop: Header=BB4_2520 Depth=3
	ds_store_b32 v0, v89
	s_trap 2
.LBB4_2560:                             ;   in Loop: Header=BB4_2520 Depth=3
	s_or_b32 exec_lo, exec_lo, s45
	;;#ASMSTART
	s_wakeup
	;;#ASMEND
.LBB4_2561:                             ;   in Loop: Header=BB4_2520 Depth=3
	s_or_b32 exec_lo, exec_lo, s44
.LBB4_2562:                             ;   in Loop: Header=BB4_2520 Depth=3
	s_and_not1_saveexec_b32 s41, s41
	s_cbranch_execz .LBB4_2564
; %bb.2563:                             ;   in Loop: Header=BB4_2520 Depth=3
	global_wb scope:SCOPE_DEV
	s_wait_storecnt 0x0
	s_wait_loadcnt_dscnt 0x0
	global_inv scope:SCOPE_DEV
	s_barrier_signal -1
	s_barrier_wait -1
.LBB4_2564:                             ;   in Loop: Header=BB4_2520 Depth=3
	s_or_b32 exec_lo, exec_lo, s41
.LBB4_2565:                             ;   in Loop: Header=BB4_2520 Depth=3
	s_delay_alu instid0(SALU_CYCLE_1) | instskip(SKIP_1) | instid1(SALU_CYCLE_1)
	s_or_b32 exec_lo, exec_lo, s13
                                        ; implicit-def: $vgpr2
	s_and_saveexec_b32 s13, s59
	s_xor_b32 s13, exec_lo, s13
	s_cbranch_execz .LBB4_2577
; %bb.2566:                             ;   in Loop: Header=BB4_2520 Depth=3
	s_and_saveexec_b32 s41, s3
	s_delay_alu instid0(SALU_CYCLE_1)
	s_xor_b32 s41, exec_lo, s41
	s_cbranch_execz .LBB4_2582
; %bb.2567:                             ;   in Loop: Header=BB4_2520 Depth=3
	s_and_saveexec_b32 s44, s6
	s_cbranch_execz .LBB4_2581
; %bb.2568:                             ;   in Loop: Header=BB4_2520 Depth=3
	s_mov_b32 s72, exec_lo
	s_mov_b32 s45, exec_lo
	v_mbcnt_lo_u32_b32 v2, s72, 0
	;;#ASMSTART
	s_waitcnt lgkmcnt(0) vmcnt(0)
	;;#ASMEND
	s_delay_alu instid0(VALU_DEP_1)
	v_cmpx_eq_u32_e32 0, v2
	s_cbranch_execz .LBB4_2570
; %bb.2569:                             ;   in Loop: Header=BB4_2520 Depth=3
	s_bcnt1_i32_b32 s72, s72
	s_delay_alu instid0(SALU_CYCLE_1)
	v_mov_b32_e32 v2, s72
	s_wait_storecnt 0x0
	s_wait_loadcnt_dscnt 0x0
	ds_add_u64 v0, v[2:3]
	s_trap 2
.LBB4_2570:                             ;   in Loop: Header=BB4_2520 Depth=3
	s_or_b32 exec_lo, exec_lo, s45
	s_trap 2
	ds_load_b64 v[8:9], v0
	s_wait_dscnt 0x0
	v_add_nc_u64_e32 v[48:49], v[48:49], v[52:53]
	s_mov_b32 s45, exec_lo
	s_delay_alu instid0(VALU_DEP_1)
	v_cmpx_lt_u64_e64 v[8:9], v[48:49]
	s_cbranch_execz .LBB4_2580
; %bb.2571:                             ;   in Loop: Header=BB4_2520 Depth=3
	s_mov_b32 s72, 0
	s_mov_b32 s75, 0
                                        ; implicit-def: $sgpr73
                                        ; implicit-def: $sgpr74
	s_branch .LBB4_2573
.LBB4_2572:                             ;   in Loop: Header=BB4_2573 Depth=4
	s_or_b32 exec_lo, exec_lo, s77
	s_delay_alu instid0(SALU_CYCLE_1) | instskip(NEXT) | instid1(SALU_CYCLE_1)
	s_and_b32 s76, exec_lo, s78
	s_or_b32 s72, s76, s72
	s_and_not1_b32 s73, s73, exec_lo
	s_and_b32 s76, s74, exec_lo
	s_delay_alu instid0(SALU_CYCLE_1)
	s_or_b32 s73, s73, s76
	s_and_not1_b32 exec_lo, exec_lo, s72
	s_cbranch_execz .LBB4_2578
.LBB4_2573:                             ;   Parent Loop BB4_47 Depth=1
                                        ;     Parent Loop BB4_271 Depth=2
                                        ;       Parent Loop BB4_2520 Depth=3
                                        ; =>      This Inner Loop Header: Depth=4
	s_add_co_i32 s75, s75, 1
	s_delay_alu instid0(SALU_CYCLE_1) | instskip(SKIP_1) | instid1(SALU_CYCLE_1)
	s_cmp_lg_u32 s75, 0x2710
	s_cselect_b32 s76, -1, 0
	s_and_b32 vcc_lo, exec_lo, s76
	s_cbranch_vccz .LBB4_2575
; %bb.2574:                             ;   in Loop: Header=BB4_2573 Depth=4
	s_mov_b32 s78, -1
	s_or_b32 s74, s74, exec_lo
	s_and_saveexec_b32 s77, s76
	s_cbranch_execz .LBB4_2572
	s_branch .LBB4_2576
.LBB4_2575:                             ;   in Loop: Header=BB4_2573 Depth=4
	s_trap 2
	ds_load_b64 v[8:9], v0
	s_and_not1_b32 s76, s76, exec_lo
	s_mov_b32 s75, 0
	s_wait_storecnt 0x0
	s_wait_loadcnt_dscnt 0x0
	flat_load_b32 v2, v[8:9] scope:SCOPE_SYS
	s_wait_loadcnt_dscnt 0x0
	global_inv scope:SCOPE_SYS
	v_cmp_eq_u32_e32 vcc_lo, 0, v2
	s_and_b32 s77, vcc_lo, exec_lo
	s_delay_alu instid0(SALU_CYCLE_1)
	s_or_b32 s76, s76, s77
	s_mov_b32 s78, -1
	s_or_b32 s74, s74, exec_lo
	s_and_saveexec_b32 s77, s76
	s_cbranch_execz .LBB4_2572
.LBB4_2576:                             ;   in Loop: Header=BB4_2573 Depth=4
	s_sleep 1
	s_trap 2
	ds_load_b64 v[8:9], v0
	s_wait_dscnt 0x0
	s_and_not1_b32 s74, s74, exec_lo
	v_cmp_ge_u64_e32 vcc_lo, v[8:9], v[48:49]
	s_or_not1_b32 s78, vcc_lo, exec_lo
	s_branch .LBB4_2572
.LBB4_2577:                             ;   in Loop: Header=BB4_2520 Depth=3
	s_and_not1_saveexec_b32 s41, s13
	s_cbranch_execnz .LBB4_2585
	s_branch .LBB4_2588
.LBB4_2578:                             ;   in Loop: Header=BB4_2520 Depth=3
	s_or_b32 exec_lo, exec_lo, s72
	s_and_saveexec_b32 s72, s73
	s_delay_alu instid0(SALU_CYCLE_1)
	s_xor_b32 s72, exec_lo, s72
	s_cbranch_execz .LBB4_2580
; %bb.2579:                             ;   in Loop: Header=BB4_2520 Depth=3
	ds_store_b32 v0, v89
	s_trap 2
.LBB4_2580:                             ;   in Loop: Header=BB4_2520 Depth=3
	s_or_b32 exec_lo, exec_lo, s45
	;;#ASMSTART
	s_wakeup
	;;#ASMEND
.LBB4_2581:                             ;   in Loop: Header=BB4_2520 Depth=3
	s_or_b32 exec_lo, exec_lo, s44
.LBB4_2582:                             ;   in Loop: Header=BB4_2520 Depth=3
	s_and_not1_saveexec_b32 s41, s41
	s_cbranch_execz .LBB4_2584
; %bb.2583:                             ;   in Loop: Header=BB4_2520 Depth=3
	;;#ASMSTART
	s_waitcnt lgkmcnt(0) vmcnt(0)
	;;#ASMEND
	s_barrier_signal -1
	s_barrier_wait -1
.LBB4_2584:                             ;   in Loop: Header=BB4_2520 Depth=3
	s_or_b32 exec_lo, exec_lo, s41
	v_and_b32_e32 v2, 16, v30
	s_and_not1_saveexec_b32 s41, s13
	s_cbranch_execz .LBB4_2588
.LBB4_2585:                             ;   in Loop: Header=BB4_2520 Depth=3
	s_trap 2
	ds_load_b32 v2, v0
	v_cmp_lt_i32_e32 vcc_lo, 0, v40
	s_wait_dscnt 0x0
	v_readfirstlane_b32 s13, v2
	v_and_b32_e32 v2, 16, v30
	s_cmp_eq_u32 s13, 0
	s_delay_alu instid0(VALU_DEP_1) | instskip(SKIP_3) | instid1(SALU_CYCLE_1)
	v_cmp_ne_u32_e64 s13, 0, v2
	s_cselect_b32 s44, -1, 0
	v_and_b32_e32 v2, 16, v30
	s_and_b32 s44, vcc_lo, s44
	s_and_b32 s44, s13, s44
	s_delay_alu instid0(SALU_CYCLE_1)
	s_and_saveexec_b32 s13, s44
	s_cbranch_execz .LBB4_2587
; %bb.2586:                             ;   in Loop: Header=BB4_2520 Depth=3
	v_mov_b32_e32 v2, 1
	global_wb scope:SCOPE_SYS
	s_wait_loadcnt 0x0
	s_wait_storecnt 0x0
	global_inv scope:SCOPE_SYS
.LBB4_2587:                             ;   in Loop: Header=BB4_2520 Depth=3
	s_or_b32 exec_lo, exec_lo, s13
.LBB4_2588:                             ;   in Loop: Header=BB4_2520 Depth=3
	s_delay_alu instid0(SALU_CYCLE_1) | instskip(NEXT) | instid1(VALU_DEP_1)
	s_or_b32 exec_lo, exec_lo, s41
	v_cmp_ne_u32_e32 vcc_lo, 0, v2
	s_xor_b32 s13, s4, -1
	s_delay_alu instid0(SALU_CYCLE_1) | instskip(NEXT) | instid1(SALU_CYCLE_1)
	s_and_b32 s41, vcc_lo, s13
	s_and_saveexec_b32 s13, s41
	s_cbranch_execz .LBB4_2590
; %bb.2589:                             ;   in Loop: Header=BB4_2520 Depth=3
	global_wb scope:SCOPE_SYS
	s_wait_storecnt 0x0
	s_wait_loadcnt_dscnt 0x0
	flat_store_b32 v[38:39], v89 scope:SCOPE_SYS
.LBB4_2590:                             ;   in Loop: Header=BB4_2520 Depth=3
	s_wait_xcnt 0x0
	s_or_b32 exec_lo, exec_lo, s13
	v_and_b32_e32 v2, 48, v30
	s_mov_b32 s13, exec_lo
	s_delay_alu instid0(VALU_DEP_1)
	v_cmpx_ne_u32_e32 0, v2
	s_cbranch_execz .LBB4_2519
; %bb.2591:                             ;   in Loop: Header=BB4_2520 Depth=3
	v_add_nc_u64_e32 v[114:115], 2, v[114:115]
	global_wb scope:SCOPE_SYS
	s_wait_storecnt 0x0
	s_wait_loadcnt_dscnt 0x0
	flat_store_b64 v[32:33], v[114:115] scope:SCOPE_SYS
	s_branch .LBB4_2519
.LBB4_2592:                             ;   in Loop: Header=BB4_47 Depth=1
	v_mul_u64_e32 v[8:9], s[16:17], v[112:113]
	v_mov_b32_e32 v42, 0
	s_delay_alu instid0(VALU_DEP_2) | instskip(NEXT) | instid1(VALU_DEP_1)
	v_sub_nc_u64_e32 v[10:11], v[116:117], v[8:9]
	v_min_i64 v[10:11], v[112:113], v[10:11]
	s_delay_alu instid0(VALU_DEP_1) | instskip(SKIP_1) | instid1(VALU_DEP_2)
	v_max_i32_e32 v95, 0, v10
	v_cmp_lt_i32_e32 vcc_lo, 0, v10
	v_add_nc_u32_e32 v2, 31, v95
	s_and_b32 s13, s61, vcc_lo
	s_delay_alu instid0(VALU_DEP_1) | instskip(NEXT) | instid1(VALU_DEP_1)
	v_lshrrev_b32_e32 v2, 1, v2
	v_and_b32_e32 v11, 0x3ffffff0, v2
	s_delay_alu instid0(VALU_DEP_1)
	v_dual_mov_b32 v2, 0 :: v_dual_max_i32 v40, s57, v11
	s_and_saveexec_b32 s18, s13
	s_cbranch_execnz .LBB4_2593
; %bb.7567:                             ;   in Loop: Header=BB4_47 Depth=1
	s_add_pc_i64 .LBB4_6973-.Lpost_addpc10
.Lpost_addpc10:
.LBB4_2593:                             ;   in Loop: Header=BB4_47 Depth=1
	v_add_nc_u64_e32 v[44:45], v[8:9], v[118:119]
	v_mov_b32_e32 v42, 0
	s_mov_b32 s73, 1
	s_mov_b32 s72, -1
	s_mov_b32 s41, 0
	s_branch .LBB4_2595
.LBB4_2594:                             ;   in Loop: Header=BB4_2595 Depth=2
	s_wait_xcnt 0x0
	s_or_b32 exec_lo, exec_lo, s13
	v_dual_add_nc_u32 v42, v40, v42 :: v_dual_mov_b32 v2, s73
	s_xor_b32 s13, s72, -1
	s_mov_b32 s72, 0
	s_mov_b32 s73, 2
	s_delay_alu instid0(VALU_DEP_1) | instskip(SKIP_1) | instid1(SALU_CYCLE_1)
	v_cmp_ge_i32_e32 vcc_lo, v42, v95
	s_or_b32 s13, s13, vcc_lo
	s_and_b32 s13, exec_lo, s13
	s_delay_alu instid0(SALU_CYCLE_1) | instskip(NEXT) | instid1(SALU_CYCLE_1)
	s_or_b32 s41, s13, s41
	s_and_not1_b32 exec_lo, exec_lo, s41
	s_cbranch_execnz .LBB4_2595
; %bb.7569:                             ;   in Loop: Header=BB4_47 Depth=1
	s_add_pc_i64 .LBB4_6972-.Lpost_addpc11
.Lpost_addpc11:
.LBB4_2595:                             ;   Parent Loop BB4_47 Depth=1
                                        ; =>  This Loop Header: Depth=2
                                        ;       Child Loop BB4_2603 Depth 3
                                        ;       Child Loop BB4_2631 Depth 3
	;; [unrolled: 1-line block ×5, first 2 shown]
                                        ;         Child Loop BB4_4171 Depth 4
                                        ;       Child Loop BB4_4181 Depth 3
                                        ;       Child Loop BB4_4761 Depth 3
                                        ;         Child Loop BB4_4798 Depth 4
                                        ;       Child Loop BB4_4811 Depth 3
                                        ;       Child Loop BB4_5808 Depth 3
	;; [unrolled: 1-line block ×6, first 2 shown]
	s_and_saveexec_b32 s13, s0
	s_cbranch_execz .LBB4_2597
; %bb.2596:                             ;   in Loop: Header=BB4_2595 Depth=2
	s_trap 2
	ds_load_b64 v[12:13], v0
	ds_load_2addr_b64 v[8:11], v0 offset1:1
	s_wait_dscnt 0x1
	v_add_nc_u64_e32 v[14:15], v[12:13], v[44:45]
	v_cmp_ne_u64_e32 vcc_lo, 0, v[12:13]
	v_ashrrev_i32_e32 v43, 31, v42
	s_wait_dscnt 0x0
	v_add_nc_u64_e32 v[8:9], v[8:9], v[44:45]
	v_add_nc_u64_e32 v[10:11], v[10:11], v[44:45]
	s_delay_alu instid0(VALU_DEP_3) | instskip(NEXT) | instid1(VALU_DEP_1)
	v_add_nc_u64_e32 v[14:15], v[14:15], v[42:43]
	v_cndmask_b32_e32 v13, 0, v15, vcc_lo
	s_delay_alu instid0(VALU_DEP_4) | instskip(NEXT) | instid1(VALU_DEP_4)
	v_add_nc_u64_e32 v[8:9], v[8:9], v[42:43]
	v_add_nc_u64_e32 v[10:11], v[10:11], v[42:43]
	s_delay_alu instid0(VALU_DEP_4)
	v_cndmask_b32_e32 v12, 0, v14, vcc_lo
	ds_store_b64 v0, v[8:9]
	ds_store_b64 v0, v[10:11]
	;; [unrolled: 1-line block ×3, first 2 shown]
.LBB4_2597:                             ;   in Loop: Header=BB4_2595 Depth=2
	s_or_b32 exec_lo, exec_lo, s13
	v_sub_nc_u32_e32 v2, v95, v42
	v_and_b32_e32 v8, 12, v30
	s_mov_b32 s14, exec_lo
	s_delay_alu instid0(VALU_DEP_2) | instskip(NEXT) | instid1(VALU_DEP_2)
	v_min_i32_e32 v40, v40, v2
	v_cmpx_ne_u32_e32 0, v8
	s_cbranch_execz .LBB4_2623
; %bb.2598:                             ;   in Loop: Header=BB4_2595 Depth=2
	v_and_b32_e32 v2, 8, v30
	v_add_nc_u64_e32 v[8:9], 2, v[114:115]
	s_mov_b32 s15, exec_lo
	s_wait_loadcnt_dscnt 0x1
	s_delay_alu instid0(VALU_DEP_2) | instskip(NEXT) | instid1(VALU_DEP_1)
	v_add_nc_u64_e32 v[10:11], v[50:51], v[2:3]
	v_cmpx_lt_u64_e64 v[10:11], v[8:9]
	s_cbranch_execz .LBB4_2610
; %bb.2599:                             ;   in Loop: Header=BB4_2595 Depth=2
	v_and_b32_e32 v10, 64, v30
	s_mov_b32 s44, 0
	s_mov_b32 s76, 0
                                        ; implicit-def: $sgpr45
                                        ; implicit-def: $sgpr74
                                        ; implicit-def: $sgpr75
	s_delay_alu instid0(VALU_DEP_1)
	v_cmp_eq_u32_e32 vcc_lo, 0, v10
	s_branch .LBB4_2603
.LBB4_2600:                             ;   in Loop: Header=BB4_2603 Depth=3
	s_wait_loadcnt_dscnt 0x0
	v_add_nc_u64_e32 v[12:13], v[50:51], v[2:3]
	s_or_b32 s79, s79, exec_lo
	s_delay_alu instid0(VALU_DEP_1)
	v_cmp_ge_u64_e64 s13, v[12:13], v[8:9]
	s_or_not1_b32 s78, s13, exec_lo
.LBB4_2601:                             ;   in Loop: Header=BB4_2603 Depth=3
	s_or_b32 exec_lo, exec_lo, s89
	s_delay_alu instid0(SALU_CYCLE_1)
	s_and_not1_b32 s13, s75, exec_lo
	s_and_b32 s75, s79, exec_lo
	s_and_not1_b32 s74, s74, exec_lo
	s_and_b32 s78, s78, exec_lo
	s_or_b32 s75, s13, s75
	s_or_b32 s74, s74, s78
.LBB4_2602:                             ;   in Loop: Header=BB4_2603 Depth=3
	s_or_b32 exec_lo, exec_lo, s77
	s_delay_alu instid0(SALU_CYCLE_1) | instskip(NEXT) | instid1(SALU_CYCLE_1)
	s_and_b32 s13, exec_lo, s74
	s_or_b32 s44, s13, s44
	s_and_not1_b32 s13, s45, exec_lo
	s_and_b32 s45, s75, exec_lo
	s_delay_alu instid0(SALU_CYCLE_1)
	s_or_b32 s45, s13, s45
	s_and_not1_b32 exec_lo, exec_lo, s44
	s_cbranch_execz .LBB4_2607
.LBB4_2603:                             ;   Parent Loop BB4_47 Depth=1
                                        ;     Parent Loop BB4_2595 Depth=2
                                        ; =>    This Inner Loop Header: Depth=3
	s_sleep 1
	s_wait_loadcnt_dscnt 0x0
	flat_load_b64 v[50:51], v[32:33] scope:SCOPE_SYS
	s_or_b32 s75, s75, exec_lo
	s_or_b32 s74, s74, exec_lo
                                        ; implicit-def: $vgpr10
	s_wait_xcnt 0x0
	s_and_saveexec_b32 s77, vcc_lo
	s_cbranch_execz .LBB4_2602
; %bb.2604:                             ;   in Loop: Header=BB4_2603 Depth=3
	s_cmp_lt_i32 s76, 0x270f
	s_mov_b32 s78, -1
	s_cselect_b32 s88, -1, 0
	s_cmp_gt_i32 s76, 0x270e
	s_cbranch_scc0 .LBB4_2606
; %bb.2605:                             ;   in Loop: Header=BB4_2603 Depth=3
	s_trap 2
	ds_load_b64 v[10:11], v0
	s_and_not1_b32 s76, s88, exec_lo
	s_mov_b32 s79, 0
	s_wait_storecnt 0x0
	s_wait_loadcnt_dscnt 0x0
	flat_load_b32 v10, v[10:11] scope:SCOPE_SYS
	s_wait_loadcnt_dscnt 0x0
	global_inv scope:SCOPE_SYS
	v_cmp_eq_u32_e64 s13, 0, v10
	s_and_b32 s13, s13, exec_lo
	s_delay_alu instid0(SALU_CYCLE_1)
	s_or_b32 s88, s76, s13
	s_mov_b32 s76, 0
	s_and_saveexec_b32 s89, s88
	s_cbranch_execz .LBB4_2601
	s_branch .LBB4_2600
.LBB4_2606:                             ;   in Loop: Header=BB4_2603 Depth=3
	s_add_co_i32 s76, s76, 1
	s_mov_b32 s79, -1
                                        ; implicit-def: $vgpr10
	s_and_saveexec_b32 s89, s88
	s_cbranch_execz .LBB4_2601
	s_branch .LBB4_2600
.LBB4_2607:                             ;   in Loop: Header=BB4_2595 Depth=2
	s_or_b32 exec_lo, exec_lo, s44
	s_xor_b32 s13, s45, -1
	s_delay_alu instid0(SALU_CYCLE_1) | instskip(NEXT) | instid1(SALU_CYCLE_1)
	s_and_saveexec_b32 s44, s13
	s_xor_b32 s13, exec_lo, s44
	s_cbranch_execz .LBB4_2609
; %bb.2608:                             ;   in Loop: Header=BB4_2595 Depth=2
	v_or_b32_e32 v30, 64, v30
	s_wait_storecnt 0x0
	s_wait_loadcnt_dscnt 0x0
	ds_store_b32 v0, v10
	s_trap 2
.LBB4_2609:                             ;   in Loop: Header=BB4_2595 Depth=2
	s_or_b32 exec_lo, exec_lo, s13
.LBB4_2610:                             ;   in Loop: Header=BB4_2595 Depth=2
	s_delay_alu instid0(SALU_CYCLE_1) | instskip(SKIP_2) | instid1(VALU_DEP_1)
	s_or_b32 exec_lo, exec_lo, s15
	v_and_b32_e32 v10, 0x108, v30
	;;#ASMSTART
	s_wakeup
	;;#ASMEND
	v_cmp_ne_u32_e32 vcc_lo, 0x108, v10
                                        ; implicit-def: $vgpr10_vgpr11
	s_and_saveexec_b32 s13, vcc_lo
	s_delay_alu instid0(SALU_CYCLE_1)
	s_xor_b32 s13, exec_lo, s13
; %bb.2611:                             ;   in Loop: Header=BB4_2595 Depth=2
	v_dual_mov_b32 v11, v3 :: v_dual_bitop2_b32 v10, 7, v114 bitop3:0x40
                                        ; implicit-def: $vgpr114_vgpr115
; %bb.2612:                             ;   in Loop: Header=BB4_2595 Depth=2
	s_and_not1_saveexec_b32 s13, s13
	s_cbranch_execz .LBB4_2614
; %bb.2613:                             ;   in Loop: Header=BB4_2595 Depth=2
	v_dual_ashrrev_i32 v41, 31, v40 :: v_dual_bitop2_b32 v10, 7, v114 bitop3:0x40
	v_mov_b32_e32 v11, v3
	s_delay_alu instid0(VALU_DEP_2)
	v_mad_nc_u64_u32 v[12:13], v10, 24, v[6:7]
	flat_store_b64 v[12:13], v[40:41] offset:8
.LBB4_2614:                             ;   in Loop: Header=BB4_2595 Depth=2
	s_wait_xcnt 0x0
	s_or_b32 exec_lo, exec_lo, s13
	v_and_b32_e32 v12, 0x100, v30
	s_mov_b32 s13, -1
	s_delay_alu instid0(VALU_DEP_1)
	v_cmp_ne_u32_e32 vcc_lo, 0, v12
                                        ; implicit-def: $vgpr12_vgpr13
	s_and_saveexec_b32 s15, vcc_lo
	s_cbranch_execz .LBB4_2618
; %bb.2615:                             ;   in Loop: Header=BB4_2595 Depth=2
	v_mad_nc_u64_u32 v[14:15], v10, 24, v[6:7]
	s_delay_alu instid0(VALU_DEP_1)
	v_mad_u32 v15, v11, 24, v15
	flat_load_b32 v12, v[14:15]
	s_wait_loadcnt_dscnt 0x0
	v_cmp_eq_u32_e64 s13, 1, v12
	v_cmp_ne_u32_e32 vcc_lo, 1, v12
                                        ; implicit-def: $vgpr12_vgpr13
	s_wait_xcnt 0x0
	s_and_saveexec_b32 s44, s13
	s_cbranch_execz .LBB4_2617
; %bb.2616:                             ;   in Loop: Header=BB4_2595 Depth=2
	flat_load_b32 v12, v[14:15] offset:4 scope:SCOPE_SYS
	s_wait_loadcnt_dscnt 0x0
	v_ashrrev_i32_e32 v13, 31, v12
.LBB4_2617:                             ;   in Loop: Header=BB4_2595 Depth=2
	s_wait_xcnt 0x0
	s_or_b32 exec_lo, exec_lo, s44
	s_delay_alu instid0(SALU_CYCLE_1)
	s_or_not1_b32 s13, vcc_lo, exec_lo
.LBB4_2618:                             ;   in Loop: Header=BB4_2595 Depth=2
	s_or_b32 exec_lo, exec_lo, s15
	s_and_saveexec_b32 s15, s13
; %bb.2619:                             ;   in Loop: Header=BB4_2595 Depth=2
	v_mul_u64_e32 v[12:13], v[10:11], v[34:35]
; %bb.2620:                             ;   in Loop: Header=BB4_2595 Depth=2
	s_or_b32 exec_lo, exec_lo, s15
	v_cmp_eq_u32_e32 vcc_lo, 0, v2
	s_delay_alu instid0(VALU_DEP_2) | instskip(SKIP_3) | instid1(VALU_DEP_1)
	v_add_nc_u64_e32 v[10:11], v[36:37], v[12:13]
	v_and_b32_e32 v14, 0x2000, v30
	s_mov_b32 s13, exec_lo
	v_cndmask_b32_e32 v2, 0xd0, v90, vcc_lo
	v_add_nc_u32_e32 v2, v0, v2
	ds_store_b64 v2, v[10:11] offset:584
	v_cmpx_ne_u32_e32 0, v14
	s_cbranch_execz .LBB4_2622
; %bb.2621:                             ;   in Loop: Header=BB4_2595 Depth=2
	ds_load_b64 v[10:11], v0 offset:872
	s_wait_dscnt 0x0
	v_add_nc_u64_e32 v[10:11], 1, v[10:11]
	ds_store_b64 v0, v[10:11] offset:872
.LBB4_2622:                             ;   in Loop: Header=BB4_2595 Depth=2
	s_or_b32 exec_lo, exec_lo, s13
	v_mov_b64_e32 v[114:115], v[8:9]
.LBB4_2623:                             ;   in Loop: Header=BB4_2595 Depth=2
	s_or_b32 exec_lo, exec_lo, s14
	s_and_saveexec_b32 s13, s2
	s_cbranch_execz .LBB4_2642
; %bb.2624:                             ;   in Loop: Header=BB4_2595 Depth=2
	s_and_saveexec_b32 s14, s3
	s_delay_alu instid0(SALU_CYCLE_1)
	s_xor_b32 s14, exec_lo, s14
	s_cbranch_execz .LBB4_2639
; %bb.2625:                             ;   in Loop: Header=BB4_2595 Depth=2
	s_and_saveexec_b32 s15, s6
	s_cbranch_execz .LBB4_2638
; %bb.2626:                             ;   in Loop: Header=BB4_2595 Depth=2
	s_mov_b32 s45, exec_lo
	s_mov_b32 s44, exec_lo
	v_mbcnt_lo_u32_b32 v2, s45, 0
	global_wb scope:SCOPE_DEV
	s_wait_storecnt 0x0
	s_wait_loadcnt_dscnt 0x0
	global_inv scope:SCOPE_DEV
	v_cmpx_eq_u32_e32 0, v2
	s_cbranch_execz .LBB4_2628
; %bb.2627:                             ;   in Loop: Header=BB4_2595 Depth=2
	s_bcnt1_i32_b32 s45, s45
	s_delay_alu instid0(SALU_CYCLE_1)
	v_mov_b32_e32 v2, s45
	s_wait_loadcnt 0x0
	ds_add_u64 v0, v[2:3]
	s_trap 2
.LBB4_2628:                             ;   in Loop: Header=BB4_2595 Depth=2
	s_or_b32 exec_lo, exec_lo, s44
	s_trap 2
	ds_load_b64 v[8:9], v0
	s_wait_dscnt 0x0
	v_add_nc_u64_e32 v[48:49], v[48:49], v[52:53]
	s_mov_b32 s44, exec_lo
	s_delay_alu instid0(VALU_DEP_1)
	v_cmpx_lt_u64_e64 v[8:9], v[48:49]
	s_cbranch_execz .LBB4_2637
; %bb.2629:                             ;   in Loop: Header=BB4_2595 Depth=2
	s_mov_b32 s45, 0
	s_mov_b32 s76, 0
                                        ; implicit-def: $sgpr74
                                        ; implicit-def: $sgpr75
	s_branch .LBB4_2631
.LBB4_2630:                             ;   in Loop: Header=BB4_2631 Depth=3
	s_or_b32 exec_lo, exec_lo, s78
	s_delay_alu instid0(SALU_CYCLE_1) | instskip(NEXT) | instid1(SALU_CYCLE_1)
	s_and_b32 s77, exec_lo, s79
	s_or_b32 s45, s77, s45
	s_and_not1_b32 s74, s74, exec_lo
	s_and_b32 s77, s75, exec_lo
	s_delay_alu instid0(SALU_CYCLE_1)
	s_or_b32 s74, s74, s77
	s_and_not1_b32 exec_lo, exec_lo, s45
	s_cbranch_execz .LBB4_2635
.LBB4_2631:                             ;   Parent Loop BB4_47 Depth=1
                                        ;     Parent Loop BB4_2595 Depth=2
                                        ; =>    This Inner Loop Header: Depth=3
	s_add_co_i32 s76, s76, 1
	s_delay_alu instid0(SALU_CYCLE_1) | instskip(SKIP_1) | instid1(SALU_CYCLE_1)
	s_cmp_lg_u32 s76, 0x2710
	s_cselect_b32 s77, -1, 0
	s_and_b32 vcc_lo, exec_lo, s77
	s_cbranch_vccz .LBB4_2633
; %bb.2632:                             ;   in Loop: Header=BB4_2631 Depth=3
	s_mov_b32 s79, -1
	s_or_b32 s75, s75, exec_lo
	s_and_saveexec_b32 s78, s77
	s_cbranch_execz .LBB4_2630
	s_branch .LBB4_2634
.LBB4_2633:                             ;   in Loop: Header=BB4_2631 Depth=3
	s_trap 2
	ds_load_b64 v[8:9], v0
	s_and_not1_b32 s77, s77, exec_lo
	s_mov_b32 s76, 0
	s_wait_loadcnt_dscnt 0x0
	flat_load_b32 v2, v[8:9] scope:SCOPE_SYS
	s_wait_loadcnt_dscnt 0x0
	global_inv scope:SCOPE_SYS
	v_cmp_eq_u32_e32 vcc_lo, 0, v2
	s_and_b32 s78, vcc_lo, exec_lo
	s_delay_alu instid0(SALU_CYCLE_1)
	s_or_b32 s77, s77, s78
	s_mov_b32 s79, -1
	s_or_b32 s75, s75, exec_lo
	s_and_saveexec_b32 s78, s77
	s_cbranch_execz .LBB4_2630
.LBB4_2634:                             ;   in Loop: Header=BB4_2631 Depth=3
	s_sleep 1
	s_trap 2
	ds_load_b64 v[8:9], v0
	s_wait_dscnt 0x0
	s_and_not1_b32 s75, s75, exec_lo
	v_cmp_ge_u64_e32 vcc_lo, v[8:9], v[48:49]
	s_or_not1_b32 s79, vcc_lo, exec_lo
	s_branch .LBB4_2630
.LBB4_2635:                             ;   in Loop: Header=BB4_2595 Depth=2
	s_or_b32 exec_lo, exec_lo, s45
	s_and_saveexec_b32 s45, s74
	s_delay_alu instid0(SALU_CYCLE_1)
	s_xor_b32 s45, exec_lo, s45
	s_cbranch_execz .LBB4_2637
; %bb.2636:                             ;   in Loop: Header=BB4_2595 Depth=2
	ds_store_b32 v0, v89
	s_trap 2
.LBB4_2637:                             ;   in Loop: Header=BB4_2595 Depth=2
	s_or_b32 exec_lo, exec_lo, s44
	;;#ASMSTART
	s_wakeup
	;;#ASMEND
.LBB4_2638:                             ;   in Loop: Header=BB4_2595 Depth=2
	s_or_b32 exec_lo, exec_lo, s15
.LBB4_2639:                             ;   in Loop: Header=BB4_2595 Depth=2
	s_and_not1_saveexec_b32 s14, s14
	s_cbranch_execz .LBB4_2641
; %bb.2640:                             ;   in Loop: Header=BB4_2595 Depth=2
	global_wb scope:SCOPE_DEV
	s_wait_storecnt 0x0
	s_wait_loadcnt_dscnt 0x0
	global_inv scope:SCOPE_DEV
	s_barrier_signal -1
	s_barrier_wait -1
.LBB4_2641:                             ;   in Loop: Header=BB4_2595 Depth=2
	s_or_b32 exec_lo, exec_lo, s14
.LBB4_2642:                             ;   in Loop: Header=BB4_2595 Depth=2
	s_delay_alu instid0(SALU_CYCLE_1) | instskip(SKIP_4) | instid1(VALU_DEP_1)
	s_or_b32 exec_lo, exec_lo, s13
	s_trap 2
	ds_load_b32 v8, v0
	v_and_b32_e32 v2, 0x4000, v30
	s_xor_b32 s13, s1, -1
	v_cmp_ne_u32_e32 vcc_lo, 0, v2
	s_and_b32 s14, s13, vcc_lo
	s_delay_alu instid0(SALU_CYCLE_1)
	s_and_saveexec_b32 s13, s14
	s_cbranch_execz .LBB4_2661
; %bb.2643:                             ;   in Loop: Header=BB4_2595 Depth=2
	s_and_saveexec_b32 s14, s3
	s_delay_alu instid0(SALU_CYCLE_1)
	s_xor_b32 s14, exec_lo, s14
	s_cbranch_execz .LBB4_2658
; %bb.2644:                             ;   in Loop: Header=BB4_2595 Depth=2
	s_and_saveexec_b32 s15, s6
	s_cbranch_execz .LBB4_2657
; %bb.2645:                             ;   in Loop: Header=BB4_2595 Depth=2
	s_mov_b32 s45, exec_lo
	s_mov_b32 s44, exec_lo
	v_mbcnt_lo_u32_b32 v2, s45, 0
	global_wb scope:SCOPE_DEV
	s_wait_storecnt 0x0
	s_wait_loadcnt_dscnt 0x0
	global_inv scope:SCOPE_DEV
	v_cmpx_eq_u32_e32 0, v2
	s_cbranch_execz .LBB4_2647
; %bb.2646:                             ;   in Loop: Header=BB4_2595 Depth=2
	s_bcnt1_i32_b32 s45, s45
	s_delay_alu instid0(SALU_CYCLE_1)
	v_mov_b32_e32 v2, s45
	s_wait_loadcnt 0x0
	ds_add_u64 v0, v[2:3]
	s_trap 2
.LBB4_2647:                             ;   in Loop: Header=BB4_2595 Depth=2
	s_or_b32 exec_lo, exec_lo, s44
	s_trap 2
	ds_load_b64 v[10:11], v0
	s_wait_dscnt 0x0
	v_add_nc_u64_e32 v[48:49], v[48:49], v[52:53]
	s_mov_b32 s44, exec_lo
	s_delay_alu instid0(VALU_DEP_1)
	v_cmpx_lt_u64_e64 v[10:11], v[48:49]
	s_cbranch_execz .LBB4_2656
; %bb.2648:                             ;   in Loop: Header=BB4_2595 Depth=2
	s_mov_b32 s45, 0
	s_mov_b32 s76, 0
                                        ; implicit-def: $sgpr74
                                        ; implicit-def: $sgpr75
	s_branch .LBB4_2650
.LBB4_2649:                             ;   in Loop: Header=BB4_2650 Depth=3
	s_or_b32 exec_lo, exec_lo, s78
	s_delay_alu instid0(SALU_CYCLE_1) | instskip(NEXT) | instid1(SALU_CYCLE_1)
	s_and_b32 s77, exec_lo, s79
	s_or_b32 s45, s77, s45
	s_and_not1_b32 s74, s74, exec_lo
	s_and_b32 s77, s75, exec_lo
	s_delay_alu instid0(SALU_CYCLE_1)
	s_or_b32 s74, s74, s77
	s_and_not1_b32 exec_lo, exec_lo, s45
	s_cbranch_execz .LBB4_2654
.LBB4_2650:                             ;   Parent Loop BB4_47 Depth=1
                                        ;     Parent Loop BB4_2595 Depth=2
                                        ; =>    This Inner Loop Header: Depth=3
	s_add_co_i32 s76, s76, 1
	s_delay_alu instid0(SALU_CYCLE_1) | instskip(SKIP_1) | instid1(SALU_CYCLE_1)
	s_cmp_lg_u32 s76, 0x2710
	s_cselect_b32 s77, -1, 0
	s_and_b32 vcc_lo, exec_lo, s77
	s_cbranch_vccz .LBB4_2652
; %bb.2651:                             ;   in Loop: Header=BB4_2650 Depth=3
	s_mov_b32 s79, -1
	s_or_b32 s75, s75, exec_lo
	s_and_saveexec_b32 s78, s77
	s_cbranch_execz .LBB4_2649
	s_branch .LBB4_2653
.LBB4_2652:                             ;   in Loop: Header=BB4_2650 Depth=3
	s_trap 2
	ds_load_b64 v[10:11], v0
	s_and_not1_b32 s77, s77, exec_lo
	s_mov_b32 s76, 0
	s_wait_loadcnt_dscnt 0x0
	flat_load_b32 v2, v[10:11] scope:SCOPE_SYS
	s_wait_loadcnt_dscnt 0x0
	global_inv scope:SCOPE_SYS
	v_cmp_eq_u32_e32 vcc_lo, 0, v2
	s_and_b32 s78, vcc_lo, exec_lo
	s_delay_alu instid0(SALU_CYCLE_1)
	s_or_b32 s77, s77, s78
	s_mov_b32 s79, -1
	s_or_b32 s75, s75, exec_lo
	s_and_saveexec_b32 s78, s77
	s_cbranch_execz .LBB4_2649
.LBB4_2653:                             ;   in Loop: Header=BB4_2650 Depth=3
	s_sleep 1
	s_trap 2
	ds_load_b64 v[10:11], v0
	s_wait_dscnt 0x0
	s_and_not1_b32 s75, s75, exec_lo
	v_cmp_ge_u64_e32 vcc_lo, v[10:11], v[48:49]
	s_or_not1_b32 s79, vcc_lo, exec_lo
	s_branch .LBB4_2649
.LBB4_2654:                             ;   in Loop: Header=BB4_2595 Depth=2
	s_or_b32 exec_lo, exec_lo, s45
	s_and_saveexec_b32 s45, s74
	s_delay_alu instid0(SALU_CYCLE_1)
	s_xor_b32 s45, exec_lo, s45
	s_cbranch_execz .LBB4_2656
; %bb.2655:                             ;   in Loop: Header=BB4_2595 Depth=2
	ds_store_b32 v0, v89
	s_trap 2
.LBB4_2656:                             ;   in Loop: Header=BB4_2595 Depth=2
	s_or_b32 exec_lo, exec_lo, s44
	;;#ASMSTART
	s_wakeup
	;;#ASMEND
.LBB4_2657:                             ;   in Loop: Header=BB4_2595 Depth=2
	s_or_b32 exec_lo, exec_lo, s15
.LBB4_2658:                             ;   in Loop: Header=BB4_2595 Depth=2
	s_and_not1_saveexec_b32 s14, s14
	s_cbranch_execz .LBB4_2660
; %bb.2659:                             ;   in Loop: Header=BB4_2595 Depth=2
	global_wb scope:SCOPE_DEV
	s_wait_storecnt 0x0
	s_wait_loadcnt_dscnt 0x0
	global_inv scope:SCOPE_DEV
	s_barrier_signal -1
	s_barrier_wait -1
.LBB4_2660:                             ;   in Loop: Header=BB4_2595 Depth=2
	s_or_b32 exec_lo, exec_lo, s14
.LBB4_2661:                             ;   in Loop: Header=BB4_2595 Depth=2
	s_delay_alu instid0(SALU_CYCLE_1)
	s_or_b32 exec_lo, exec_lo, s13
	s_trap 2
	ds_load_b64 v[46:47], v0
	s_wait_dscnt 0x0
	v_cmp_eq_u64_e32 vcc_lo, 0, v[46:47]
	s_cbranch_vccnz .LBB4_2670
; %bb.2662:                             ;   in Loop: Header=BB4_2595 Depth=2
	s_trap 2
	ds_load_b64 v[56:57], v0
	s_wait_dscnt 0x0
	v_cmp_eq_u64_e32 vcc_lo, 0, v[56:57]
	s_cbranch_vccnz .LBB4_2670
; %bb.2663:                             ;   in Loop: Header=BB4_2595 Depth=2
	s_trap 2
	ds_load_b64 v[58:59], v0
	v_cmp_eq_u32_e64 s13, 0, v8
	s_delay_alu instid0(VALU_DEP_1)
	v_cndmask_b32_e64 v41, 0, v40, s13
	s_mov_b32 s13, -1
	s_wait_dscnt 0x0
	v_cmp_ne_u64_e32 vcc_lo, 0, v[58:59]
	s_cbranch_vccz .LBB4_4801
; %bb.2664:                             ;   in Loop: Header=BB4_2595 Depth=2
	s_and_saveexec_b32 s14, s12
	s_cbranch_execz .LBB4_2666
; %bb.2665:                             ;   in Loop: Header=BB4_2595 Depth=2
	ds_load_b32 v2, v0 offset:720
	s_wait_dscnt 0x0
	v_and_b32_e32 v2, 15, v2
	s_delay_alu instid0(VALU_DEP_1)
	v_cmp_eq_u32_e32 vcc_lo, 0, v2
	s_or_not1_b32 s13, vcc_lo, exec_lo
.LBB4_2666:                             ;   in Loop: Header=BB4_2595 Depth=2
	s_or_b32 exec_lo, exec_lo, s14
	s_and_saveexec_b32 s14, s12
	s_cbranch_execz .LBB4_2668
; %bb.2667:                             ;   in Loop: Header=BB4_2595 Depth=2
	ds_load_b32 v2, v0 offset:784
	s_wait_dscnt 0x0
	v_and_b32_e32 v2, 15, v2
	s_delay_alu instid0(VALU_DEP_1) | instskip(SKIP_3) | instid1(SALU_CYCLE_1)
	v_cmp_eq_u32_e32 vcc_lo, 0, v2
	s_and_b32 s15, s13, vcc_lo
	s_and_not1_b32 s13, s13, exec_lo
	s_and_b32 s15, s15, exec_lo
	s_or_b32 s13, s13, s15
.LBB4_2668:                             ;   in Loop: Header=BB4_2595 Depth=2
	s_or_b32 exec_lo, exec_lo, s14
	s_xor_b32 s13, s13, -1
	v_dual_mov_b32 v20, 0 :: v_dual_mov_b32 v21, v41
	v_cndmask_b32_e64 v2, 0, 1, s13
	v_mov_b32_e32 v22, v0
	s_mov_b32 s13, -1
	s_delay_alu instid0(VALU_DEP_2)
	v_cmp_ne_u32_e32 vcc_lo, 0, v2
	v_mov_b32_e32 v2, v93
	s_cbranch_vccz .LBB4_2675
; %bb.2669:                             ;   in Loop: Header=BB4_2595 Depth=2
	s_and_saveexec_b32 s15, s13
	s_cbranch_execnz .LBB4_4178
	s_branch .LBB4_4800
.LBB4_2670:                             ;   in Loop: Header=BB4_2595 Depth=2
	s_mov_b32 s13, 0
	s_and_saveexec_b32 s14, s2
	s_cbranch_execz .LBB4_2671
; %bb.7571:                             ;   in Loop: Header=BB4_2595 Depth=2
	s_add_pc_i64 .LBB4_6931-.Lpost_addpc12
.Lpost_addpc12:
.LBB4_2671:                             ;   in Loop: Header=BB4_2595 Depth=2
	s_or_b32 exec_lo, exec_lo, s14
                                        ; implicit-def: $vgpr2
	s_and_saveexec_b32 s14, s10
	s_delay_alu instid0(SALU_CYCLE_1)
	s_xor_b32 s14, exec_lo, s14
	s_cbranch_execnz .LBB4_2672
; %bb.7573:                             ;   in Loop: Header=BB4_2595 Depth=2
	s_add_pc_i64 .LBB4_6949-.Lpost_addpc13
.Lpost_addpc13:
.LBB4_2672:                             ;   in Loop: Header=BB4_2595 Depth=2
	v_and_b32_e32 v2, 16, v30
	s_delay_alu instid0(VALU_DEP_1) | instskip(SKIP_2) | instid1(SALU_CYCLE_1)
	v_cmp_ne_u32_e32 vcc_lo, 0, v2
	v_and_b32_e32 v2, 16, v30
	s_and_b32 s15, vcc_lo, s13
	s_and_saveexec_b32 s13, s15
	s_cbranch_execz .LBB4_2674
; %bb.2673:                             ;   in Loop: Header=BB4_2595 Depth=2
	v_mov_b32_e32 v2, 1
	global_wb scope:SCOPE_SYS
	s_wait_storecnt 0x0
	s_wait_loadcnt_dscnt 0x0
	global_inv scope:SCOPE_SYS
.LBB4_2674:                             ;   in Loop: Header=BB4_2595 Depth=2
	s_or_b32 exec_lo, exec_lo, s13
	s_and_not1_saveexec_b32 s13, s14
	s_cbranch_execnz .LBB4_7557
; %bb.7575:                             ;   in Loop: Header=BB4_2595 Depth=2
	s_add_pc_i64 .LBB4_6968-.Lpost_addpc14
.Lpost_addpc14:
.LBB4_7557:                             ;   in Loop: Header=BB4_2595 Depth=2
	s_add_pc_i64 .LBB4_6950-.Lpost_addpc5
.Lpost_addpc5:
.LBB4_2675:                             ;   in Loop: Header=BB4_2595 Depth=2
	v_ashrrev_i32_e32 v2, 31, v41
	s_mov_b32 s14, exec_lo
	s_delay_alu instid0(VALU_DEP_1) | instskip(NEXT) | instid1(VALU_DEP_1)
	v_lshrrev_b32_e32 v2, 22, v2
	v_add_nc_u32_e32 v2, v41, v2
	s_delay_alu instid0(VALU_DEP_1) | instskip(NEXT) | instid1(VALU_DEP_1)
	v_ashrrev_i32_e32 v104, 10, v2
	v_sub_nc_u32_e32 v43, v104, v93
	s_delay_alu instid0(VALU_DEP_1)
	v_cmpx_lt_i32_e32 0, v43
	s_cbranch_execz .LBB4_3671
; %bb.2676:                             ;   in Loop: Header=BB4_2595 Depth=2
	s_trap 2
	ds_load_b64 v[8:9], v0
	v_add_nc_u64_e32 v[60:61], v[56:57], v[102:103]
	v_add_nc_u64_e32 v[62:63], v[58:59], v[102:103]
	;; [unrolled: 1-line block ×3, first 2 shown]
	s_mov_b32 s15, 0
	s_wait_dscnt 0x0
	v_add_nc_u64_e32 v[74:75], v[8:9], v[102:103]
	s_branch .LBB4_2678
.LBB4_2677:                             ;   in Loop: Header=BB4_2678 Depth=3
	s_or_b32 exec_lo, exec_lo, s13
	v_lshl_or_b32 v8, v110, 8, v109
	v_dual_lshlrev_b32 v9, 16, v76 :: v_dual_lshlrev_b32 v10, 24, v77
	v_lshl_or_b32 v11, v106, 8, v105
	v_dual_lshlrev_b32 v13, 16, v107 :: v_dual_lshlrev_b32 v14, 24, v108
	;; [unrolled: 2-line block ×3, first 2 shown]
	v_or3_b32 v9, v8, v9, v10
	s_delay_alu instid0(VALU_DEP_4)
	v_or3_b32 v8, v11, v13, v14
	v_dual_lshlrev_b32 v11, 24, v21 :: v_dual_lshlrev_b32 v13, 16, v20
	v_lshl_or_b32 v14, v122, 8, v121
	v_or3_b32 v10, v15, v24, v25
	v_lshl_or_b32 v15, v126, 8, v125
	v_dual_lshlrev_b32 v16, 16, v16 :: v_dual_lshlrev_b32 v17, 24, v17
	v_lshl_or_b32 v20, v23, 8, v22
	v_dual_lshlrev_b32 v21, 16, v123 :: v_dual_lshlrev_b32 v22, 24, v124
	;; [unrolled: 2-line block ×3, first 2 shown]
	v_dual_lshlrev_b32 v2, 24, v2 :: v_dual_lshlrev_b32 v24, 16, v12
	v_lshl_or_b32 v25, v28, 8, v88
	v_or3_b32 v11, v14, v13, v11
	v_sub_nc_u32_e32 v43, v43, v52
	v_or3_b32 v13, v15, v16, v17
	v_or3_b32 v12, v20, v21, v22
	;; [unrolled: 1-line block ×4, first 2 shown]
	s_clause 0x1
	global_store_b128 v[60:61], v[8:11], off th:TH_STORE_NT
	global_store_b128 v[60:61], v[12:15], off offset:512 th:TH_STORE_NT
	s_clause 0x1
	global_store_b128 v[62:63], v[8:11], off th:TH_STORE_NT
	global_store_b128 v[62:63], v[12:15], off offset:512 th:TH_STORE_NT
	v_add_nc_u64_e32 v[72:73], v[72:73], v[82:83]
	v_add_nc_u64_e32 v[74:75], v[74:75], v[82:83]
	s_wait_xcnt 0x2
	v_add_nc_u64_e32 v[60:61], v[60:61], v[82:83]
	v_cmp_gt_i32_e32 vcc_lo, 1, v43
	s_wait_xcnt 0x0
	v_add_nc_u64_e32 v[62:63], v[62:63], v[82:83]
	s_or_b32 s15, vcc_lo, s15
	s_delay_alu instid0(SALU_CYCLE_1)
	s_and_not1_b32 exec_lo, exec_lo, s15
	s_cbranch_execz .LBB4_3670
.LBB4_2678:                             ;   Parent Loop BB4_47 Depth=1
                                        ;     Parent Loop BB4_2595 Depth=2
                                        ; =>    This Inner Loop Header: Depth=3
	s_clause 0x1
	global_load_b128 v[20:23], v[72:73], off th:TH_LOAD_NT
	global_load_b128 v[12:15], v[72:73], off offset:512 th:TH_LOAD_NT
	s_clause 0x1
	global_load_b128 v[16:19], v[74:75], off th:TH_LOAD_NT
	global_load_b128 v[8:11], v[74:75], off offset:512 th:TH_LOAD_NT
	v_dual_mov_b32 v2, 0 :: v_dual_mov_b32 v26, 0
	s_mov_b32 s13, exec_lo
	s_wait_loadcnt 0x3
	v_and_b32_e32 v24, 0xff, v20
	s_wait_xcnt 0x0
	s_delay_alu instid0(VALU_DEP_1)
	v_cmpx_ne_u16_e32 0, v24
	s_cbranch_execz .LBB4_2684
; %bb.2679:                             ;   in Loop: Header=BB4_2678 Depth=3
	v_bfrev_b32_e32 v26, 1
	s_mov_b32 s44, exec_lo
	v_cmpx_ne_u16_e32 0x80, v24
	s_cbranch_execz .LBB4_2683
; %bb.2680:                             ;   in Loop: Header=BB4_2678 Depth=3
	v_and_b32_e32 v24, 0x7f, v20
	v_mov_b32_e32 v26, 0x7f800001
	s_mov_b32 s45, exec_lo
	s_delay_alu instid0(VALU_DEP_2)
	v_cmpx_ne_u32_e32 0x7f, v24
	s_cbranch_execz .LBB4_2682
; %bb.2681:                             ;   in Loop: Header=BB4_2678 Depth=3
	v_cmp_gt_u32_e32 vcc_lo, 8, v24
	v_and_b32_e32 v25, 7, v20
	s_delay_alu instid0(VALU_DEP_1) | instskip(NEXT) | instid1(VALU_DEP_1)
	v_clz_i32_u32_e32 v25, v25
	v_min_u32_e32 v25, 32, v25
	v_lshrrev_b32_e32 v26, 3, v24
	s_delay_alu instid0(VALU_DEP_2) | instskip(NEXT) | instid1(VALU_DEP_1)
	v_subrev_nc_u32_e32 v27, 28, v25
	v_dual_cndmask_b32 v24, 0, v27 :: v_dual_sub_nc_u32 v25, 29, v25
	s_delay_alu instid0(VALU_DEP_1) | instskip(NEXT) | instid1(VALU_DEP_2)
	v_cndmask_b32_e32 v26, v26, v25, vcc_lo
	v_lshlrev_b64_e32 v[24:25], v24, v[20:21]
	v_lshlrev_b32_e32 v25, 24, v20
	s_delay_alu instid0(VALU_DEP_3) | instskip(NEXT) | instid1(VALU_DEP_2)
	v_lshl_add_u32 v26, v26, 23, 0x3c000000
	v_and_b32_e32 v25, 0x80000000, v25
	s_delay_alu instid0(VALU_DEP_4) | instskip(NEXT) | instid1(VALU_DEP_1)
	v_lshlrev_b32_e32 v24, 20, v24
	v_and_b32_e32 v24, 0x700000, v24
	s_delay_alu instid0(VALU_DEP_1)
	v_or3_b32 v26, v24, v25, v26
.LBB4_2682:                             ;   in Loop: Header=BB4_2678 Depth=3
	s_or_b32 exec_lo, exec_lo, s45
.LBB4_2683:                             ;   in Loop: Header=BB4_2678 Depth=3
	s_delay_alu instid0(SALU_CYCLE_1)
	s_or_b32 exec_lo, exec_lo, s44
.LBB4_2684:                             ;   in Loop: Header=BB4_2678 Depth=3
	s_delay_alu instid0(SALU_CYCLE_1) | instskip(SKIP_3) | instid1(VALU_DEP_1)
	s_or_b32 exec_lo, exec_lo, s13
	s_wait_loadcnt 0x1
	v_and_b32_e32 v24, 0xff, v16
	s_mov_b32 s13, exec_lo
	v_cmpx_ne_u16_e32 0, v24
	s_cbranch_execz .LBB4_2690
; %bb.2685:                             ;   in Loop: Header=BB4_2678 Depth=3
	v_bfrev_b32_e32 v2, 1
	s_mov_b32 s44, exec_lo
	v_cmpx_ne_u16_e32 0x80, v24
	s_cbranch_execz .LBB4_2689
; %bb.2686:                             ;   in Loop: Header=BB4_2678 Depth=3
	v_and_b32_e32 v24, 0x7f, v16
	v_mov_b32_e32 v2, 0x7f800001
	s_mov_b32 s45, exec_lo
	s_delay_alu instid0(VALU_DEP_2)
	v_cmpx_ne_u32_e32 0x7f, v24
	s_cbranch_execz .LBB4_2688
; %bb.2687:                             ;   in Loop: Header=BB4_2678 Depth=3
	v_cmp_gt_u32_e32 vcc_lo, 8, v24
	v_and_b32_e32 v2, 7, v16
	s_delay_alu instid0(VALU_DEP_1) | instskip(NEXT) | instid1(VALU_DEP_1)
	v_clz_i32_u32_e32 v2, v2
	v_min_u32_e32 v2, 32, v2
	v_lshrrev_b32_e32 v25, 3, v24
	s_delay_alu instid0(VALU_DEP_2) | instskip(NEXT) | instid1(VALU_DEP_1)
	v_subrev_nc_u32_e32 v27, 28, v2
	v_dual_sub_nc_u32 v2, 29, v2 :: v_dual_cndmask_b32 v24, 0, v27, vcc_lo
	s_delay_alu instid0(VALU_DEP_1) | instskip(NEXT) | instid1(VALU_DEP_2)
	v_cndmask_b32_e32 v2, v25, v2, vcc_lo
	v_lshlrev_b64_e32 v[24:25], v24, v[16:17]
	v_lshlrev_b32_e32 v25, 24, v16
	s_delay_alu instid0(VALU_DEP_3) | instskip(NEXT) | instid1(VALU_DEP_2)
	v_lshl_add_u32 v2, v2, 23, 0x3c000000
	v_and_b32_e32 v25, 0x80000000, v25
	s_delay_alu instid0(VALU_DEP_4) | instskip(NEXT) | instid1(VALU_DEP_1)
	v_lshlrev_b32_e32 v24, 20, v24
	v_and_b32_e32 v24, 0x700000, v24
	s_delay_alu instid0(VALU_DEP_1)
	v_or3_b32 v2, v24, v25, v2
.LBB4_2688:                             ;   in Loop: Header=BB4_2678 Depth=3
	s_or_b32 exec_lo, exec_lo, s45
.LBB4_2689:                             ;   in Loop: Header=BB4_2678 Depth=3
	s_delay_alu instid0(SALU_CYCLE_1)
	s_or_b32 exec_lo, exec_lo, s44
.LBB4_2690:                             ;   in Loop: Header=BB4_2678 Depth=3
	s_delay_alu instid0(SALU_CYCLE_1) | instskip(NEXT) | instid1(VALU_DEP_1)
	s_or_b32 exec_lo, exec_lo, s13
	v_add_f32_e32 v24, v26, v2
                                        ; implicit-def: $vgpr105
	s_mov_b32 s13, exec_lo
	s_delay_alu instid0(VALU_DEP_1) | instskip(SKIP_1) | instid1(VALU_DEP_2)
	v_and_b32_e32 v2, 0x7f800000, v24
	v_lshrrev_b32_e32 v25, 24, v24
	v_cmpx_ne_u64_e32 0x7f800000, v[2:3]
	s_xor_b32 s44, exec_lo, s13
	s_cbranch_execz .LBB4_2704
; %bb.2691:                             ;   in Loop: Header=BB4_2678 Depth=3
	v_and_b32_e32 v2, 0x7fffffff, v24
	v_and_b32_e32 v26, 0x80, v25
                                        ; implicit-def: $vgpr105
	s_mov_b32 s13, exec_lo
	s_delay_alu instid0(VALU_DEP_2)
	v_cmpx_gt_u64_e32 0x43e00001, v[2:3]
	s_xor_b32 s45, exec_lo, s13
	s_cbranch_execz .LBB4_2701
; %bb.2692:                             ;   in Loop: Header=BB4_2678 Depth=3
	v_mov_b32_e32 v105, 0
	s_mov_b32 s74, exec_lo
	v_cmpx_ne_u32_e32 0, v24
	s_cbranch_execz .LBB4_2700
; %bb.2693:                             ;   in Loop: Header=BB4_2678 Depth=3
	v_bfe_u32 v25, v24, 23, 8
	s_delay_alu instid0(VALU_DEP_1) | instskip(SKIP_1) | instid1(VALU_DEP_2)
	v_sub_nc_u32_e32 v2, 0x79, v25
	v_cmp_gt_u32_e32 vcc_lo, 0x7a, v25
	v_cndmask_b32_e32 v2, 0, v2, vcc_lo
	v_cmp_eq_u32_e32 vcc_lo, 0, v25
	s_delay_alu instid0(VALU_DEP_2) | instskip(SKIP_1) | instid1(VALU_DEP_2)
	v_cndmask_b32_e64 v27, v2, 0x78, vcc_lo
	v_and_b32_e32 v2, 0x7fffff, v24
	v_add_nc_u32_e32 v24, 20, v27
	s_delay_alu instid0(VALU_DEP_2) | instskip(NEXT) | instid1(VALU_DEP_2)
	v_or_b32_e32 v68, 0x800000, v2
	v_lshlrev_b64_e64 v[28:29], v24, -1
	s_delay_alu instid0(VALU_DEP_2) | instskip(NEXT) | instid1(VALU_DEP_1)
	v_dual_add_nc_u32 v24, 19, v27 :: v_dual_cndmask_b32 v2, v68, v2, vcc_lo
	v_lshlrev_b64_e64 v[78:79], v24, 1
	s_delay_alu instid0(VALU_DEP_2) | instskip(NEXT) | instid1(VALU_DEP_4)
	v_lshrrev_b64 v[76:77], v27, v[2:3]
	v_bfi_b32 v29, v29, 0, 0
	v_bfi_b32 v28, v28, 0, v2
	s_delay_alu instid0(VALU_DEP_1) | instskip(NEXT) | instid1(VALU_DEP_4)
	v_cmp_eq_u64_e64 s13, v[28:29], v[78:79]
	v_mov_b64_e32 v[78:79], v[76:77]
	s_and_saveexec_b32 s75, s13
; %bb.2694:                             ;   in Loop: Header=BB4_2678 Depth=3
	v_bfe_u32 v2, v76, 20, 1
	s_delay_alu instid0(VALU_DEP_1) | instskip(NEXT) | instid1(VALU_DEP_1)
	v_add_nc_u64_e32 v[28:29], v[76:77], v[2:3]
	v_add_nc_u64_e32 v[78:79], -1, v[28:29]
; %bb.2695:                             ;   in Loop: Header=BB4_2678 Depth=3
	s_or_b32 exec_lo, exec_lo, s75
	v_add_nc_u32_e32 v2, 0xffffff81, v25
	v_lshrrev_b32_e32 v24, 23, v76
	s_mov_b32 s13, exec_lo
	s_delay_alu instid0(VALU_DEP_2) | instskip(NEXT) | instid1(VALU_DEP_1)
	v_cndmask_b32_e64 v2, v2, 0xffffff82, vcc_lo
	v_add3_u32 v25, v27, v2, v24
	v_and_b32_e32 v2, 0xfffff, v78
                                        ; implicit-def: $vgpr24
	s_delay_alu instid0(VALU_DEP_1) | instskip(NEXT) | instid1(VALU_DEP_1)
	v_dual_add_nc_u32 v27, 6, v25 :: v_dual_add_nc_u32 v2, v2, v76
                                        ; implicit-def: $vgpr76_vgpr77
	v_cmpx_ne_u32_e32 0, v27
	s_xor_b32 s13, exec_lo, s13
; %bb.2696:                             ;   in Loop: Header=BB4_2678 Depth=3
	s_delay_alu instid0(VALU_DEP_2) | instskip(SKIP_2) | instid1(VALU_DEP_2)
	v_cmp_lt_u64_e32 vcc_lo, 0xffffff, v[2:3]
	v_add_nc_u32_e32 v24, 7, v25
	v_cndmask_b32_e64 v25, 0, 1, vcc_lo
	v_cndmask_b32_e32 v24, v27, v24, vcc_lo
	s_delay_alu instid0(VALU_DEP_2)
	v_lshrrev_b64 v[76:77], v25, v[2:3]
; %bb.2697:                             ;   in Loop: Header=BB4_2678 Depth=3
	s_and_not1_saveexec_b32 s13, s13
; %bb.2698:                             ;   in Loop: Header=BB4_2678 Depth=3
	v_mov_b64_e32 v[76:77], v[2:3]
	v_bfe_u32 v24, v2, 23, 1
; %bb.2699:                             ;   in Loop: Header=BB4_2678 Depth=3
	s_or_b32 exec_lo, exec_lo, s13
	s_delay_alu instid0(VALU_DEP_2) | instskip(NEXT) | instid1(VALU_DEP_2)
	v_lshrrev_b64 v[28:29], 20, v[76:77]
	v_cmp_gt_i32_e32 vcc_lo, 16, v24
	v_min_i32_e32 v2, 15, v24
	v_cmp_eq_u32_e64 s13, 0, v24
	s_delay_alu instid0(VALU_DEP_2) | instskip(SKIP_1) | instid1(VALU_DEP_2)
	v_dual_cndmask_b32 v29, 0, v29 :: v_dual_lshlrev_b32 v2, 3, v2
	v_cndmask_b32_e32 v28, 7, v28, vcc_lo
	v_and_b32_e32 v2, 0xf8, v2
	s_delay_alu instid0(VALU_DEP_2) | instskip(NEXT) | instid1(VALU_DEP_2)
	v_cmp_eq_u64_e32 vcc_lo, 0, v[28:29]
	v_and_or_b32 v2, v28, 7, v2
	s_and_b32 s13, s13, vcc_lo
	s_delay_alu instid0(VALU_DEP_1) | instid1(SALU_CYCLE_1)
	v_cndmask_b32_e64 v2, v2, 0, s13
	s_delay_alu instid0(VALU_DEP_1)
	v_or_b32_e32 v105, v2, v26
.LBB4_2700:                             ;   in Loop: Header=BB4_2678 Depth=3
	s_or_b32 exec_lo, exec_lo, s74
                                        ; implicit-def: $vgpr26
.LBB4_2701:                             ;   in Loop: Header=BB4_2678 Depth=3
	s_and_not1_saveexec_b32 s13, s45
; %bb.2702:                             ;   in Loop: Header=BB4_2678 Depth=3
	v_or_b32_e32 v105, 0x7e, v26
; %bb.2703:                             ;   in Loop: Header=BB4_2678 Depth=3
	s_or_b32 exec_lo, exec_lo, s13
                                        ; implicit-def: $vgpr25
.LBB4_2704:                             ;   in Loop: Header=BB4_2678 Depth=3
	s_and_not1_saveexec_b32 s13, s44
; %bb.2705:                             ;   in Loop: Header=BB4_2678 Depth=3
	v_or_b32_e32 v105, 0x7f, v25
; %bb.2706:                             ;   in Loop: Header=BB4_2678 Depth=3
	s_or_b32 exec_lo, exec_lo, s13
	v_lshrrev_b16 v2, 8, v20
	v_dual_mov_b32 v26, 0 :: v_dual_mov_b32 v27, 0
	s_mov_b32 s13, exec_lo
	s_delay_alu instid0(VALU_DEP_2)
	v_cmpx_ne_u16_e32 0, v2
	s_cbranch_execz .LBB4_2714
; %bb.2707:                             ;   in Loop: Header=BB4_2678 Depth=3
	v_bfrev_b32_e32 v27, 1
	s_mov_b32 s44, exec_lo
	v_cmpx_ne_u16_e32 0x80, v2
	s_cbranch_execz .LBB4_2713
; %bb.2708:                             ;   in Loop: Header=BB4_2678 Depth=3
	v_and_b32_e32 v2, 0xffff, v2
	v_mov_b32_e32 v27, 0x7f800001
	s_mov_b32 s45, exec_lo
	s_delay_alu instid0(VALU_DEP_2) | instskip(NEXT) | instid1(VALU_DEP_1)
	v_and_b32_e32 v25, 0x7f, v2
	v_cmpx_ne_u32_e32 0x7f, v25
	s_cbranch_execz .LBB4_2712
; %bb.2709:                             ;   in Loop: Header=BB4_2678 Depth=3
	v_dual_lshrrev_b32 v24, 3, v25 :: v_dual_bitop2_b32 v2, 7, v2 bitop3:0x40
	s_mov_b32 s74, exec_lo
	s_delay_alu instid0(VALU_DEP_1)
	v_mov_b64_e32 v[76:77], v[2:3]
	v_cmpx_gt_u32_e32 8, v25
; %bb.2710:                             ;   in Loop: Header=BB4_2678 Depth=3
	v_clz_i32_u32_e32 v24, v2
	s_delay_alu instid0(VALU_DEP_1) | instskip(NEXT) | instid1(VALU_DEP_1)
	v_min_u32_e32 v24, 32, v24
	v_subrev_nc_u32_e32 v25, 28, v24
	v_sub_nc_u32_e32 v24, 29, v24
	s_delay_alu instid0(VALU_DEP_2) | instskip(NEXT) | instid1(VALU_DEP_1)
	v_lshlrev_b64_e32 v[28:29], v25, v[2:3]
	v_and_b32_e32 v76, 7, v28
; %bb.2711:                             ;   in Loop: Header=BB4_2678 Depth=3
	s_or_b32 exec_lo, exec_lo, s74
	v_lshlrev_b32_e32 v2, 16, v20
	s_delay_alu instid0(VALU_DEP_2) | instskip(SKIP_1) | instid1(VALU_DEP_3)
	v_lshlrev_b32_e32 v25, 20, v76
	v_lshl_add_u32 v24, v24, 23, 0x3c000000
	v_and_b32_e32 v2, 0x80000000, v2
	s_delay_alu instid0(VALU_DEP_1)
	v_or3_b32 v27, v25, v2, v24
.LBB4_2712:                             ;   in Loop: Header=BB4_2678 Depth=3
	s_or_b32 exec_lo, exec_lo, s45
.LBB4_2713:                             ;   in Loop: Header=BB4_2678 Depth=3
	s_delay_alu instid0(SALU_CYCLE_1)
	s_or_b32 exec_lo, exec_lo, s44
.LBB4_2714:                             ;   in Loop: Header=BB4_2678 Depth=3
	s_delay_alu instid0(SALU_CYCLE_1) | instskip(SKIP_2) | instid1(VALU_DEP_1)
	s_or_b32 exec_lo, exec_lo, s13
	v_lshrrev_b16 v2, 8, v16
	s_mov_b32 s13, exec_lo
	v_cmpx_ne_u16_e32 0, v2
	s_cbranch_execz .LBB4_2722
; %bb.2715:                             ;   in Loop: Header=BB4_2678 Depth=3
	v_bfrev_b32_e32 v26, 1
	s_mov_b32 s44, exec_lo
	v_cmpx_ne_u16_e32 0x80, v2
	s_cbranch_execz .LBB4_2721
; %bb.2716:                             ;   in Loop: Header=BB4_2678 Depth=3
	v_and_b32_e32 v2, 0xffff, v2
	v_mov_b32_e32 v26, 0x7f800001
	s_mov_b32 s45, exec_lo
	s_delay_alu instid0(VALU_DEP_2) | instskip(NEXT) | instid1(VALU_DEP_1)
	v_and_b32_e32 v25, 0x7f, v2
	v_cmpx_ne_u32_e32 0x7f, v25
	s_cbranch_execz .LBB4_2720
; %bb.2717:                             ;   in Loop: Header=BB4_2678 Depth=3
	v_dual_lshrrev_b32 v24, 3, v25 :: v_dual_bitop2_b32 v2, 7, v2 bitop3:0x40
	s_mov_b32 s74, exec_lo
	s_delay_alu instid0(VALU_DEP_1)
	v_mov_b64_e32 v[76:77], v[2:3]
	v_cmpx_gt_u32_e32 8, v25
; %bb.2718:                             ;   in Loop: Header=BB4_2678 Depth=3
	v_clz_i32_u32_e32 v24, v2
	s_delay_alu instid0(VALU_DEP_1) | instskip(NEXT) | instid1(VALU_DEP_1)
	v_min_u32_e32 v24, 32, v24
	v_subrev_nc_u32_e32 v25, 28, v24
	v_sub_nc_u32_e32 v24, 29, v24
	s_delay_alu instid0(VALU_DEP_2) | instskip(NEXT) | instid1(VALU_DEP_1)
	v_lshlrev_b64_e32 v[28:29], v25, v[2:3]
	v_and_b32_e32 v76, 7, v28
; %bb.2719:                             ;   in Loop: Header=BB4_2678 Depth=3
	s_or_b32 exec_lo, exec_lo, s74
	v_lshlrev_b32_e32 v2, 16, v16
	s_delay_alu instid0(VALU_DEP_2) | instskip(SKIP_1) | instid1(VALU_DEP_3)
	v_lshlrev_b32_e32 v25, 20, v76
	v_lshl_add_u32 v24, v24, 23, 0x3c000000
	v_and_b32_e32 v2, 0x80000000, v2
	s_delay_alu instid0(VALU_DEP_1)
	v_or3_b32 v26, v25, v2, v24
.LBB4_2720:                             ;   in Loop: Header=BB4_2678 Depth=3
	s_or_b32 exec_lo, exec_lo, s45
.LBB4_2721:                             ;   in Loop: Header=BB4_2678 Depth=3
	s_delay_alu instid0(SALU_CYCLE_1)
	s_or_b32 exec_lo, exec_lo, s44
.LBB4_2722:                             ;   in Loop: Header=BB4_2678 Depth=3
	s_delay_alu instid0(SALU_CYCLE_1) | instskip(NEXT) | instid1(VALU_DEP_1)
	s_or_b32 exec_lo, exec_lo, s13
	v_add_f32_e32 v24, v27, v26
                                        ; implicit-def: $vgpr106
	s_mov_b32 s13, exec_lo
	s_delay_alu instid0(VALU_DEP_1) | instskip(SKIP_1) | instid1(VALU_DEP_2)
	v_and_b32_e32 v2, 0x7f800000, v24
	v_lshrrev_b32_e32 v25, 24, v24
	v_cmpx_ne_u64_e32 0x7f800000, v[2:3]
	s_xor_b32 s44, exec_lo, s13
	s_cbranch_execz .LBB4_2736
; %bb.2723:                             ;   in Loop: Header=BB4_2678 Depth=3
	v_and_b32_e32 v2, 0x7fffffff, v24
	v_and_b32_e32 v26, 0x80, v25
                                        ; implicit-def: $vgpr106
	s_mov_b32 s13, exec_lo
	s_delay_alu instid0(VALU_DEP_2)
	v_cmpx_gt_u64_e32 0x43e00001, v[2:3]
	s_xor_b32 s45, exec_lo, s13
	s_cbranch_execz .LBB4_2733
; %bb.2724:                             ;   in Loop: Header=BB4_2678 Depth=3
	v_mov_b32_e32 v106, 0
	s_mov_b32 s74, exec_lo
	v_cmpx_ne_u32_e32 0, v24
	s_cbranch_execz .LBB4_2732
; %bb.2725:                             ;   in Loop: Header=BB4_2678 Depth=3
	v_bfe_u32 v25, v24, 23, 8
	s_delay_alu instid0(VALU_DEP_1) | instskip(SKIP_1) | instid1(VALU_DEP_2)
	v_sub_nc_u32_e32 v2, 0x79, v25
	v_cmp_gt_u32_e32 vcc_lo, 0x7a, v25
	v_cndmask_b32_e32 v2, 0, v2, vcc_lo
	v_cmp_eq_u32_e32 vcc_lo, 0, v25
	s_delay_alu instid0(VALU_DEP_2) | instskip(SKIP_1) | instid1(VALU_DEP_2)
	v_cndmask_b32_e64 v27, v2, 0x78, vcc_lo
	v_and_b32_e32 v2, 0x7fffff, v24
	v_add_nc_u32_e32 v24, 20, v27
	s_delay_alu instid0(VALU_DEP_2) | instskip(NEXT) | instid1(VALU_DEP_2)
	v_or_b32_e32 v68, 0x800000, v2
	v_lshlrev_b64_e64 v[28:29], v24, -1
	s_delay_alu instid0(VALU_DEP_2) | instskip(NEXT) | instid1(VALU_DEP_1)
	v_dual_add_nc_u32 v24, 19, v27 :: v_dual_cndmask_b32 v2, v68, v2, vcc_lo
	v_lshlrev_b64_e64 v[78:79], v24, 1
	s_delay_alu instid0(VALU_DEP_2) | instskip(NEXT) | instid1(VALU_DEP_4)
	v_lshrrev_b64 v[76:77], v27, v[2:3]
	v_bfi_b32 v29, v29, 0, 0
	v_bfi_b32 v28, v28, 0, v2
	s_delay_alu instid0(VALU_DEP_1) | instskip(NEXT) | instid1(VALU_DEP_4)
	v_cmp_eq_u64_e64 s13, v[28:29], v[78:79]
	v_mov_b64_e32 v[78:79], v[76:77]
	s_and_saveexec_b32 s75, s13
; %bb.2726:                             ;   in Loop: Header=BB4_2678 Depth=3
	v_bfe_u32 v2, v76, 20, 1
	s_delay_alu instid0(VALU_DEP_1) | instskip(NEXT) | instid1(VALU_DEP_1)
	v_add_nc_u64_e32 v[28:29], v[76:77], v[2:3]
	v_add_nc_u64_e32 v[78:79], -1, v[28:29]
; %bb.2727:                             ;   in Loop: Header=BB4_2678 Depth=3
	s_or_b32 exec_lo, exec_lo, s75
	v_add_nc_u32_e32 v2, 0xffffff81, v25
	v_lshrrev_b32_e32 v24, 23, v76
	s_mov_b32 s13, exec_lo
	s_delay_alu instid0(VALU_DEP_2) | instskip(NEXT) | instid1(VALU_DEP_1)
	v_cndmask_b32_e64 v2, v2, 0xffffff82, vcc_lo
	v_add3_u32 v25, v27, v2, v24
	v_and_b32_e32 v2, 0xfffff, v78
                                        ; implicit-def: $vgpr24
	s_delay_alu instid0(VALU_DEP_1) | instskip(NEXT) | instid1(VALU_DEP_1)
	v_dual_add_nc_u32 v27, 6, v25 :: v_dual_add_nc_u32 v2, v2, v76
                                        ; implicit-def: $vgpr76_vgpr77
	v_cmpx_ne_u32_e32 0, v27
	s_xor_b32 s13, exec_lo, s13
; %bb.2728:                             ;   in Loop: Header=BB4_2678 Depth=3
	s_delay_alu instid0(VALU_DEP_2) | instskip(SKIP_2) | instid1(VALU_DEP_2)
	v_cmp_lt_u64_e32 vcc_lo, 0xffffff, v[2:3]
	v_add_nc_u32_e32 v24, 7, v25
	v_cndmask_b32_e64 v25, 0, 1, vcc_lo
	v_cndmask_b32_e32 v24, v27, v24, vcc_lo
	s_delay_alu instid0(VALU_DEP_2)
	v_lshrrev_b64 v[76:77], v25, v[2:3]
; %bb.2729:                             ;   in Loop: Header=BB4_2678 Depth=3
	s_and_not1_saveexec_b32 s13, s13
; %bb.2730:                             ;   in Loop: Header=BB4_2678 Depth=3
	v_mov_b64_e32 v[76:77], v[2:3]
	v_bfe_u32 v24, v2, 23, 1
; %bb.2731:                             ;   in Loop: Header=BB4_2678 Depth=3
	s_or_b32 exec_lo, exec_lo, s13
	s_delay_alu instid0(VALU_DEP_2) | instskip(NEXT) | instid1(VALU_DEP_2)
	v_lshrrev_b64 v[28:29], 20, v[76:77]
	v_cmp_gt_i32_e32 vcc_lo, 16, v24
	v_min_i32_e32 v2, 15, v24
	v_cmp_eq_u32_e64 s13, 0, v24
	s_delay_alu instid0(VALU_DEP_2) | instskip(SKIP_1) | instid1(VALU_DEP_2)
	v_dual_cndmask_b32 v29, 0, v29 :: v_dual_lshlrev_b32 v2, 3, v2
	v_cndmask_b32_e32 v28, 7, v28, vcc_lo
	v_and_b32_e32 v2, 0xf8, v2
	s_delay_alu instid0(VALU_DEP_2) | instskip(NEXT) | instid1(VALU_DEP_2)
	v_cmp_eq_u64_e32 vcc_lo, 0, v[28:29]
	v_and_or_b32 v2, v28, 7, v2
	s_and_b32 s13, s13, vcc_lo
	s_delay_alu instid0(VALU_DEP_1) | instid1(SALU_CYCLE_1)
	v_cndmask_b32_e64 v2, v2, 0, s13
	s_delay_alu instid0(VALU_DEP_1)
	v_or_b32_e32 v106, v2, v26
.LBB4_2732:                             ;   in Loop: Header=BB4_2678 Depth=3
	s_or_b32 exec_lo, exec_lo, s74
                                        ; implicit-def: $vgpr26
.LBB4_2733:                             ;   in Loop: Header=BB4_2678 Depth=3
	s_and_not1_saveexec_b32 s13, s45
; %bb.2734:                             ;   in Loop: Header=BB4_2678 Depth=3
	v_or_b32_e32 v106, 0x7e, v26
; %bb.2735:                             ;   in Loop: Header=BB4_2678 Depth=3
	s_or_b32 exec_lo, exec_lo, s13
                                        ; implicit-def: $vgpr25
.LBB4_2736:                             ;   in Loop: Header=BB4_2678 Depth=3
	s_and_not1_saveexec_b32 s13, s44
; %bb.2737:                             ;   in Loop: Header=BB4_2678 Depth=3
	v_or_b32_e32 v106, 0x7f, v25
; %bb.2738:                             ;   in Loop: Header=BB4_2678 Depth=3
	s_or_b32 exec_lo, exec_lo, s13
	v_dual_lshrrev_b32 v24, 16, v20 :: v_dual_mov_b32 v26, 0
	v_mov_b32_e32 v27, 0
	s_mov_b32 s13, exec_lo
	s_delay_alu instid0(VALU_DEP_2) | instskip(NEXT) | instid1(VALU_DEP_1)
	v_and_b32_e32 v2, 0xff, v24
	v_cmpx_ne_u16_e32 0, v2
	s_cbranch_execz .LBB4_2746
; %bb.2739:                             ;   in Loop: Header=BB4_2678 Depth=3
	v_bfrev_b32_e32 v27, 1
	s_mov_b32 s44, exec_lo
	v_cmpx_ne_u16_e32 0x80, v2
	s_cbranch_execz .LBB4_2745
; %bb.2740:                             ;   in Loop: Header=BB4_2678 Depth=3
	v_bfe_u32 v28, v20, 16, 7
	v_mov_b32_e32 v27, 0x7f800001
	s_mov_b32 s45, exec_lo
	s_delay_alu instid0(VALU_DEP_2)
	v_cmpx_ne_u32_e32 0x7f, v28
	s_cbranch_execz .LBB4_2744
; %bb.2741:                             ;   in Loop: Header=BB4_2678 Depth=3
	v_and_b32_e32 v2, 7, v24
	v_lshrrev_b32_e32 v25, 3, v28
	s_mov_b32 s74, exec_lo
	s_delay_alu instid0(VALU_DEP_2)
	v_mov_b64_e32 v[76:77], v[2:3]
	v_cmpx_gt_u32_e32 8, v28
; %bb.2742:                             ;   in Loop: Header=BB4_2678 Depth=3
	v_clz_i32_u32_e32 v25, v2
	s_delay_alu instid0(VALU_DEP_1) | instskip(NEXT) | instid1(VALU_DEP_1)
	v_min_u32_e32 v25, 32, v25
	v_subrev_nc_u32_e32 v27, 28, v25
	s_delay_alu instid0(VALU_DEP_1) | instskip(NEXT) | instid1(VALU_DEP_1)
	v_lshlrev_b64_e32 v[28:29], v27, v[2:3]
	v_dual_sub_nc_u32 v25, 29, v25 :: v_dual_bitop2_b32 v76, 7, v28 bitop3:0x40
; %bb.2743:                             ;   in Loop: Header=BB4_2678 Depth=3
	s_or_b32 exec_lo, exec_lo, s74
	v_lshlrev_b32_e32 v2, 24, v24
	s_delay_alu instid0(VALU_DEP_2) | instskip(NEXT) | instid1(VALU_DEP_3)
	v_lshlrev_b32_e32 v24, 20, v76
	v_lshl_add_u32 v25, v25, 23, 0x3c000000
	s_delay_alu instid0(VALU_DEP_3) | instskip(NEXT) | instid1(VALU_DEP_1)
	v_and_b32_e32 v2, 0x80000000, v2
	v_or3_b32 v27, v24, v2, v25
.LBB4_2744:                             ;   in Loop: Header=BB4_2678 Depth=3
	s_or_b32 exec_lo, exec_lo, s45
.LBB4_2745:                             ;   in Loop: Header=BB4_2678 Depth=3
	s_delay_alu instid0(SALU_CYCLE_1)
	s_or_b32 exec_lo, exec_lo, s44
.LBB4_2746:                             ;   in Loop: Header=BB4_2678 Depth=3
	s_delay_alu instid0(SALU_CYCLE_1) | instskip(SKIP_2) | instid1(VALU_DEP_1)
	s_or_b32 exec_lo, exec_lo, s13
	v_lshrrev_b32_e32 v2, 16, v16
	s_mov_b32 s13, exec_lo
	v_and_b32_e32 v24, 0xff, v2
	s_delay_alu instid0(VALU_DEP_1)
	v_cmpx_ne_u16_e32 0, v24
	s_cbranch_execz .LBB4_2754
; %bb.2747:                             ;   in Loop: Header=BB4_2678 Depth=3
	v_bfrev_b32_e32 v26, 1
	s_mov_b32 s44, exec_lo
	v_cmpx_ne_u16_e32 0x80, v24
	s_cbranch_execz .LBB4_2753
; %bb.2748:                             ;   in Loop: Header=BB4_2678 Depth=3
	v_bfe_u32 v25, v16, 16, 7
	v_mov_b32_e32 v26, 0x7f800001
	s_mov_b32 s45, exec_lo
	s_delay_alu instid0(VALU_DEP_2)
	v_cmpx_ne_u32_e32 0x7f, v25
	s_cbranch_execz .LBB4_2752
; %bb.2749:                             ;   in Loop: Header=BB4_2678 Depth=3
	v_dual_lshrrev_b32 v24, 3, v25 :: v_dual_bitop2_b32 v2, 7, v2 bitop3:0x40
	s_mov_b32 s74, exec_lo
	s_delay_alu instid0(VALU_DEP_1)
	v_mov_b64_e32 v[76:77], v[2:3]
	v_cmpx_gt_u32_e32 8, v25
; %bb.2750:                             ;   in Loop: Header=BB4_2678 Depth=3
	v_clz_i32_u32_e32 v24, v2
	s_delay_alu instid0(VALU_DEP_1) | instskip(NEXT) | instid1(VALU_DEP_1)
	v_min_u32_e32 v24, 32, v24
	v_subrev_nc_u32_e32 v25, 28, v24
	v_sub_nc_u32_e32 v24, 29, v24
	s_delay_alu instid0(VALU_DEP_2) | instskip(NEXT) | instid1(VALU_DEP_1)
	v_lshlrev_b64_e32 v[28:29], v25, v[2:3]
	v_and_b32_e32 v76, 7, v28
; %bb.2751:                             ;   in Loop: Header=BB4_2678 Depth=3
	s_or_b32 exec_lo, exec_lo, s74
	v_lshlrev_b32_e32 v2, 8, v16
	s_delay_alu instid0(VALU_DEP_2) | instskip(SKIP_1) | instid1(VALU_DEP_3)
	v_lshlrev_b32_e32 v25, 20, v76
	v_lshl_add_u32 v24, v24, 23, 0x3c000000
	v_and_b32_e32 v2, 0x80000000, v2
	s_delay_alu instid0(VALU_DEP_1)
	v_or3_b32 v26, v25, v2, v24
.LBB4_2752:                             ;   in Loop: Header=BB4_2678 Depth=3
	s_or_b32 exec_lo, exec_lo, s45
.LBB4_2753:                             ;   in Loop: Header=BB4_2678 Depth=3
	s_delay_alu instid0(SALU_CYCLE_1)
	s_or_b32 exec_lo, exec_lo, s44
.LBB4_2754:                             ;   in Loop: Header=BB4_2678 Depth=3
	s_delay_alu instid0(SALU_CYCLE_1) | instskip(NEXT) | instid1(VALU_DEP_1)
	s_or_b32 exec_lo, exec_lo, s13
	v_add_f32_e32 v24, v27, v26
                                        ; implicit-def: $vgpr107
	s_mov_b32 s13, exec_lo
	s_delay_alu instid0(VALU_DEP_1) | instskip(SKIP_1) | instid1(VALU_DEP_2)
	v_and_b32_e32 v2, 0x7f800000, v24
	v_lshrrev_b32_e32 v25, 24, v24
	v_cmpx_ne_u64_e32 0x7f800000, v[2:3]
	s_xor_b32 s44, exec_lo, s13
	s_cbranch_execz .LBB4_2768
; %bb.2755:                             ;   in Loop: Header=BB4_2678 Depth=3
	v_and_b32_e32 v2, 0x7fffffff, v24
	v_and_b32_e32 v26, 0x80, v25
                                        ; implicit-def: $vgpr107
	s_mov_b32 s13, exec_lo
	s_delay_alu instid0(VALU_DEP_2)
	v_cmpx_gt_u64_e32 0x43e00001, v[2:3]
	s_xor_b32 s45, exec_lo, s13
	s_cbranch_execz .LBB4_2765
; %bb.2756:                             ;   in Loop: Header=BB4_2678 Depth=3
	v_mov_b32_e32 v107, 0
	s_mov_b32 s74, exec_lo
	v_cmpx_ne_u32_e32 0, v24
	s_cbranch_execz .LBB4_2764
; %bb.2757:                             ;   in Loop: Header=BB4_2678 Depth=3
	v_bfe_u32 v25, v24, 23, 8
	s_delay_alu instid0(VALU_DEP_1) | instskip(SKIP_1) | instid1(VALU_DEP_2)
	v_sub_nc_u32_e32 v2, 0x79, v25
	v_cmp_gt_u32_e32 vcc_lo, 0x7a, v25
	v_cndmask_b32_e32 v2, 0, v2, vcc_lo
	v_cmp_eq_u32_e32 vcc_lo, 0, v25
	s_delay_alu instid0(VALU_DEP_2) | instskip(SKIP_1) | instid1(VALU_DEP_2)
	v_cndmask_b32_e64 v27, v2, 0x78, vcc_lo
	v_and_b32_e32 v2, 0x7fffff, v24
	v_add_nc_u32_e32 v24, 20, v27
	s_delay_alu instid0(VALU_DEP_2) | instskip(NEXT) | instid1(VALU_DEP_2)
	v_or_b32_e32 v68, 0x800000, v2
	v_lshlrev_b64_e64 v[28:29], v24, -1
	s_delay_alu instid0(VALU_DEP_2) | instskip(NEXT) | instid1(VALU_DEP_1)
	v_dual_add_nc_u32 v24, 19, v27 :: v_dual_cndmask_b32 v2, v68, v2, vcc_lo
	v_lshlrev_b64_e64 v[78:79], v24, 1
	s_delay_alu instid0(VALU_DEP_2) | instskip(NEXT) | instid1(VALU_DEP_4)
	v_lshrrev_b64 v[76:77], v27, v[2:3]
	v_bfi_b32 v29, v29, 0, 0
	v_bfi_b32 v28, v28, 0, v2
	s_delay_alu instid0(VALU_DEP_1) | instskip(NEXT) | instid1(VALU_DEP_4)
	v_cmp_eq_u64_e64 s13, v[28:29], v[78:79]
	v_mov_b64_e32 v[78:79], v[76:77]
	s_and_saveexec_b32 s75, s13
; %bb.2758:                             ;   in Loop: Header=BB4_2678 Depth=3
	v_bfe_u32 v2, v76, 20, 1
	s_delay_alu instid0(VALU_DEP_1) | instskip(NEXT) | instid1(VALU_DEP_1)
	v_add_nc_u64_e32 v[28:29], v[76:77], v[2:3]
	v_add_nc_u64_e32 v[78:79], -1, v[28:29]
; %bb.2759:                             ;   in Loop: Header=BB4_2678 Depth=3
	s_or_b32 exec_lo, exec_lo, s75
	v_add_nc_u32_e32 v2, 0xffffff81, v25
	v_lshrrev_b32_e32 v24, 23, v76
	s_mov_b32 s13, exec_lo
	s_delay_alu instid0(VALU_DEP_2) | instskip(NEXT) | instid1(VALU_DEP_1)
	v_cndmask_b32_e64 v2, v2, 0xffffff82, vcc_lo
	v_add3_u32 v25, v27, v2, v24
	v_and_b32_e32 v2, 0xfffff, v78
                                        ; implicit-def: $vgpr24
	s_delay_alu instid0(VALU_DEP_1) | instskip(NEXT) | instid1(VALU_DEP_1)
	v_dual_add_nc_u32 v27, 6, v25 :: v_dual_add_nc_u32 v2, v2, v76
                                        ; implicit-def: $vgpr76_vgpr77
	v_cmpx_ne_u32_e32 0, v27
	s_xor_b32 s13, exec_lo, s13
; %bb.2760:                             ;   in Loop: Header=BB4_2678 Depth=3
	s_delay_alu instid0(VALU_DEP_2) | instskip(SKIP_2) | instid1(VALU_DEP_2)
	v_cmp_lt_u64_e32 vcc_lo, 0xffffff, v[2:3]
	v_add_nc_u32_e32 v24, 7, v25
	v_cndmask_b32_e64 v25, 0, 1, vcc_lo
	v_cndmask_b32_e32 v24, v27, v24, vcc_lo
	s_delay_alu instid0(VALU_DEP_2)
	v_lshrrev_b64 v[76:77], v25, v[2:3]
; %bb.2761:                             ;   in Loop: Header=BB4_2678 Depth=3
	s_and_not1_saveexec_b32 s13, s13
; %bb.2762:                             ;   in Loop: Header=BB4_2678 Depth=3
	v_mov_b64_e32 v[76:77], v[2:3]
	v_bfe_u32 v24, v2, 23, 1
; %bb.2763:                             ;   in Loop: Header=BB4_2678 Depth=3
	s_or_b32 exec_lo, exec_lo, s13
	s_delay_alu instid0(VALU_DEP_2) | instskip(NEXT) | instid1(VALU_DEP_2)
	v_lshrrev_b64 v[28:29], 20, v[76:77]
	v_cmp_gt_i32_e32 vcc_lo, 16, v24
	v_min_i32_e32 v2, 15, v24
	v_cmp_eq_u32_e64 s13, 0, v24
	s_delay_alu instid0(VALU_DEP_2) | instskip(SKIP_1) | instid1(VALU_DEP_2)
	v_dual_cndmask_b32 v29, 0, v29 :: v_dual_lshlrev_b32 v2, 3, v2
	v_cndmask_b32_e32 v28, 7, v28, vcc_lo
	v_and_b32_e32 v2, 0xf8, v2
	s_delay_alu instid0(VALU_DEP_2) | instskip(NEXT) | instid1(VALU_DEP_2)
	v_cmp_eq_u64_e32 vcc_lo, 0, v[28:29]
	v_and_or_b32 v2, v28, 7, v2
	s_and_b32 s13, s13, vcc_lo
	s_delay_alu instid0(VALU_DEP_1) | instid1(SALU_CYCLE_1)
	v_cndmask_b32_e64 v2, v2, 0, s13
	s_delay_alu instid0(VALU_DEP_1)
	v_or_b32_e32 v107, v2, v26
.LBB4_2764:                             ;   in Loop: Header=BB4_2678 Depth=3
	s_or_b32 exec_lo, exec_lo, s74
                                        ; implicit-def: $vgpr26
.LBB4_2765:                             ;   in Loop: Header=BB4_2678 Depth=3
	s_and_not1_saveexec_b32 s13, s45
; %bb.2766:                             ;   in Loop: Header=BB4_2678 Depth=3
	v_or_b32_e32 v107, 0x7e, v26
; %bb.2767:                             ;   in Loop: Header=BB4_2678 Depth=3
	s_or_b32 exec_lo, exec_lo, s13
                                        ; implicit-def: $vgpr25
.LBB4_2768:                             ;   in Loop: Header=BB4_2678 Depth=3
	s_and_not1_saveexec_b32 s13, s44
; %bb.2769:                             ;   in Loop: Header=BB4_2678 Depth=3
	v_or_b32_e32 v107, 0x7f, v25
; %bb.2770:                             ;   in Loop: Header=BB4_2678 Depth=3
	s_or_b32 exec_lo, exec_lo, s13
	v_dual_mov_b32 v26, 0 :: v_dual_mov_b32 v27, 0
	s_mov_b32 s13, exec_lo
	v_cmpx_lt_u32_e32 0xffffff, v20
	s_cbranch_execz .LBB4_2778
; %bb.2771:                             ;   in Loop: Header=BB4_2678 Depth=3
	v_lshrrev_b32_e32 v24, 24, v20
	v_bfrev_b32_e32 v27, 1
	s_mov_b32 s44, exec_lo
	s_delay_alu instid0(VALU_DEP_2)
	v_cmpx_ne_u32_e32 0x80, v24
	s_cbranch_execz .LBB4_2777
; %bb.2772:                             ;   in Loop: Header=BB4_2678 Depth=3
	v_bfe_u32 v28, v20, 24, 7
	v_mov_b32_e32 v27, 0x7f800001
	s_mov_b32 s45, exec_lo
	s_delay_alu instid0(VALU_DEP_2)
	v_cmpx_ne_u32_e32 0x7f, v28
	s_cbranch_execz .LBB4_2776
; %bb.2773:                             ;   in Loop: Header=BB4_2678 Depth=3
	v_and_b32_e32 v2, 7, v24
	v_lshrrev_b32_e32 v25, 3, v28
	s_mov_b32 s74, exec_lo
	s_delay_alu instid0(VALU_DEP_2)
	v_mov_b64_e32 v[76:77], v[2:3]
	v_cmpx_gt_u32_e32 8, v28
; %bb.2774:                             ;   in Loop: Header=BB4_2678 Depth=3
	v_clz_i32_u32_e32 v25, v2
	s_delay_alu instid0(VALU_DEP_1) | instskip(NEXT) | instid1(VALU_DEP_1)
	v_min_u32_e32 v25, 32, v25
	v_subrev_nc_u32_e32 v27, 28, v25
	s_delay_alu instid0(VALU_DEP_1) | instskip(NEXT) | instid1(VALU_DEP_1)
	v_lshlrev_b64_e32 v[28:29], v27, v[2:3]
	v_dual_sub_nc_u32 v25, 29, v25 :: v_dual_bitop2_b32 v76, 7, v28 bitop3:0x40
; %bb.2775:                             ;   in Loop: Header=BB4_2678 Depth=3
	s_or_b32 exec_lo, exec_lo, s74
	v_lshlrev_b32_e32 v2, 24, v24
	s_delay_alu instid0(VALU_DEP_2) | instskip(NEXT) | instid1(VALU_DEP_3)
	v_lshlrev_b32_e32 v24, 20, v76
	v_lshl_add_u32 v25, v25, 23, 0x3c000000
	s_delay_alu instid0(VALU_DEP_3) | instskip(NEXT) | instid1(VALU_DEP_1)
	v_and_b32_e32 v2, 0x80000000, v2
	v_or3_b32 v27, v24, v2, v25
.LBB4_2776:                             ;   in Loop: Header=BB4_2678 Depth=3
	s_or_b32 exec_lo, exec_lo, s45
.LBB4_2777:                             ;   in Loop: Header=BB4_2678 Depth=3
	s_delay_alu instid0(SALU_CYCLE_1)
	s_or_b32 exec_lo, exec_lo, s44
.LBB4_2778:                             ;   in Loop: Header=BB4_2678 Depth=3
	s_delay_alu instid0(SALU_CYCLE_1) | instskip(NEXT) | instid1(SALU_CYCLE_1)
	s_or_b32 exec_lo, exec_lo, s13
	s_mov_b32 s13, exec_lo
	v_cmpx_lt_u32_e32 0xffffff, v16
	s_cbranch_execz .LBB4_2786
; %bb.2779:                             ;   in Loop: Header=BB4_2678 Depth=3
	v_lshrrev_b32_e32 v24, 24, v16
	v_bfrev_b32_e32 v26, 1
	s_mov_b32 s44, exec_lo
	s_delay_alu instid0(VALU_DEP_2)
	v_cmpx_ne_u32_e32 0x80, v24
	s_cbranch_execz .LBB4_2785
; %bb.2780:                             ;   in Loop: Header=BB4_2678 Depth=3
	v_bfe_u32 v28, v16, 24, 7
	v_mov_b32_e32 v26, 0x7f800001
	s_mov_b32 s45, exec_lo
	s_delay_alu instid0(VALU_DEP_2)
	v_cmpx_ne_u32_e32 0x7f, v28
	s_cbranch_execz .LBB4_2784
; %bb.2781:                             ;   in Loop: Header=BB4_2678 Depth=3
	v_and_b32_e32 v2, 7, v24
	v_lshrrev_b32_e32 v25, 3, v28
	s_mov_b32 s74, exec_lo
	s_delay_alu instid0(VALU_DEP_2)
	v_mov_b64_e32 v[76:77], v[2:3]
	v_cmpx_gt_u32_e32 8, v28
; %bb.2782:                             ;   in Loop: Header=BB4_2678 Depth=3
	v_clz_i32_u32_e32 v25, v2
	s_delay_alu instid0(VALU_DEP_1) | instskip(NEXT) | instid1(VALU_DEP_1)
	v_min_u32_e32 v25, 32, v25
	v_subrev_nc_u32_e32 v26, 28, v25
	s_delay_alu instid0(VALU_DEP_1) | instskip(NEXT) | instid1(VALU_DEP_1)
	v_lshlrev_b64_e32 v[28:29], v26, v[2:3]
	v_dual_sub_nc_u32 v25, 29, v25 :: v_dual_bitop2_b32 v76, 7, v28 bitop3:0x40
; %bb.2783:                             ;   in Loop: Header=BB4_2678 Depth=3
	s_or_b32 exec_lo, exec_lo, s74
	v_lshlrev_b32_e32 v2, 24, v24
	s_delay_alu instid0(VALU_DEP_2) | instskip(NEXT) | instid1(VALU_DEP_3)
	v_lshlrev_b32_e32 v24, 20, v76
	v_lshl_add_u32 v25, v25, 23, 0x3c000000
	s_delay_alu instid0(VALU_DEP_3) | instskip(NEXT) | instid1(VALU_DEP_1)
	v_and_b32_e32 v2, 0x80000000, v2
	v_or3_b32 v26, v24, v2, v25
.LBB4_2784:                             ;   in Loop: Header=BB4_2678 Depth=3
	s_or_b32 exec_lo, exec_lo, s45
.LBB4_2785:                             ;   in Loop: Header=BB4_2678 Depth=3
	s_delay_alu instid0(SALU_CYCLE_1)
	s_or_b32 exec_lo, exec_lo, s44
.LBB4_2786:                             ;   in Loop: Header=BB4_2678 Depth=3
	s_delay_alu instid0(SALU_CYCLE_1) | instskip(NEXT) | instid1(VALU_DEP_1)
	s_or_b32 exec_lo, exec_lo, s13
	v_add_f32_e32 v24, v27, v26
                                        ; implicit-def: $vgpr108
	s_mov_b32 s13, exec_lo
	s_delay_alu instid0(VALU_DEP_1) | instskip(SKIP_1) | instid1(VALU_DEP_2)
	v_and_b32_e32 v2, 0x7f800000, v24
	v_lshrrev_b32_e32 v25, 24, v24
	v_cmpx_ne_u64_e32 0x7f800000, v[2:3]
	s_xor_b32 s44, exec_lo, s13
	s_cbranch_execz .LBB4_2800
; %bb.2787:                             ;   in Loop: Header=BB4_2678 Depth=3
	v_and_b32_e32 v2, 0x7fffffff, v24
	v_and_b32_e32 v26, 0x80, v25
                                        ; implicit-def: $vgpr108
	s_mov_b32 s13, exec_lo
	s_delay_alu instid0(VALU_DEP_2)
	v_cmpx_gt_u64_e32 0x43e00001, v[2:3]
	s_xor_b32 s45, exec_lo, s13
	s_cbranch_execz .LBB4_2797
; %bb.2788:                             ;   in Loop: Header=BB4_2678 Depth=3
	v_mov_b32_e32 v108, 0
	s_mov_b32 s74, exec_lo
	v_cmpx_ne_u32_e32 0, v24
	s_cbranch_execz .LBB4_2796
; %bb.2789:                             ;   in Loop: Header=BB4_2678 Depth=3
	v_bfe_u32 v25, v24, 23, 8
	s_delay_alu instid0(VALU_DEP_1) | instskip(SKIP_1) | instid1(VALU_DEP_2)
	v_sub_nc_u32_e32 v2, 0x79, v25
	v_cmp_gt_u32_e32 vcc_lo, 0x7a, v25
	v_cndmask_b32_e32 v2, 0, v2, vcc_lo
	v_cmp_eq_u32_e32 vcc_lo, 0, v25
	s_delay_alu instid0(VALU_DEP_2) | instskip(SKIP_1) | instid1(VALU_DEP_2)
	v_cndmask_b32_e64 v27, v2, 0x78, vcc_lo
	v_and_b32_e32 v2, 0x7fffff, v24
	v_add_nc_u32_e32 v24, 20, v27
	s_delay_alu instid0(VALU_DEP_2) | instskip(NEXT) | instid1(VALU_DEP_2)
	v_or_b32_e32 v68, 0x800000, v2
	v_lshlrev_b64_e64 v[28:29], v24, -1
	s_delay_alu instid0(VALU_DEP_2) | instskip(NEXT) | instid1(VALU_DEP_1)
	v_dual_add_nc_u32 v24, 19, v27 :: v_dual_cndmask_b32 v2, v68, v2, vcc_lo
	v_lshlrev_b64_e64 v[78:79], v24, 1
	s_delay_alu instid0(VALU_DEP_2) | instskip(NEXT) | instid1(VALU_DEP_4)
	v_lshrrev_b64 v[76:77], v27, v[2:3]
	v_bfi_b32 v29, v29, 0, 0
	v_bfi_b32 v28, v28, 0, v2
	s_delay_alu instid0(VALU_DEP_1) | instskip(NEXT) | instid1(VALU_DEP_4)
	v_cmp_eq_u64_e64 s13, v[28:29], v[78:79]
	v_mov_b64_e32 v[78:79], v[76:77]
	s_and_saveexec_b32 s75, s13
; %bb.2790:                             ;   in Loop: Header=BB4_2678 Depth=3
	v_bfe_u32 v2, v76, 20, 1
	s_delay_alu instid0(VALU_DEP_1) | instskip(NEXT) | instid1(VALU_DEP_1)
	v_add_nc_u64_e32 v[28:29], v[76:77], v[2:3]
	v_add_nc_u64_e32 v[78:79], -1, v[28:29]
; %bb.2791:                             ;   in Loop: Header=BB4_2678 Depth=3
	s_or_b32 exec_lo, exec_lo, s75
	v_add_nc_u32_e32 v2, 0xffffff81, v25
	v_lshrrev_b32_e32 v24, 23, v76
	s_mov_b32 s13, exec_lo
	s_delay_alu instid0(VALU_DEP_2) | instskip(NEXT) | instid1(VALU_DEP_1)
	v_cndmask_b32_e64 v2, v2, 0xffffff82, vcc_lo
	v_add3_u32 v25, v27, v2, v24
	v_and_b32_e32 v2, 0xfffff, v78
                                        ; implicit-def: $vgpr24
	s_delay_alu instid0(VALU_DEP_1) | instskip(NEXT) | instid1(VALU_DEP_1)
	v_dual_add_nc_u32 v27, 6, v25 :: v_dual_add_nc_u32 v2, v2, v76
                                        ; implicit-def: $vgpr76_vgpr77
	v_cmpx_ne_u32_e32 0, v27
	s_xor_b32 s13, exec_lo, s13
; %bb.2792:                             ;   in Loop: Header=BB4_2678 Depth=3
	s_delay_alu instid0(VALU_DEP_2) | instskip(SKIP_2) | instid1(VALU_DEP_2)
	v_cmp_lt_u64_e32 vcc_lo, 0xffffff, v[2:3]
	v_add_nc_u32_e32 v24, 7, v25
	v_cndmask_b32_e64 v25, 0, 1, vcc_lo
	v_cndmask_b32_e32 v24, v27, v24, vcc_lo
	s_delay_alu instid0(VALU_DEP_2)
	v_lshrrev_b64 v[76:77], v25, v[2:3]
; %bb.2793:                             ;   in Loop: Header=BB4_2678 Depth=3
	s_and_not1_saveexec_b32 s13, s13
; %bb.2794:                             ;   in Loop: Header=BB4_2678 Depth=3
	v_mov_b64_e32 v[76:77], v[2:3]
	v_bfe_u32 v24, v2, 23, 1
; %bb.2795:                             ;   in Loop: Header=BB4_2678 Depth=3
	s_or_b32 exec_lo, exec_lo, s13
	s_delay_alu instid0(VALU_DEP_2) | instskip(NEXT) | instid1(VALU_DEP_2)
	v_lshrrev_b64 v[28:29], 20, v[76:77]
	v_cmp_gt_i32_e32 vcc_lo, 16, v24
	v_min_i32_e32 v2, 15, v24
	v_cmp_eq_u32_e64 s13, 0, v24
	s_delay_alu instid0(VALU_DEP_2) | instskip(SKIP_1) | instid1(VALU_DEP_2)
	v_dual_cndmask_b32 v29, 0, v29 :: v_dual_lshlrev_b32 v2, 3, v2
	v_cndmask_b32_e32 v28, 7, v28, vcc_lo
	v_and_b32_e32 v2, 0xf8, v2
	s_delay_alu instid0(VALU_DEP_2) | instskip(NEXT) | instid1(VALU_DEP_2)
	v_cmp_eq_u64_e32 vcc_lo, 0, v[28:29]
	v_and_or_b32 v2, v28, 7, v2
	s_and_b32 s13, s13, vcc_lo
	s_delay_alu instid0(VALU_DEP_1) | instid1(SALU_CYCLE_1)
	v_cndmask_b32_e64 v2, v2, 0, s13
	s_delay_alu instid0(VALU_DEP_1)
	v_or_b32_e32 v108, v2, v26
.LBB4_2796:                             ;   in Loop: Header=BB4_2678 Depth=3
	s_or_b32 exec_lo, exec_lo, s74
                                        ; implicit-def: $vgpr26
.LBB4_2797:                             ;   in Loop: Header=BB4_2678 Depth=3
	s_and_not1_saveexec_b32 s13, s45
; %bb.2798:                             ;   in Loop: Header=BB4_2678 Depth=3
	v_or_b32_e32 v108, 0x7e, v26
; %bb.2799:                             ;   in Loop: Header=BB4_2678 Depth=3
	s_or_b32 exec_lo, exec_lo, s13
                                        ; implicit-def: $vgpr25
.LBB4_2800:                             ;   in Loop: Header=BB4_2678 Depth=3
	s_and_not1_saveexec_b32 s13, s44
; %bb.2801:                             ;   in Loop: Header=BB4_2678 Depth=3
	v_or_b32_e32 v108, 0x7f, v25
; %bb.2802:                             ;   in Loop: Header=BB4_2678 Depth=3
	s_or_b32 exec_lo, exec_lo, s13
	v_and_b32_e32 v24, 0xff, v21
	v_dual_mov_b32 v2, v21 :: v_dual_mov_b32 v27, 0
	v_mov_b32_e32 v26, 0
	s_mov_b32 s13, exec_lo
	s_delay_alu instid0(VALU_DEP_3)
	v_cmpx_ne_u16_e32 0, v24
	s_cbranch_execz .LBB4_2808
; %bb.2803:                             ;   in Loop: Header=BB4_2678 Depth=3
	v_bfrev_b32_e32 v26, 1
	s_mov_b32 s44, exec_lo
	v_cmpx_ne_u16_e32 0x80, v24
	s_cbranch_execz .LBB4_2807
; %bb.2804:                             ;   in Loop: Header=BB4_2678 Depth=3
	v_and_b32_e32 v24, 0x7f, v21
	v_mov_b32_e32 v26, 0x7f800001
	s_mov_b32 s45, exec_lo
	s_delay_alu instid0(VALU_DEP_2)
	v_cmpx_ne_u32_e32 0x7f, v24
	s_cbranch_execz .LBB4_2806
; %bb.2805:                             ;   in Loop: Header=BB4_2678 Depth=3
	v_dual_lshrrev_b32 v26, 3, v24 :: v_dual_bitop2_b32 v25, 7, v21 bitop3:0x40
	v_cmp_gt_u32_e32 vcc_lo, 8, v24
	s_delay_alu instid0(VALU_DEP_2) | instskip(NEXT) | instid1(VALU_DEP_1)
	v_clz_i32_u32_e32 v25, v25
	v_min_u32_e32 v25, 32, v25
	s_delay_alu instid0(VALU_DEP_1) | instskip(NEXT) | instid1(VALU_DEP_1)
	v_subrev_nc_u32_e32 v28, 28, v25
	v_dual_cndmask_b32 v24, 0, v28 :: v_dual_sub_nc_u32 v25, 29, v25
	s_delay_alu instid0(VALU_DEP_1) | instskip(NEXT) | instid1(VALU_DEP_2)
	v_cndmask_b32_e32 v26, v26, v25, vcc_lo
	v_lshlrev_b64_e32 v[24:25], v24, v[2:3]
	v_lshlrev_b32_e32 v25, 24, v2
	s_delay_alu instid0(VALU_DEP_3) | instskip(NEXT) | instid1(VALU_DEP_2)
	v_lshl_add_u32 v26, v26, 23, 0x3c000000
	v_and_b32_e32 v25, 0x80000000, v25
	s_delay_alu instid0(VALU_DEP_4) | instskip(NEXT) | instid1(VALU_DEP_1)
	v_lshlrev_b32_e32 v24, 20, v24
	v_and_b32_e32 v24, 0x700000, v24
	s_delay_alu instid0(VALU_DEP_1)
	v_or3_b32 v26, v24, v25, v26
.LBB4_2806:                             ;   in Loop: Header=BB4_2678 Depth=3
	s_or_b32 exec_lo, exec_lo, s45
.LBB4_2807:                             ;   in Loop: Header=BB4_2678 Depth=3
	s_delay_alu instid0(SALU_CYCLE_1)
	s_or_b32 exec_lo, exec_lo, s44
.LBB4_2808:                             ;   in Loop: Header=BB4_2678 Depth=3
	s_delay_alu instid0(SALU_CYCLE_1) | instskip(SKIP_2) | instid1(VALU_DEP_1)
	s_or_b32 exec_lo, exec_lo, s13
	v_and_b32_e32 v24, 0xff, v17
	s_mov_b32 s13, exec_lo
	v_cmpx_ne_u16_e32 0, v24
	s_cbranch_execz .LBB4_2814
; %bb.2809:                             ;   in Loop: Header=BB4_2678 Depth=3
	v_bfrev_b32_e32 v27, 1
	s_mov_b32 s44, exec_lo
	v_cmpx_ne_u16_e32 0x80, v24
	s_cbranch_execz .LBB4_2813
; %bb.2810:                             ;   in Loop: Header=BB4_2678 Depth=3
	v_and_b32_e32 v24, 0x7f, v17
	v_mov_b32_e32 v27, 0x7f800001
	s_mov_b32 s45, exec_lo
	s_delay_alu instid0(VALU_DEP_2)
	v_cmpx_ne_u32_e32 0x7f, v24
	s_cbranch_execz .LBB4_2812
; %bb.2811:                             ;   in Loop: Header=BB4_2678 Depth=3
	v_dual_lshrrev_b32 v27, 3, v24 :: v_dual_bitop2_b32 v25, 7, v17 bitop3:0x40
	v_cmp_gt_u32_e32 vcc_lo, 8, v24
	v_mov_b32_e32 v24, v17
	s_delay_alu instid0(VALU_DEP_3) | instskip(NEXT) | instid1(VALU_DEP_1)
	v_clz_i32_u32_e32 v25, v25
	v_min_u32_e32 v25, 32, v25
	s_delay_alu instid0(VALU_DEP_1) | instskip(SKIP_2) | instid1(VALU_DEP_2)
	v_sub_nc_u32_e32 v28, 29, v25
	v_subrev_nc_u32_e32 v29, 28, v25
	v_mov_b32_e32 v25, v3
	v_dual_cndmask_b32 v27, v27, v28 :: v_dual_cndmask_b32 v28, 0, v29
	s_delay_alu instid0(VALU_DEP_1) | instskip(SKIP_1) | instid1(VALU_DEP_1)
	v_lshlrev_b64_e32 v[28:29], v28, v[24:25]
	v_lshlrev_b32_e32 v24, 24, v24
	v_and_b32_e32 v24, 0x80000000, v24
	s_delay_alu instid0(VALU_DEP_3) | instskip(SKIP_1) | instid1(VALU_DEP_2)
	v_lshlrev_b32_e32 v25, 20, v28
	v_lshl_add_u32 v27, v27, 23, 0x3c000000
	v_and_b32_e32 v25, 0x700000, v25
	s_delay_alu instid0(VALU_DEP_1)
	v_or3_b32 v27, v25, v24, v27
.LBB4_2812:                             ;   in Loop: Header=BB4_2678 Depth=3
	s_or_b32 exec_lo, exec_lo, s45
.LBB4_2813:                             ;   in Loop: Header=BB4_2678 Depth=3
	s_delay_alu instid0(SALU_CYCLE_1)
	s_or_b32 exec_lo, exec_lo, s44
.LBB4_2814:                             ;   in Loop: Header=BB4_2678 Depth=3
	s_delay_alu instid0(SALU_CYCLE_1) | instskip(NEXT) | instid1(VALU_DEP_1)
	s_or_b32 exec_lo, exec_lo, s13
	v_dual_add_f32 v24, v26, v27 :: v_dual_mov_b32 v27, v3
                                        ; implicit-def: $vgpr109
	s_mov_b32 s13, exec_lo
	s_delay_alu instid0(VALU_DEP_1) | instskip(SKIP_1) | instid1(VALU_DEP_2)
	v_and_b32_e32 v26, 0x7f800000, v24
	v_lshrrev_b32_e32 v25, 24, v24
	v_cmpx_ne_u64_e32 0x7f800000, v[26:27]
	s_xor_b32 s44, exec_lo, s13
	s_cbranch_execz .LBB4_2828
; %bb.2815:                             ;   in Loop: Header=BB4_2678 Depth=3
	v_and_b32_e32 v26, 0x7fffffff, v24
	v_mov_b32_e32 v27, v3
                                        ; implicit-def: $vgpr109
	s_delay_alu instid0(VALU_DEP_1) | instskip(SKIP_2) | instid1(SALU_CYCLE_1)
	v_cmp_gt_u64_e32 vcc_lo, 0x43e00001, v[26:27]
	v_and_b32_e32 v26, 0x80, v25
	s_and_saveexec_b32 s13, vcc_lo
	s_xor_b32 s45, exec_lo, s13
	s_cbranch_execz .LBB4_2825
; %bb.2816:                             ;   in Loop: Header=BB4_2678 Depth=3
	v_mov_b32_e32 v109, 0
	s_mov_b32 s74, exec_lo
	v_cmpx_ne_u32_e32 0, v24
	s_cbranch_execz .LBB4_2824
; %bb.2817:                             ;   in Loop: Header=BB4_2678 Depth=3
	v_bfe_u32 v25, v24, 23, 8
	v_and_b32_e32 v24, 0x7fffff, v24
	v_mov_b32_e32 v77, v3
	s_delay_alu instid0(VALU_DEP_3) | instskip(NEXT) | instid1(VALU_DEP_3)
	v_cmp_gt_u32_e32 vcc_lo, 0x7a, v25
	v_or_b32_e32 v68, 0x800000, v24
	v_sub_nc_u32_e32 v27, 0x79, v25
	s_delay_alu instid0(VALU_DEP_1) | instskip(SKIP_1) | instid1(VALU_DEP_2)
	v_cndmask_b32_e32 v27, 0, v27, vcc_lo
	v_cmp_eq_u32_e32 vcc_lo, 0, v25
	v_cndmask_b32_e64 v27, v27, 0x78, vcc_lo
	s_delay_alu instid0(VALU_DEP_1) | instskip(SKIP_1) | instid1(VALU_DEP_2)
	v_dual_cndmask_b32 v76, v68, v24, vcc_lo :: v_dual_add_nc_u32 v28, 20, v27
	v_add_nc_u32_e32 v69, 19, v27
	v_lshlrev_b64_e64 v[28:29], v28, -1
	s_delay_alu instid0(VALU_DEP_2) | instskip(NEXT) | instid1(VALU_DEP_2)
	v_lshlrev_b64_e64 v[78:79], v69, 1
	v_bfi_b32 v28, v28, 0, v76
	v_lshrrev_b64 v[76:77], v27, v[76:77]
	s_delay_alu instid0(VALU_DEP_4) | instskip(NEXT) | instid1(VALU_DEP_1)
	v_bfi_b32 v29, v29, 0, 0
	v_cmp_eq_u64_e64 s13, v[28:29], v[78:79]
	s_delay_alu instid0(VALU_DEP_3)
	v_mov_b64_e32 v[78:79], v[76:77]
	s_and_saveexec_b32 s75, s13
; %bb.2818:                             ;   in Loop: Header=BB4_2678 Depth=3
	v_bfe_u32 v28, v76, 20, 1
	v_mov_b32_e32 v29, v3
	s_delay_alu instid0(VALU_DEP_1) | instskip(NEXT) | instid1(VALU_DEP_1)
	v_add_nc_u64_e32 v[28:29], v[76:77], v[28:29]
	v_add_nc_u64_e32 v[78:79], -1, v[28:29]
; %bb.2819:                             ;   in Loop: Header=BB4_2678 Depth=3
	s_or_b32 exec_lo, exec_lo, s75
	v_dual_mov_b32 v77, v3 :: v_dual_add_nc_u32 v24, 0xffffff81, v25
	v_lshrrev_b32_e32 v25, 23, v76
	s_mov_b32 s13, exec_lo
	s_delay_alu instid0(VALU_DEP_2) | instskip(NEXT) | instid1(VALU_DEP_1)
	v_cndmask_b32_e64 v24, v24, 0xffffff82, vcc_lo
	v_add3_u32 v25, v27, v24, v25
	v_and_b32_e32 v24, 0xfffff, v78
	s_delay_alu instid0(VALU_DEP_1) | instskip(NEXT) | instid1(VALU_DEP_1)
	v_dual_add_nc_u32 v27, 6, v25 :: v_dual_add_nc_u32 v76, v24, v76
                                        ; implicit-def: $vgpr24
	v_cmpx_ne_u32_e32 0, v27
	s_xor_b32 s13, exec_lo, s13
; %bb.2820:                             ;   in Loop: Header=BB4_2678 Depth=3
	s_delay_alu instid0(VALU_DEP_2) | instskip(SKIP_2) | instid1(VALU_DEP_2)
	v_cmp_lt_u64_e32 vcc_lo, 0xffffff, v[76:77]
	v_add_nc_u32_e32 v24, 7, v25
	v_cndmask_b32_e64 v25, 0, 1, vcc_lo
	v_cndmask_b32_e32 v24, v27, v24, vcc_lo
	s_delay_alu instid0(VALU_DEP_2)
	v_lshrrev_b64 v[76:77], v25, v[76:77]
; %bb.2821:                             ;   in Loop: Header=BB4_2678 Depth=3
	s_and_not1_saveexec_b32 s13, s13
; %bb.2822:                             ;   in Loop: Header=BB4_2678 Depth=3
	s_delay_alu instid0(VALU_DEP_1)
	v_bfe_u32 v24, v76, 23, 1
; %bb.2823:                             ;   in Loop: Header=BB4_2678 Depth=3
	s_or_b32 exec_lo, exec_lo, s13
	s_delay_alu instid0(VALU_DEP_2) | instskip(NEXT) | instid1(VALU_DEP_2)
	v_lshrrev_b64 v[28:29], 20, v[76:77]
	v_cmp_gt_i32_e32 vcc_lo, 16, v24
	v_min_i32_e32 v25, 15, v24
	v_cmp_eq_u32_e64 s13, 0, v24
	s_delay_alu instid0(VALU_DEP_4) | instskip(NEXT) | instid1(VALU_DEP_3)
	v_cndmask_b32_e32 v29, 0, v29, vcc_lo
	v_dual_cndmask_b32 v28, 7, v28 :: v_dual_lshlrev_b32 v25, 3, v25
	s_delay_alu instid0(VALU_DEP_1) | instskip(NEXT) | instid1(VALU_DEP_2)
	v_and_b32_e32 v25, 0xf8, v25
	v_cmp_eq_u64_e32 vcc_lo, 0, v[28:29]
	s_delay_alu instid0(VALU_DEP_2)
	v_and_or_b32 v24, v28, 7, v25
	s_and_b32 s13, s13, vcc_lo
	s_delay_alu instid0(VALU_DEP_1) | instid1(SALU_CYCLE_1)
	v_cndmask_b32_e64 v24, v24, 0, s13
	s_delay_alu instid0(VALU_DEP_1)
	v_or_b32_e32 v109, v24, v26
.LBB4_2824:                             ;   in Loop: Header=BB4_2678 Depth=3
	s_or_b32 exec_lo, exec_lo, s74
                                        ; implicit-def: $vgpr26
.LBB4_2825:                             ;   in Loop: Header=BB4_2678 Depth=3
	s_and_not1_saveexec_b32 s13, s45
; %bb.2826:                             ;   in Loop: Header=BB4_2678 Depth=3
	v_or_b32_e32 v109, 0x7e, v26
; %bb.2827:                             ;   in Loop: Header=BB4_2678 Depth=3
	s_or_b32 exec_lo, exec_lo, s13
                                        ; implicit-def: $vgpr25
.LBB4_2828:                             ;   in Loop: Header=BB4_2678 Depth=3
	s_and_not1_saveexec_b32 s13, s44
; %bb.2829:                             ;   in Loop: Header=BB4_2678 Depth=3
	v_or_b32_e32 v109, 0x7f, v25
; %bb.2830:                             ;   in Loop: Header=BB4_2678 Depth=3
	s_or_b32 exec_lo, exec_lo, s13
	v_lshrrev_b16 v24, 8, v2
	v_dual_mov_b32 v26, 0 :: v_dual_mov_b32 v27, 0
	s_mov_b32 s13, exec_lo
	s_delay_alu instid0(VALU_DEP_2)
	v_cmpx_ne_u16_e32 0, v24
	s_cbranch_execz .LBB4_2838
; %bb.2831:                             ;   in Loop: Header=BB4_2678 Depth=3
	v_bfrev_b32_e32 v27, 1
	s_mov_b32 s44, exec_lo
	v_cmpx_ne_u16_e32 0x80, v24
	s_cbranch_execz .LBB4_2837
; %bb.2832:                             ;   in Loop: Header=BB4_2678 Depth=3
	v_and_b32_e32 v24, 0xffff, v24
	v_mov_b32_e32 v27, 0x7f800001
	s_mov_b32 s45, exec_lo
	s_delay_alu instid0(VALU_DEP_2) | instskip(NEXT) | instid1(VALU_DEP_1)
	v_and_b32_e32 v25, 0x7f, v24
	v_cmpx_ne_u32_e32 0x7f, v25
	s_cbranch_execz .LBB4_2836
; %bb.2833:                             ;   in Loop: Header=BB4_2678 Depth=3
	v_dual_mov_b32 v77, v3 :: v_dual_bitop2_b32 v76, 7, v24 bitop3:0x40
	v_lshrrev_b32_e32 v24, 3, v25
	s_mov_b32 s74, exec_lo
	v_cmpx_gt_u32_e32 8, v25
; %bb.2834:                             ;   in Loop: Header=BB4_2678 Depth=3
	s_delay_alu instid0(VALU_DEP_3) | instskip(NEXT) | instid1(VALU_DEP_1)
	v_clz_i32_u32_e32 v24, v76
	v_min_u32_e32 v24, 32, v24
	s_delay_alu instid0(VALU_DEP_1) | instskip(SKIP_1) | instid1(VALU_DEP_2)
	v_subrev_nc_u32_e32 v25, 28, v24
	v_sub_nc_u32_e32 v24, 29, v24
	v_lshlrev_b64_e32 v[28:29], v25, v[76:77]
	s_delay_alu instid0(VALU_DEP_1)
	v_and_b32_e32 v76, 7, v28
; %bb.2835:                             ;   in Loop: Header=BB4_2678 Depth=3
	s_or_b32 exec_lo, exec_lo, s74
	s_delay_alu instid0(VALU_DEP_1) | instskip(SKIP_1) | instid1(VALU_DEP_2)
	v_dual_lshlrev_b32 v2, 16, v2 :: v_dual_lshlrev_b32 v25, 20, v76
	v_lshl_add_u32 v24, v24, 23, 0x3c000000
	v_and_b32_e32 v2, 0x80000000, v2
	s_delay_alu instid0(VALU_DEP_1)
	v_or3_b32 v27, v25, v2, v24
.LBB4_2836:                             ;   in Loop: Header=BB4_2678 Depth=3
	s_or_b32 exec_lo, exec_lo, s45
.LBB4_2837:                             ;   in Loop: Header=BB4_2678 Depth=3
	s_delay_alu instid0(SALU_CYCLE_1)
	s_or_b32 exec_lo, exec_lo, s44
.LBB4_2838:                             ;   in Loop: Header=BB4_2678 Depth=3
	s_delay_alu instid0(SALU_CYCLE_1) | instskip(SKIP_2) | instid1(VALU_DEP_1)
	s_or_b32 exec_lo, exec_lo, s13
	v_lshrrev_b16 v2, 8, v17
	s_mov_b32 s13, exec_lo
	v_cmpx_ne_u16_e32 0, v2
	s_cbranch_execz .LBB4_2846
; %bb.2839:                             ;   in Loop: Header=BB4_2678 Depth=3
	v_bfrev_b32_e32 v26, 1
	s_mov_b32 s44, exec_lo
	v_cmpx_ne_u16_e32 0x80, v2
	s_cbranch_execz .LBB4_2845
; %bb.2840:                             ;   in Loop: Header=BB4_2678 Depth=3
	v_and_b32_e32 v2, 0xffff, v2
	v_mov_b32_e32 v26, 0x7f800001
	s_mov_b32 s45, exec_lo
	s_delay_alu instid0(VALU_DEP_2) | instskip(NEXT) | instid1(VALU_DEP_1)
	v_and_b32_e32 v25, 0x7f, v2
	v_cmpx_ne_u32_e32 0x7f, v25
	s_cbranch_execz .LBB4_2844
; %bb.2841:                             ;   in Loop: Header=BB4_2678 Depth=3
	v_dual_lshrrev_b32 v24, 3, v25 :: v_dual_bitop2_b32 v2, 7, v2 bitop3:0x40
	s_mov_b32 s74, exec_lo
	s_delay_alu instid0(VALU_DEP_1)
	v_mov_b64_e32 v[76:77], v[2:3]
	v_cmpx_gt_u32_e32 8, v25
; %bb.2842:                             ;   in Loop: Header=BB4_2678 Depth=3
	v_clz_i32_u32_e32 v24, v2
	s_delay_alu instid0(VALU_DEP_1) | instskip(NEXT) | instid1(VALU_DEP_1)
	v_min_u32_e32 v24, 32, v24
	v_subrev_nc_u32_e32 v25, 28, v24
	v_sub_nc_u32_e32 v24, 29, v24
	s_delay_alu instid0(VALU_DEP_2) | instskip(NEXT) | instid1(VALU_DEP_1)
	v_lshlrev_b64_e32 v[28:29], v25, v[2:3]
	v_and_b32_e32 v76, 7, v28
; %bb.2843:                             ;   in Loop: Header=BB4_2678 Depth=3
	s_or_b32 exec_lo, exec_lo, s74
	s_delay_alu instid0(VALU_DEP_1) | instskip(SKIP_1) | instid1(VALU_DEP_2)
	v_dual_lshlrev_b32 v2, 16, v17 :: v_dual_lshlrev_b32 v25, 20, v76
	v_lshl_add_u32 v24, v24, 23, 0x3c000000
	v_and_b32_e32 v2, 0x80000000, v2
	s_delay_alu instid0(VALU_DEP_1)
	v_or3_b32 v26, v25, v2, v24
.LBB4_2844:                             ;   in Loop: Header=BB4_2678 Depth=3
	s_or_b32 exec_lo, exec_lo, s45
.LBB4_2845:                             ;   in Loop: Header=BB4_2678 Depth=3
	s_delay_alu instid0(SALU_CYCLE_1)
	s_or_b32 exec_lo, exec_lo, s44
.LBB4_2846:                             ;   in Loop: Header=BB4_2678 Depth=3
	s_delay_alu instid0(SALU_CYCLE_1) | instskip(NEXT) | instid1(VALU_DEP_1)
	s_or_b32 exec_lo, exec_lo, s13
	v_add_f32_e32 v24, v27, v26
                                        ; implicit-def: $vgpr110
	s_mov_b32 s13, exec_lo
	s_delay_alu instid0(VALU_DEP_1) | instskip(SKIP_1) | instid1(VALU_DEP_2)
	v_and_b32_e32 v2, 0x7f800000, v24
	v_lshrrev_b32_e32 v25, 24, v24
	v_cmpx_ne_u64_e32 0x7f800000, v[2:3]
	s_xor_b32 s44, exec_lo, s13
	s_cbranch_execz .LBB4_2860
; %bb.2847:                             ;   in Loop: Header=BB4_2678 Depth=3
	v_and_b32_e32 v2, 0x7fffffff, v24
	v_and_b32_e32 v26, 0x80, v25
                                        ; implicit-def: $vgpr110
	s_mov_b32 s13, exec_lo
	s_delay_alu instid0(VALU_DEP_2)
	v_cmpx_gt_u64_e32 0x43e00001, v[2:3]
	s_xor_b32 s45, exec_lo, s13
	s_cbranch_execz .LBB4_2857
; %bb.2848:                             ;   in Loop: Header=BB4_2678 Depth=3
	v_mov_b32_e32 v110, 0
	s_mov_b32 s74, exec_lo
	v_cmpx_ne_u32_e32 0, v24
	s_cbranch_execz .LBB4_2856
; %bb.2849:                             ;   in Loop: Header=BB4_2678 Depth=3
	v_bfe_u32 v25, v24, 23, 8
	s_delay_alu instid0(VALU_DEP_1) | instskip(SKIP_1) | instid1(VALU_DEP_2)
	v_sub_nc_u32_e32 v2, 0x79, v25
	v_cmp_gt_u32_e32 vcc_lo, 0x7a, v25
	v_cndmask_b32_e32 v2, 0, v2, vcc_lo
	v_cmp_eq_u32_e32 vcc_lo, 0, v25
	s_delay_alu instid0(VALU_DEP_2) | instskip(SKIP_1) | instid1(VALU_DEP_2)
	v_cndmask_b32_e64 v27, v2, 0x78, vcc_lo
	v_and_b32_e32 v2, 0x7fffff, v24
	v_add_nc_u32_e32 v24, 20, v27
	s_delay_alu instid0(VALU_DEP_2) | instskip(NEXT) | instid1(VALU_DEP_2)
	v_or_b32_e32 v68, 0x800000, v2
	v_lshlrev_b64_e64 v[28:29], v24, -1
	s_delay_alu instid0(VALU_DEP_2) | instskip(NEXT) | instid1(VALU_DEP_1)
	v_dual_add_nc_u32 v24, 19, v27 :: v_dual_cndmask_b32 v2, v68, v2, vcc_lo
	v_lshlrev_b64_e64 v[78:79], v24, 1
	s_delay_alu instid0(VALU_DEP_2) | instskip(NEXT) | instid1(VALU_DEP_4)
	v_lshrrev_b64 v[76:77], v27, v[2:3]
	v_bfi_b32 v29, v29, 0, 0
	v_bfi_b32 v28, v28, 0, v2
	s_delay_alu instid0(VALU_DEP_1) | instskip(NEXT) | instid1(VALU_DEP_4)
	v_cmp_eq_u64_e64 s13, v[28:29], v[78:79]
	v_mov_b64_e32 v[78:79], v[76:77]
	s_and_saveexec_b32 s75, s13
; %bb.2850:                             ;   in Loop: Header=BB4_2678 Depth=3
	v_bfe_u32 v2, v76, 20, 1
	s_delay_alu instid0(VALU_DEP_1) | instskip(NEXT) | instid1(VALU_DEP_1)
	v_add_nc_u64_e32 v[28:29], v[76:77], v[2:3]
	v_add_nc_u64_e32 v[78:79], -1, v[28:29]
; %bb.2851:                             ;   in Loop: Header=BB4_2678 Depth=3
	s_or_b32 exec_lo, exec_lo, s75
	v_add_nc_u32_e32 v2, 0xffffff81, v25
	v_lshrrev_b32_e32 v24, 23, v76
	s_mov_b32 s13, exec_lo
	s_delay_alu instid0(VALU_DEP_2) | instskip(NEXT) | instid1(VALU_DEP_1)
	v_cndmask_b32_e64 v2, v2, 0xffffff82, vcc_lo
	v_add3_u32 v25, v27, v2, v24
	v_and_b32_e32 v2, 0xfffff, v78
                                        ; implicit-def: $vgpr24
	s_delay_alu instid0(VALU_DEP_1) | instskip(NEXT) | instid1(VALU_DEP_1)
	v_dual_add_nc_u32 v27, 6, v25 :: v_dual_add_nc_u32 v2, v2, v76
                                        ; implicit-def: $vgpr76_vgpr77
	v_cmpx_ne_u32_e32 0, v27
	s_xor_b32 s13, exec_lo, s13
; %bb.2852:                             ;   in Loop: Header=BB4_2678 Depth=3
	s_delay_alu instid0(VALU_DEP_2) | instskip(SKIP_2) | instid1(VALU_DEP_2)
	v_cmp_lt_u64_e32 vcc_lo, 0xffffff, v[2:3]
	v_add_nc_u32_e32 v24, 7, v25
	v_cndmask_b32_e64 v25, 0, 1, vcc_lo
	v_cndmask_b32_e32 v24, v27, v24, vcc_lo
	s_delay_alu instid0(VALU_DEP_2)
	v_lshrrev_b64 v[76:77], v25, v[2:3]
; %bb.2853:                             ;   in Loop: Header=BB4_2678 Depth=3
	s_and_not1_saveexec_b32 s13, s13
; %bb.2854:                             ;   in Loop: Header=BB4_2678 Depth=3
	v_mov_b64_e32 v[76:77], v[2:3]
	v_bfe_u32 v24, v2, 23, 1
; %bb.2855:                             ;   in Loop: Header=BB4_2678 Depth=3
	s_or_b32 exec_lo, exec_lo, s13
	s_delay_alu instid0(VALU_DEP_2) | instskip(NEXT) | instid1(VALU_DEP_2)
	v_lshrrev_b64 v[28:29], 20, v[76:77]
	v_cmp_gt_i32_e32 vcc_lo, 16, v24
	v_min_i32_e32 v2, 15, v24
	v_cmp_eq_u32_e64 s13, 0, v24
	s_delay_alu instid0(VALU_DEP_2) | instskip(SKIP_1) | instid1(VALU_DEP_2)
	v_dual_cndmask_b32 v29, 0, v29 :: v_dual_lshlrev_b32 v2, 3, v2
	v_cndmask_b32_e32 v28, 7, v28, vcc_lo
	v_and_b32_e32 v2, 0xf8, v2
	s_delay_alu instid0(VALU_DEP_2) | instskip(NEXT) | instid1(VALU_DEP_2)
	v_cmp_eq_u64_e32 vcc_lo, 0, v[28:29]
	v_and_or_b32 v2, v28, 7, v2
	s_and_b32 s13, s13, vcc_lo
	s_delay_alu instid0(VALU_DEP_1) | instid1(SALU_CYCLE_1)
	v_cndmask_b32_e64 v2, v2, 0, s13
	s_delay_alu instid0(VALU_DEP_1)
	v_or_b32_e32 v110, v2, v26
.LBB4_2856:                             ;   in Loop: Header=BB4_2678 Depth=3
	s_or_b32 exec_lo, exec_lo, s74
                                        ; implicit-def: $vgpr26
.LBB4_2857:                             ;   in Loop: Header=BB4_2678 Depth=3
	s_and_not1_saveexec_b32 s13, s45
; %bb.2858:                             ;   in Loop: Header=BB4_2678 Depth=3
	v_or_b32_e32 v110, 0x7e, v26
; %bb.2859:                             ;   in Loop: Header=BB4_2678 Depth=3
	s_or_b32 exec_lo, exec_lo, s13
                                        ; implicit-def: $vgpr25
.LBB4_2860:                             ;   in Loop: Header=BB4_2678 Depth=3
	s_and_not1_saveexec_b32 s13, s44
; %bb.2861:                             ;   in Loop: Header=BB4_2678 Depth=3
	v_or_b32_e32 v110, 0x7f, v25
; %bb.2862:                             ;   in Loop: Header=BB4_2678 Depth=3
	s_or_b32 exec_lo, exec_lo, s13
	v_dual_lshrrev_b32 v24, 16, v21 :: v_dual_mov_b32 v26, 0
	v_mov_b32_e32 v27, 0
	s_mov_b32 s13, exec_lo
	s_delay_alu instid0(VALU_DEP_2) | instskip(NEXT) | instid1(VALU_DEP_1)
	v_and_b32_e32 v2, 0xff, v24
	v_cmpx_ne_u16_e32 0, v2
	s_cbranch_execz .LBB4_2870
; %bb.2863:                             ;   in Loop: Header=BB4_2678 Depth=3
	v_bfrev_b32_e32 v27, 1
	s_mov_b32 s44, exec_lo
	v_cmpx_ne_u16_e32 0x80, v2
	s_cbranch_execz .LBB4_2869
; %bb.2864:                             ;   in Loop: Header=BB4_2678 Depth=3
	v_bfe_u32 v28, v21, 16, 7
	v_mov_b32_e32 v27, 0x7f800001
	s_mov_b32 s45, exec_lo
	s_delay_alu instid0(VALU_DEP_2)
	v_cmpx_ne_u32_e32 0x7f, v28
	s_cbranch_execz .LBB4_2868
; %bb.2865:                             ;   in Loop: Header=BB4_2678 Depth=3
	v_and_b32_e32 v2, 7, v24
	v_lshrrev_b32_e32 v25, 3, v28
	s_mov_b32 s74, exec_lo
	s_delay_alu instid0(VALU_DEP_2)
	v_mov_b64_e32 v[76:77], v[2:3]
	v_cmpx_gt_u32_e32 8, v28
; %bb.2866:                             ;   in Loop: Header=BB4_2678 Depth=3
	v_clz_i32_u32_e32 v25, v2
	s_delay_alu instid0(VALU_DEP_1) | instskip(NEXT) | instid1(VALU_DEP_1)
	v_min_u32_e32 v25, 32, v25
	v_subrev_nc_u32_e32 v27, 28, v25
	s_delay_alu instid0(VALU_DEP_1) | instskip(NEXT) | instid1(VALU_DEP_1)
	v_lshlrev_b64_e32 v[28:29], v27, v[2:3]
	v_dual_sub_nc_u32 v25, 29, v25 :: v_dual_bitop2_b32 v76, 7, v28 bitop3:0x40
; %bb.2867:                             ;   in Loop: Header=BB4_2678 Depth=3
	s_or_b32 exec_lo, exec_lo, s74
	v_lshlrev_b32_e32 v2, 24, v24
	s_delay_alu instid0(VALU_DEP_2) | instskip(NEXT) | instid1(VALU_DEP_3)
	v_lshlrev_b32_e32 v24, 20, v76
	v_lshl_add_u32 v25, v25, 23, 0x3c000000
	s_delay_alu instid0(VALU_DEP_3) | instskip(NEXT) | instid1(VALU_DEP_1)
	v_and_b32_e32 v2, 0x80000000, v2
	v_or3_b32 v27, v24, v2, v25
.LBB4_2868:                             ;   in Loop: Header=BB4_2678 Depth=3
	s_or_b32 exec_lo, exec_lo, s45
.LBB4_2869:                             ;   in Loop: Header=BB4_2678 Depth=3
	s_delay_alu instid0(SALU_CYCLE_1)
	s_or_b32 exec_lo, exec_lo, s44
.LBB4_2870:                             ;   in Loop: Header=BB4_2678 Depth=3
	s_delay_alu instid0(SALU_CYCLE_1) | instskip(SKIP_2) | instid1(VALU_DEP_1)
	s_or_b32 exec_lo, exec_lo, s13
	v_lshrrev_b32_e32 v2, 16, v17
	s_mov_b32 s13, exec_lo
	v_and_b32_e32 v24, 0xff, v2
	s_delay_alu instid0(VALU_DEP_1)
	v_cmpx_ne_u16_e32 0, v24
	s_cbranch_execz .LBB4_2878
; %bb.2871:                             ;   in Loop: Header=BB4_2678 Depth=3
	v_bfrev_b32_e32 v26, 1
	s_mov_b32 s44, exec_lo
	v_cmpx_ne_u16_e32 0x80, v24
	s_cbranch_execz .LBB4_2877
; %bb.2872:                             ;   in Loop: Header=BB4_2678 Depth=3
	v_bfe_u32 v25, v17, 16, 7
	v_mov_b32_e32 v26, 0x7f800001
	s_mov_b32 s45, exec_lo
	s_delay_alu instid0(VALU_DEP_2)
	v_cmpx_ne_u32_e32 0x7f, v25
	s_cbranch_execz .LBB4_2876
; %bb.2873:                             ;   in Loop: Header=BB4_2678 Depth=3
	v_dual_lshrrev_b32 v24, 3, v25 :: v_dual_bitop2_b32 v2, 7, v2 bitop3:0x40
	s_mov_b32 s74, exec_lo
	s_delay_alu instid0(VALU_DEP_1)
	v_mov_b64_e32 v[76:77], v[2:3]
	v_cmpx_gt_u32_e32 8, v25
; %bb.2874:                             ;   in Loop: Header=BB4_2678 Depth=3
	v_clz_i32_u32_e32 v24, v2
	s_delay_alu instid0(VALU_DEP_1) | instskip(NEXT) | instid1(VALU_DEP_1)
	v_min_u32_e32 v24, 32, v24
	v_subrev_nc_u32_e32 v25, 28, v24
	v_sub_nc_u32_e32 v24, 29, v24
	s_delay_alu instid0(VALU_DEP_2) | instskip(NEXT) | instid1(VALU_DEP_1)
	v_lshlrev_b64_e32 v[28:29], v25, v[2:3]
	v_and_b32_e32 v76, 7, v28
; %bb.2875:                             ;   in Loop: Header=BB4_2678 Depth=3
	s_or_b32 exec_lo, exec_lo, s74
	s_delay_alu instid0(VALU_DEP_1) | instskip(SKIP_1) | instid1(VALU_DEP_2)
	v_dual_lshlrev_b32 v2, 8, v17 :: v_dual_lshlrev_b32 v25, 20, v76
	v_lshl_add_u32 v24, v24, 23, 0x3c000000
	v_and_b32_e32 v2, 0x80000000, v2
	s_delay_alu instid0(VALU_DEP_1)
	v_or3_b32 v26, v25, v2, v24
.LBB4_2876:                             ;   in Loop: Header=BB4_2678 Depth=3
	s_or_b32 exec_lo, exec_lo, s45
.LBB4_2877:                             ;   in Loop: Header=BB4_2678 Depth=3
	s_delay_alu instid0(SALU_CYCLE_1)
	s_or_b32 exec_lo, exec_lo, s44
.LBB4_2878:                             ;   in Loop: Header=BB4_2678 Depth=3
	s_delay_alu instid0(SALU_CYCLE_1) | instskip(NEXT) | instid1(VALU_DEP_1)
	s_or_b32 exec_lo, exec_lo, s13
	v_add_f32_e32 v24, v27, v26
                                        ; implicit-def: $vgpr76
	s_mov_b32 s13, exec_lo
	s_delay_alu instid0(VALU_DEP_1) | instskip(SKIP_1) | instid1(VALU_DEP_2)
	v_and_b32_e32 v2, 0x7f800000, v24
	v_lshrrev_b32_e32 v25, 24, v24
	v_cmpx_ne_u64_e32 0x7f800000, v[2:3]
	s_xor_b32 s44, exec_lo, s13
	s_cbranch_execz .LBB4_2892
; %bb.2879:                             ;   in Loop: Header=BB4_2678 Depth=3
	v_and_b32_e32 v2, 0x7fffffff, v24
	v_and_b32_e32 v26, 0x80, v25
                                        ; implicit-def: $vgpr76
	s_mov_b32 s13, exec_lo
	s_delay_alu instid0(VALU_DEP_2)
	v_cmpx_gt_u64_e32 0x43e00001, v[2:3]
	s_xor_b32 s45, exec_lo, s13
	s_cbranch_execz .LBB4_2889
; %bb.2880:                             ;   in Loop: Header=BB4_2678 Depth=3
	v_mov_b32_e32 v76, 0
	s_mov_b32 s74, exec_lo
	v_cmpx_ne_u32_e32 0, v24
	s_cbranch_execz .LBB4_2888
; %bb.2881:                             ;   in Loop: Header=BB4_2678 Depth=3
	v_bfe_u32 v25, v24, 23, 8
	s_delay_alu instid0(VALU_DEP_1) | instskip(SKIP_1) | instid1(VALU_DEP_2)
	v_sub_nc_u32_e32 v2, 0x79, v25
	v_cmp_gt_u32_e32 vcc_lo, 0x7a, v25
	v_cndmask_b32_e32 v2, 0, v2, vcc_lo
	v_cmp_eq_u32_e32 vcc_lo, 0, v25
	s_delay_alu instid0(VALU_DEP_2) | instskip(SKIP_1) | instid1(VALU_DEP_2)
	v_cndmask_b32_e64 v27, v2, 0x78, vcc_lo
	v_and_b32_e32 v2, 0x7fffff, v24
	v_add_nc_u32_e32 v24, 20, v27
	s_delay_alu instid0(VALU_DEP_2) | instskip(NEXT) | instid1(VALU_DEP_2)
	v_or_b32_e32 v68, 0x800000, v2
	v_lshlrev_b64_e64 v[28:29], v24, -1
	s_delay_alu instid0(VALU_DEP_2) | instskip(NEXT) | instid1(VALU_DEP_1)
	v_dual_add_nc_u32 v24, 19, v27 :: v_dual_cndmask_b32 v2, v68, v2, vcc_lo
	v_lshlrev_b64_e64 v[78:79], v24, 1
	s_delay_alu instid0(VALU_DEP_2) | instskip(NEXT) | instid1(VALU_DEP_4)
	v_lshrrev_b64 v[76:77], v27, v[2:3]
	v_bfi_b32 v29, v29, 0, 0
	v_bfi_b32 v28, v28, 0, v2
	s_delay_alu instid0(VALU_DEP_1) | instskip(NEXT) | instid1(VALU_DEP_4)
	v_cmp_eq_u64_e64 s13, v[28:29], v[78:79]
	v_mov_b64_e32 v[78:79], v[76:77]
	s_and_saveexec_b32 s75, s13
; %bb.2882:                             ;   in Loop: Header=BB4_2678 Depth=3
	v_bfe_u32 v2, v76, 20, 1
	s_delay_alu instid0(VALU_DEP_1) | instskip(NEXT) | instid1(VALU_DEP_1)
	v_add_nc_u64_e32 v[28:29], v[76:77], v[2:3]
	v_add_nc_u64_e32 v[78:79], -1, v[28:29]
; %bb.2883:                             ;   in Loop: Header=BB4_2678 Depth=3
	s_or_b32 exec_lo, exec_lo, s75
	v_add_nc_u32_e32 v2, 0xffffff81, v25
	v_lshrrev_b32_e32 v24, 23, v76
	s_mov_b32 s13, exec_lo
	s_delay_alu instid0(VALU_DEP_2) | instskip(NEXT) | instid1(VALU_DEP_1)
	v_cndmask_b32_e64 v2, v2, 0xffffff82, vcc_lo
	v_add3_u32 v25, v27, v2, v24
	v_and_b32_e32 v2, 0xfffff, v78
                                        ; implicit-def: $vgpr24
	s_delay_alu instid0(VALU_DEP_1) | instskip(NEXT) | instid1(VALU_DEP_1)
	v_dual_add_nc_u32 v27, 6, v25 :: v_dual_add_nc_u32 v2, v2, v76
                                        ; implicit-def: $vgpr76_vgpr77
	v_cmpx_ne_u32_e32 0, v27
	s_xor_b32 s13, exec_lo, s13
; %bb.2884:                             ;   in Loop: Header=BB4_2678 Depth=3
	s_delay_alu instid0(VALU_DEP_2) | instskip(SKIP_2) | instid1(VALU_DEP_2)
	v_cmp_lt_u64_e32 vcc_lo, 0xffffff, v[2:3]
	v_add_nc_u32_e32 v24, 7, v25
	v_cndmask_b32_e64 v25, 0, 1, vcc_lo
	v_cndmask_b32_e32 v24, v27, v24, vcc_lo
	s_delay_alu instid0(VALU_DEP_2)
	v_lshrrev_b64 v[76:77], v25, v[2:3]
; %bb.2885:                             ;   in Loop: Header=BB4_2678 Depth=3
	s_and_not1_saveexec_b32 s13, s13
; %bb.2886:                             ;   in Loop: Header=BB4_2678 Depth=3
	v_mov_b64_e32 v[76:77], v[2:3]
	v_bfe_u32 v24, v2, 23, 1
; %bb.2887:                             ;   in Loop: Header=BB4_2678 Depth=3
	s_or_b32 exec_lo, exec_lo, s13
	s_delay_alu instid0(VALU_DEP_2) | instskip(NEXT) | instid1(VALU_DEP_2)
	v_lshrrev_b64 v[28:29], 20, v[76:77]
	v_cmp_gt_i32_e32 vcc_lo, 16, v24
	v_min_i32_e32 v2, 15, v24
	v_cmp_eq_u32_e64 s13, 0, v24
	s_delay_alu instid0(VALU_DEP_2) | instskip(SKIP_1) | instid1(VALU_DEP_2)
	v_dual_cndmask_b32 v29, 0, v29 :: v_dual_lshlrev_b32 v2, 3, v2
	v_cndmask_b32_e32 v28, 7, v28, vcc_lo
	v_and_b32_e32 v2, 0xf8, v2
	s_delay_alu instid0(VALU_DEP_2) | instskip(NEXT) | instid1(VALU_DEP_2)
	v_cmp_eq_u64_e32 vcc_lo, 0, v[28:29]
	v_and_or_b32 v2, v28, 7, v2
	s_and_b32 s13, s13, vcc_lo
	s_delay_alu instid0(VALU_DEP_1) | instid1(SALU_CYCLE_1)
	v_cndmask_b32_e64 v2, v2, 0, s13
	s_delay_alu instid0(VALU_DEP_1)
	v_or_b32_e32 v76, v2, v26
.LBB4_2888:                             ;   in Loop: Header=BB4_2678 Depth=3
	s_or_b32 exec_lo, exec_lo, s74
                                        ; implicit-def: $vgpr26
.LBB4_2889:                             ;   in Loop: Header=BB4_2678 Depth=3
	s_and_not1_saveexec_b32 s13, s45
; %bb.2890:                             ;   in Loop: Header=BB4_2678 Depth=3
	v_or_b32_e32 v76, 0x7e, v26
; %bb.2891:                             ;   in Loop: Header=BB4_2678 Depth=3
	s_or_b32 exec_lo, exec_lo, s13
                                        ; implicit-def: $vgpr25
.LBB4_2892:                             ;   in Loop: Header=BB4_2678 Depth=3
	s_and_not1_saveexec_b32 s13, s44
; %bb.2893:                             ;   in Loop: Header=BB4_2678 Depth=3
	v_or_b32_e32 v76, 0x7f, v25
; %bb.2894:                             ;   in Loop: Header=BB4_2678 Depth=3
	s_or_b32 exec_lo, exec_lo, s13
	v_cmp_lt_u64_e32 vcc_lo, s[22:23], v[20:21]
	v_dual_mov_b32 v26, 0 :: v_dual_mov_b32 v20, 0
	s_and_saveexec_b32 s13, vcc_lo
	s_cbranch_execz .LBB4_2902
; %bb.2895:                             ;   in Loop: Header=BB4_2678 Depth=3
	v_lshrrev_b32_e32 v24, 24, v21
	v_bfrev_b32_e32 v20, 1
	s_mov_b32 s44, exec_lo
	s_delay_alu instid0(VALU_DEP_2)
	v_cmpx_ne_u32_e32 0x80, v24
	s_cbranch_execz .LBB4_2901
; %bb.2896:                             ;   in Loop: Header=BB4_2678 Depth=3
	v_bfe_u32 v21, v21, 24, 7
	v_mov_b32_e32 v20, 0x7f800001
	s_mov_b32 s45, exec_lo
	s_delay_alu instid0(VALU_DEP_2)
	v_cmpx_ne_u32_e32 0x7f, v21
	s_cbranch_execz .LBB4_2900
; %bb.2897:                             ;   in Loop: Header=BB4_2678 Depth=3
	v_dual_lshrrev_b32 v25, 3, v21 :: v_dual_bitop2_b32 v2, 7, v24 bitop3:0x40
	v_cmp_gt_u32_e32 vcc_lo, 8, v21
	s_delay_alu instid0(VALU_DEP_2)
	v_mov_b64_e32 v[20:21], v[2:3]
	s_and_saveexec_b32 s74, vcc_lo
; %bb.2898:                             ;   in Loop: Header=BB4_2678 Depth=3
	v_clz_i32_u32_e32 v20, v2
	s_delay_alu instid0(VALU_DEP_1) | instskip(NEXT) | instid1(VALU_DEP_1)
	v_min_u32_e32 v25, 32, v20
	v_subrev_nc_u32_e32 v20, 28, v25
	s_delay_alu instid0(VALU_DEP_1) | instskip(NEXT) | instid1(VALU_DEP_1)
	v_lshlrev_b64_e32 v[20:21], v20, v[2:3]
	v_dual_sub_nc_u32 v25, 29, v25 :: v_dual_bitop2_b32 v20, 7, v20 bitop3:0x40
; %bb.2899:                             ;   in Loop: Header=BB4_2678 Depth=3
	s_or_b32 exec_lo, exec_lo, s74
	v_lshlrev_b32_e32 v2, 24, v24
	s_delay_alu instid0(VALU_DEP_2) | instskip(NEXT) | instid1(VALU_DEP_3)
	v_lshlrev_b32_e32 v20, 20, v20
	v_lshl_add_u32 v21, v25, 23, 0x3c000000
	s_delay_alu instid0(VALU_DEP_3) | instskip(NEXT) | instid1(VALU_DEP_1)
	v_and_b32_e32 v2, 0x80000000, v2
	v_or3_b32 v20, v20, v2, v21
.LBB4_2900:                             ;   in Loop: Header=BB4_2678 Depth=3
	s_or_b32 exec_lo, exec_lo, s45
.LBB4_2901:                             ;   in Loop: Header=BB4_2678 Depth=3
	s_delay_alu instid0(SALU_CYCLE_1)
	s_or_b32 exec_lo, exec_lo, s44
.LBB4_2902:                             ;   in Loop: Header=BB4_2678 Depth=3
	s_delay_alu instid0(SALU_CYCLE_1) | instskip(NEXT) | instid1(SALU_CYCLE_1)
	s_or_b32 exec_lo, exec_lo, s13
	s_mov_b32 s13, exec_lo
	v_cmpx_lt_u64_e64 s[22:23], v[16:17]
	s_cbranch_execz .LBB4_2910
; %bb.2903:                             ;   in Loop: Header=BB4_2678 Depth=3
	v_lshrrev_b32_e32 v21, 24, v17
	v_bfrev_b32_e32 v26, 1
	s_mov_b32 s44, exec_lo
	s_delay_alu instid0(VALU_DEP_2)
	v_cmpx_ne_u32_e32 0x80, v21
	s_cbranch_execz .LBB4_2909
; %bb.2904:                             ;   in Loop: Header=BB4_2678 Depth=3
	v_bfe_u32 v16, v17, 24, 7
	v_mov_b32_e32 v26, 0x7f800001
	s_mov_b32 s45, exec_lo
	s_delay_alu instid0(VALU_DEP_2)
	v_cmpx_ne_u32_e32 0x7f, v16
	s_cbranch_execz .LBB4_2908
; %bb.2905:                             ;   in Loop: Header=BB4_2678 Depth=3
	v_dual_lshrrev_b32 v24, 3, v16 :: v_dual_bitop2_b32 v2, 7, v21 bitop3:0x40
	v_cmp_gt_u32_e32 vcc_lo, 8, v16
	s_delay_alu instid0(VALU_DEP_2)
	v_mov_b64_e32 v[16:17], v[2:3]
	s_and_saveexec_b32 s74, vcc_lo
; %bb.2906:                             ;   in Loop: Header=BB4_2678 Depth=3
	v_clz_i32_u32_e32 v16, v2
	s_delay_alu instid0(VALU_DEP_1) | instskip(NEXT) | instid1(VALU_DEP_1)
	v_min_u32_e32 v24, 32, v16
	v_subrev_nc_u32_e32 v16, 28, v24
	v_sub_nc_u32_e32 v24, 29, v24
	s_delay_alu instid0(VALU_DEP_2) | instskip(NEXT) | instid1(VALU_DEP_1)
	v_lshlrev_b64_e32 v[16:17], v16, v[2:3]
	v_and_b32_e32 v16, 7, v16
; %bb.2907:                             ;   in Loop: Header=BB4_2678 Depth=3
	s_or_b32 exec_lo, exec_lo, s74
	s_delay_alu instid0(VALU_DEP_1) | instskip(SKIP_1) | instid1(VALU_DEP_2)
	v_dual_lshlrev_b32 v2, 24, v21 :: v_dual_lshlrev_b32 v16, 20, v16
	v_lshl_add_u32 v17, v24, 23, 0x3c000000
	v_and_b32_e32 v2, 0x80000000, v2
	s_delay_alu instid0(VALU_DEP_1)
	v_or3_b32 v26, v16, v2, v17
.LBB4_2908:                             ;   in Loop: Header=BB4_2678 Depth=3
	s_or_b32 exec_lo, exec_lo, s45
.LBB4_2909:                             ;   in Loop: Header=BB4_2678 Depth=3
	s_delay_alu instid0(SALU_CYCLE_1)
	s_or_b32 exec_lo, exec_lo, s44
.LBB4_2910:                             ;   in Loop: Header=BB4_2678 Depth=3
	s_delay_alu instid0(SALU_CYCLE_1) | instskip(NEXT) | instid1(VALU_DEP_1)
	s_or_b32 exec_lo, exec_lo, s13
	v_add_f32_e32 v16, v20, v26
                                        ; implicit-def: $vgpr77
	s_mov_b32 s13, exec_lo
	s_delay_alu instid0(VALU_DEP_1) | instskip(SKIP_1) | instid1(VALU_DEP_2)
	v_and_b32_e32 v2, 0x7f800000, v16
	v_lshrrev_b32_e32 v17, 24, v16
	v_cmpx_ne_u64_e32 0x7f800000, v[2:3]
	s_xor_b32 s44, exec_lo, s13
	s_cbranch_execz .LBB4_2924
; %bb.2911:                             ;   in Loop: Header=BB4_2678 Depth=3
	v_and_b32_e32 v2, 0x7fffffff, v16
	v_and_b32_e32 v26, 0x80, v17
                                        ; implicit-def: $vgpr77
	s_mov_b32 s13, exec_lo
	s_delay_alu instid0(VALU_DEP_2)
	v_cmpx_gt_u64_e32 0x43e00001, v[2:3]
	s_xor_b32 s45, exec_lo, s13
	s_cbranch_execz .LBB4_2921
; %bb.2912:                             ;   in Loop: Header=BB4_2678 Depth=3
	v_mov_b32_e32 v77, 0
	s_mov_b32 s74, exec_lo
	v_cmpx_ne_u32_e32 0, v16
	s_cbranch_execz .LBB4_2920
; %bb.2913:                             ;   in Loop: Header=BB4_2678 Depth=3
	v_bfe_u32 v24, v16, 23, 8
	s_delay_alu instid0(VALU_DEP_1) | instskip(SKIP_1) | instid1(VALU_DEP_2)
	v_sub_nc_u32_e32 v2, 0x79, v24
	v_cmp_gt_u32_e32 vcc_lo, 0x7a, v24
	v_cndmask_b32_e32 v2, 0, v2, vcc_lo
	v_cmp_eq_u32_e32 vcc_lo, 0, v24
	s_delay_alu instid0(VALU_DEP_2) | instskip(SKIP_1) | instid1(VALU_DEP_2)
	v_cndmask_b32_e64 v25, v2, 0x78, vcc_lo
	v_and_b32_e32 v2, 0x7fffff, v16
	v_add_nc_u32_e32 v16, 20, v25
	s_delay_alu instid0(VALU_DEP_2) | instskip(SKIP_1) | instid1(VALU_DEP_3)
	v_or_b32_e32 v20, 0x800000, v2
	v_add_nc_u32_e32 v21, 19, v25
	v_lshlrev_b64_e64 v[16:17], v16, -1
	s_delay_alu instid0(VALU_DEP_3) | instskip(NEXT) | instid1(VALU_DEP_3)
	v_cndmask_b32_e32 v2, v20, v2, vcc_lo
	v_lshlrev_b64_e64 v[20:21], v21, 1
	s_delay_alu instid0(VALU_DEP_3) | instskip(NEXT) | instid1(VALU_DEP_3)
	v_bfi_b32 v29, v17, 0, 0
	v_bfi_b32 v28, v16, 0, v2
	v_lshrrev_b64 v[16:17], v25, v[2:3]
	s_delay_alu instid0(VALU_DEP_2) | instskip(NEXT) | instid1(VALU_DEP_2)
	v_cmp_eq_u64_e64 s13, v[28:29], v[20:21]
	v_mov_b64_e32 v[20:21], v[16:17]
	s_and_saveexec_b32 s75, s13
; %bb.2914:                             ;   in Loop: Header=BB4_2678 Depth=3
	v_bfe_u32 v2, v16, 20, 1
	s_delay_alu instid0(VALU_DEP_1) | instskip(NEXT) | instid1(VALU_DEP_1)
	v_add_nc_u64_e32 v[20:21], v[16:17], v[2:3]
	v_add_nc_u64_e32 v[20:21], -1, v[20:21]
; %bb.2915:                             ;   in Loop: Header=BB4_2678 Depth=3
	s_or_b32 exec_lo, exec_lo, s75
	v_add_nc_u32_e32 v2, 0xffffff81, v24
	v_lshrrev_b32_e32 v17, 23, v16
	s_mov_b32 s13, exec_lo
	s_delay_alu instid0(VALU_DEP_2) | instskip(NEXT) | instid1(VALU_DEP_1)
	v_cndmask_b32_e64 v2, v2, 0xffffff82, vcc_lo
	v_add3_u32 v21, v25, v2, v17
	v_and_b32_e32 v2, 0xfffff, v20
                                        ; implicit-def: $vgpr20
	s_delay_alu instid0(VALU_DEP_1) | instskip(NEXT) | instid1(VALU_DEP_1)
	v_dual_add_nc_u32 v24, 6, v21 :: v_dual_add_nc_u32 v2, v2, v16
                                        ; implicit-def: $vgpr16_vgpr17
	v_cmpx_ne_u32_e32 0, v24
	s_xor_b32 s13, exec_lo, s13
; %bb.2916:                             ;   in Loop: Header=BB4_2678 Depth=3
	s_delay_alu instid0(VALU_DEP_2) | instskip(SKIP_1) | instid1(VALU_DEP_1)
	v_cmp_lt_u64_e32 vcc_lo, 0xffffff, v[2:3]
	v_add_nc_u32_e32 v16, 7, v21
	v_cndmask_b32_e32 v20, v24, v16, vcc_lo
	v_cndmask_b32_e64 v16, 0, 1, vcc_lo
	s_delay_alu instid0(VALU_DEP_1)
	v_lshrrev_b64 v[16:17], v16, v[2:3]
; %bb.2917:                             ;   in Loop: Header=BB4_2678 Depth=3
	s_and_not1_saveexec_b32 s13, s13
; %bb.2918:                             ;   in Loop: Header=BB4_2678 Depth=3
	v_mov_b64_e32 v[16:17], v[2:3]
	v_bfe_u32 v20, v2, 23, 1
; %bb.2919:                             ;   in Loop: Header=BB4_2678 Depth=3
	s_or_b32 exec_lo, exec_lo, s13
	s_delay_alu instid0(VALU_DEP_2) | instskip(NEXT) | instid1(VALU_DEP_2)
	v_lshrrev_b64 v[16:17], 20, v[16:17]
	v_cmp_gt_i32_e32 vcc_lo, 16, v20
	v_min_i32_e32 v2, 15, v20
	v_cmp_eq_u32_e64 s13, 0, v20
	s_delay_alu instid0(VALU_DEP_2) | instskip(SKIP_1) | instid1(VALU_DEP_2)
	v_dual_cndmask_b32 v17, 0, v17 :: v_dual_lshlrev_b32 v2, 3, v2
	v_cndmask_b32_e32 v16, 7, v16, vcc_lo
	v_and_b32_e32 v2, 0xf8, v2
	s_delay_alu instid0(VALU_DEP_2) | instskip(NEXT) | instid1(VALU_DEP_2)
	v_cmp_eq_u64_e32 vcc_lo, 0, v[16:17]
	v_and_or_b32 v2, v16, 7, v2
	s_and_b32 s13, s13, vcc_lo
	s_delay_alu instid0(VALU_DEP_1) | instid1(SALU_CYCLE_1)
	v_cndmask_b32_e64 v2, v2, 0, s13
	s_delay_alu instid0(VALU_DEP_1)
	v_or_b32_e32 v77, v2, v26
.LBB4_2920:                             ;   in Loop: Header=BB4_2678 Depth=3
	s_or_b32 exec_lo, exec_lo, s74
                                        ; implicit-def: $vgpr26
.LBB4_2921:                             ;   in Loop: Header=BB4_2678 Depth=3
	s_and_not1_saveexec_b32 s13, s45
; %bb.2922:                             ;   in Loop: Header=BB4_2678 Depth=3
	v_or_b32_e32 v77, 0x7e, v26
; %bb.2923:                             ;   in Loop: Header=BB4_2678 Depth=3
	s_or_b32 exec_lo, exec_lo, s13
                                        ; implicit-def: $vgpr17
.LBB4_2924:                             ;   in Loop: Header=BB4_2678 Depth=3
	s_and_not1_saveexec_b32 s13, s44
; %bb.2925:                             ;   in Loop: Header=BB4_2678 Depth=3
	v_or_b32_e32 v77, 0x7f, v17
; %bb.2926:                             ;   in Loop: Header=BB4_2678 Depth=3
	s_or_b32 exec_lo, exec_lo, s13
	v_and_b32_e32 v17, 0xff, v22
	v_dual_mov_b32 v2, 0 :: v_dual_mov_b32 v16, 0
	s_mov_b32 s13, exec_lo
	s_delay_alu instid0(VALU_DEP_2)
	v_cmpx_ne_u16_e32 0, v17
	s_cbranch_execz .LBB4_2932
; %bb.2927:                             ;   in Loop: Header=BB4_2678 Depth=3
	v_bfrev_b32_e32 v16, 1
	s_mov_b32 s44, exec_lo
	v_cmpx_ne_u16_e32 0x80, v17
	s_cbranch_execz .LBB4_2931
; %bb.2928:                             ;   in Loop: Header=BB4_2678 Depth=3
	v_and_b32_e32 v17, 0x7f, v22
	v_mov_b32_e32 v16, 0x7f800001
	s_mov_b32 s45, exec_lo
	s_delay_alu instid0(VALU_DEP_2)
	v_cmpx_ne_u32_e32 0x7f, v17
	s_cbranch_execz .LBB4_2930
; %bb.2929:                             ;   in Loop: Header=BB4_2678 Depth=3
	v_dual_lshrrev_b32 v20, 3, v17 :: v_dual_bitop2_b32 v16, 7, v22 bitop3:0x40
	v_cmp_gt_u32_e32 vcc_lo, 8, v17
	s_delay_alu instid0(VALU_DEP_2) | instskip(NEXT) | instid1(VALU_DEP_1)
	v_clz_i32_u32_e32 v16, v16
	v_min_u32_e32 v16, 32, v16
	s_delay_alu instid0(VALU_DEP_1) | instskip(SKIP_1) | instid1(VALU_DEP_1)
	v_subrev_nc_u32_e32 v21, 28, v16
	v_sub_nc_u32_e32 v16, 29, v16
	v_dual_cndmask_b32 v20, v20, v16, vcc_lo :: v_dual_cndmask_b32 v16, 0, v21, vcc_lo
	s_delay_alu instid0(VALU_DEP_1) | instskip(NEXT) | instid1(VALU_DEP_2)
	v_lshl_add_u32 v20, v20, 23, 0x3c000000
	v_lshlrev_b64_e32 v[16:17], v16, v[22:23]
	v_lshlrev_b32_e32 v17, 24, v22
	s_delay_alu instid0(VALU_DEP_1) | instskip(NEXT) | instid1(VALU_DEP_3)
	v_and_b32_e32 v17, 0x80000000, v17
	v_lshlrev_b32_e32 v16, 20, v16
	s_delay_alu instid0(VALU_DEP_1) | instskip(NEXT) | instid1(VALU_DEP_1)
	v_and_b32_e32 v16, 0x700000, v16
	v_or3_b32 v16, v16, v17, v20
.LBB4_2930:                             ;   in Loop: Header=BB4_2678 Depth=3
	s_or_b32 exec_lo, exec_lo, s45
.LBB4_2931:                             ;   in Loop: Header=BB4_2678 Depth=3
	s_delay_alu instid0(SALU_CYCLE_1)
	s_or_b32 exec_lo, exec_lo, s44
.LBB4_2932:                             ;   in Loop: Header=BB4_2678 Depth=3
	s_delay_alu instid0(SALU_CYCLE_1) | instskip(SKIP_2) | instid1(VALU_DEP_1)
	s_or_b32 exec_lo, exec_lo, s13
	v_and_b32_e32 v17, 0xff, v18
	s_mov_b32 s13, exec_lo
	v_cmpx_ne_u16_e32 0, v17
	s_cbranch_execz .LBB4_2938
; %bb.2933:                             ;   in Loop: Header=BB4_2678 Depth=3
	v_bfrev_b32_e32 v2, 1
	s_mov_b32 s44, exec_lo
	v_cmpx_ne_u16_e32 0x80, v17
	s_cbranch_execz .LBB4_2937
; %bb.2934:                             ;   in Loop: Header=BB4_2678 Depth=3
	v_and_b32_e32 v17, 0x7f, v18
	v_mov_b32_e32 v2, 0x7f800001
	s_mov_b32 s45, exec_lo
	s_delay_alu instid0(VALU_DEP_2)
	v_cmpx_ne_u32_e32 0x7f, v17
	s_cbranch_execz .LBB4_2936
; %bb.2935:                             ;   in Loop: Header=BB4_2678 Depth=3
	v_dual_lshrrev_b32 v20, 3, v17 :: v_dual_bitop2_b32 v2, 7, v18 bitop3:0x40
	v_cmp_gt_u32_e32 vcc_lo, 8, v17
	s_delay_alu instid0(VALU_DEP_2) | instskip(NEXT) | instid1(VALU_DEP_1)
	v_clz_i32_u32_e32 v2, v2
	v_min_u32_e32 v2, 32, v2
	s_delay_alu instid0(VALU_DEP_1) | instskip(NEXT) | instid1(VALU_DEP_1)
	v_subrev_nc_u32_e32 v21, 28, v2
	v_dual_cndmask_b32 v17, 0, v21 :: v_dual_sub_nc_u32 v2, 29, v2
	s_delay_alu instid0(VALU_DEP_1) | instskip(NEXT) | instid1(VALU_DEP_2)
	v_cndmask_b32_e32 v2, v20, v2, vcc_lo
	v_lshlrev_b64_e32 v[20:21], v17, v[18:19]
	v_lshlrev_b32_e32 v17, 24, v18
	s_delay_alu instid0(VALU_DEP_1) | instskip(NEXT) | instid1(VALU_DEP_3)
	v_and_b32_e32 v17, 0x80000000, v17
	v_lshlrev_b32_e32 v20, 20, v20
	v_lshl_add_u32 v2, v2, 23, 0x3c000000
	s_delay_alu instid0(VALU_DEP_2) | instskip(NEXT) | instid1(VALU_DEP_1)
	v_and_b32_e32 v20, 0x700000, v20
	v_or3_b32 v2, v20, v17, v2
.LBB4_2936:                             ;   in Loop: Header=BB4_2678 Depth=3
	s_or_b32 exec_lo, exec_lo, s45
.LBB4_2937:                             ;   in Loop: Header=BB4_2678 Depth=3
	s_delay_alu instid0(SALU_CYCLE_1)
	s_or_b32 exec_lo, exec_lo, s44
.LBB4_2938:                             ;   in Loop: Header=BB4_2678 Depth=3
	s_delay_alu instid0(SALU_CYCLE_1) | instskip(NEXT) | instid1(VALU_DEP_1)
	s_or_b32 exec_lo, exec_lo, s13
	v_add_f32_e32 v16, v16, v2
                                        ; implicit-def: $vgpr78
	s_mov_b32 s13, exec_lo
	s_delay_alu instid0(VALU_DEP_1) | instskip(SKIP_1) | instid1(VALU_DEP_2)
	v_and_b32_e32 v2, 0x7f800000, v16
	v_lshrrev_b32_e32 v17, 24, v16
	v_cmpx_ne_u64_e32 0x7f800000, v[2:3]
	s_xor_b32 s44, exec_lo, s13
	s_cbranch_execz .LBB4_2952
; %bb.2939:                             ;   in Loop: Header=BB4_2678 Depth=3
	v_and_b32_e32 v2, 0x7fffffff, v16
	v_and_b32_e32 v26, 0x80, v17
                                        ; implicit-def: $vgpr78
	s_mov_b32 s13, exec_lo
	s_delay_alu instid0(VALU_DEP_2)
	v_cmpx_gt_u64_e32 0x43e00001, v[2:3]
	s_xor_b32 s45, exec_lo, s13
	s_cbranch_execz .LBB4_2949
; %bb.2940:                             ;   in Loop: Header=BB4_2678 Depth=3
	v_mov_b32_e32 v78, 0
	s_mov_b32 s74, exec_lo
	v_cmpx_ne_u32_e32 0, v16
	s_cbranch_execz .LBB4_2948
; %bb.2941:                             ;   in Loop: Header=BB4_2678 Depth=3
	v_bfe_u32 v24, v16, 23, 8
	s_delay_alu instid0(VALU_DEP_1) | instskip(SKIP_1) | instid1(VALU_DEP_2)
	v_sub_nc_u32_e32 v2, 0x79, v24
	v_cmp_gt_u32_e32 vcc_lo, 0x7a, v24
	v_cndmask_b32_e32 v2, 0, v2, vcc_lo
	v_cmp_eq_u32_e32 vcc_lo, 0, v24
	s_delay_alu instid0(VALU_DEP_2) | instskip(SKIP_1) | instid1(VALU_DEP_2)
	v_cndmask_b32_e64 v25, v2, 0x78, vcc_lo
	v_and_b32_e32 v2, 0x7fffff, v16
	v_add_nc_u32_e32 v16, 20, v25
	s_delay_alu instid0(VALU_DEP_2) | instskip(SKIP_1) | instid1(VALU_DEP_3)
	v_or_b32_e32 v20, 0x800000, v2
	v_add_nc_u32_e32 v21, 19, v25
	v_lshlrev_b64_e64 v[16:17], v16, -1
	s_delay_alu instid0(VALU_DEP_3) | instskip(NEXT) | instid1(VALU_DEP_3)
	v_cndmask_b32_e32 v2, v20, v2, vcc_lo
	v_lshlrev_b64_e64 v[20:21], v21, 1
	s_delay_alu instid0(VALU_DEP_3) | instskip(NEXT) | instid1(VALU_DEP_3)
	v_bfi_b32 v29, v17, 0, 0
	v_bfi_b32 v28, v16, 0, v2
	v_lshrrev_b64 v[16:17], v25, v[2:3]
	s_delay_alu instid0(VALU_DEP_2) | instskip(NEXT) | instid1(VALU_DEP_2)
	v_cmp_eq_u64_e64 s13, v[28:29], v[20:21]
	v_mov_b64_e32 v[20:21], v[16:17]
	s_and_saveexec_b32 s75, s13
; %bb.2942:                             ;   in Loop: Header=BB4_2678 Depth=3
	v_bfe_u32 v2, v16, 20, 1
	s_delay_alu instid0(VALU_DEP_1) | instskip(NEXT) | instid1(VALU_DEP_1)
	v_add_nc_u64_e32 v[20:21], v[16:17], v[2:3]
	v_add_nc_u64_e32 v[20:21], -1, v[20:21]
; %bb.2943:                             ;   in Loop: Header=BB4_2678 Depth=3
	s_or_b32 exec_lo, exec_lo, s75
	v_add_nc_u32_e32 v2, 0xffffff81, v24
	v_lshrrev_b32_e32 v17, 23, v16
	s_mov_b32 s13, exec_lo
	s_delay_alu instid0(VALU_DEP_2) | instskip(NEXT) | instid1(VALU_DEP_1)
	v_cndmask_b32_e64 v2, v2, 0xffffff82, vcc_lo
	v_add3_u32 v21, v25, v2, v17
	v_and_b32_e32 v2, 0xfffff, v20
                                        ; implicit-def: $vgpr20
	s_delay_alu instid0(VALU_DEP_1) | instskip(NEXT) | instid1(VALU_DEP_1)
	v_dual_add_nc_u32 v24, 6, v21 :: v_dual_add_nc_u32 v2, v2, v16
                                        ; implicit-def: $vgpr16_vgpr17
	v_cmpx_ne_u32_e32 0, v24
	s_xor_b32 s13, exec_lo, s13
; %bb.2944:                             ;   in Loop: Header=BB4_2678 Depth=3
	s_delay_alu instid0(VALU_DEP_2) | instskip(SKIP_1) | instid1(VALU_DEP_1)
	v_cmp_lt_u64_e32 vcc_lo, 0xffffff, v[2:3]
	v_add_nc_u32_e32 v16, 7, v21
	v_cndmask_b32_e32 v20, v24, v16, vcc_lo
	v_cndmask_b32_e64 v16, 0, 1, vcc_lo
	s_delay_alu instid0(VALU_DEP_1)
	v_lshrrev_b64 v[16:17], v16, v[2:3]
; %bb.2945:                             ;   in Loop: Header=BB4_2678 Depth=3
	s_and_not1_saveexec_b32 s13, s13
; %bb.2946:                             ;   in Loop: Header=BB4_2678 Depth=3
	v_mov_b64_e32 v[16:17], v[2:3]
	v_bfe_u32 v20, v2, 23, 1
; %bb.2947:                             ;   in Loop: Header=BB4_2678 Depth=3
	s_or_b32 exec_lo, exec_lo, s13
	s_delay_alu instid0(VALU_DEP_2) | instskip(NEXT) | instid1(VALU_DEP_2)
	v_lshrrev_b64 v[16:17], 20, v[16:17]
	v_cmp_gt_i32_e32 vcc_lo, 16, v20
	v_min_i32_e32 v2, 15, v20
	v_cmp_eq_u32_e64 s13, 0, v20
	s_delay_alu instid0(VALU_DEP_2) | instskip(SKIP_1) | instid1(VALU_DEP_2)
	v_dual_cndmask_b32 v17, 0, v17 :: v_dual_lshlrev_b32 v2, 3, v2
	v_cndmask_b32_e32 v16, 7, v16, vcc_lo
	v_and_b32_e32 v2, 0xf8, v2
	s_delay_alu instid0(VALU_DEP_2) | instskip(NEXT) | instid1(VALU_DEP_2)
	v_cmp_eq_u64_e32 vcc_lo, 0, v[16:17]
	v_and_or_b32 v2, v16, 7, v2
	s_and_b32 s13, s13, vcc_lo
	s_delay_alu instid0(VALU_DEP_1) | instid1(SALU_CYCLE_1)
	v_cndmask_b32_e64 v2, v2, 0, s13
	s_delay_alu instid0(VALU_DEP_1)
	v_or_b32_e32 v78, v2, v26
.LBB4_2948:                             ;   in Loop: Header=BB4_2678 Depth=3
	s_or_b32 exec_lo, exec_lo, s74
                                        ; implicit-def: $vgpr26
.LBB4_2949:                             ;   in Loop: Header=BB4_2678 Depth=3
	s_and_not1_saveexec_b32 s13, s45
; %bb.2950:                             ;   in Loop: Header=BB4_2678 Depth=3
	v_or_b32_e32 v78, 0x7e, v26
; %bb.2951:                             ;   in Loop: Header=BB4_2678 Depth=3
	s_or_b32 exec_lo, exec_lo, s13
                                        ; implicit-def: $vgpr17
.LBB4_2952:                             ;   in Loop: Header=BB4_2678 Depth=3
	s_and_not1_saveexec_b32 s13, s44
; %bb.2953:                             ;   in Loop: Header=BB4_2678 Depth=3
	v_or_b32_e32 v78, 0x7f, v17
; %bb.2954:                             ;   in Loop: Header=BB4_2678 Depth=3
	s_or_b32 exec_lo, exec_lo, s13
	v_lshrrev_b16 v2, 8, v22
	v_dual_mov_b32 v20, 0 :: v_dual_mov_b32 v21, 0
	s_mov_b32 s13, exec_lo
	s_delay_alu instid0(VALU_DEP_2)
	v_cmpx_ne_u16_e32 0, v2
	s_cbranch_execz .LBB4_2962
; %bb.2955:                             ;   in Loop: Header=BB4_2678 Depth=3
	v_bfrev_b32_e32 v21, 1
	s_mov_b32 s44, exec_lo
	v_cmpx_ne_u16_e32 0x80, v2
	s_cbranch_execz .LBB4_2961
; %bb.2956:                             ;   in Loop: Header=BB4_2678 Depth=3
	v_and_b32_e32 v2, 0xffff, v2
	v_mov_b32_e32 v21, 0x7f800001
	s_mov_b32 s45, exec_lo
	s_delay_alu instid0(VALU_DEP_2) | instskip(NEXT) | instid1(VALU_DEP_1)
	v_and_b32_e32 v16, 0x7f, v2
	v_cmpx_ne_u32_e32 0x7f, v16
	s_cbranch_execz .LBB4_2960
; %bb.2957:                             ;   in Loop: Header=BB4_2678 Depth=3
	v_dual_lshrrev_b32 v21, 3, v16 :: v_dual_bitop2_b32 v2, 7, v2 bitop3:0x40
	v_cmp_gt_u32_e32 vcc_lo, 8, v16
	s_delay_alu instid0(VALU_DEP_2)
	v_mov_b64_e32 v[16:17], v[2:3]
	s_and_saveexec_b32 s74, vcc_lo
; %bb.2958:                             ;   in Loop: Header=BB4_2678 Depth=3
	v_clz_i32_u32_e32 v16, v2
	s_delay_alu instid0(VALU_DEP_1) | instskip(NEXT) | instid1(VALU_DEP_1)
	v_min_u32_e32 v21, 32, v16
	v_subrev_nc_u32_e32 v16, 28, v21
	s_delay_alu instid0(VALU_DEP_1) | instskip(NEXT) | instid1(VALU_DEP_1)
	v_lshlrev_b64_e32 v[16:17], v16, v[2:3]
	v_dual_sub_nc_u32 v21, 29, v21 :: v_dual_bitop2_b32 v16, 7, v16 bitop3:0x40
; %bb.2959:                             ;   in Loop: Header=BB4_2678 Depth=3
	s_or_b32 exec_lo, exec_lo, s74
	s_delay_alu instid0(VALU_DEP_1) | instskip(NEXT) | instid1(VALU_DEP_2)
	v_dual_lshlrev_b32 v2, 16, v22 :: v_dual_lshlrev_b32 v16, 20, v16
	v_lshl_add_u32 v17, v21, 23, 0x3c000000
	s_delay_alu instid0(VALU_DEP_2) | instskip(NEXT) | instid1(VALU_DEP_1)
	v_and_b32_e32 v2, 0x80000000, v2
	v_or3_b32 v21, v16, v2, v17
.LBB4_2960:                             ;   in Loop: Header=BB4_2678 Depth=3
	s_or_b32 exec_lo, exec_lo, s45
.LBB4_2961:                             ;   in Loop: Header=BB4_2678 Depth=3
	s_delay_alu instid0(SALU_CYCLE_1)
	s_or_b32 exec_lo, exec_lo, s44
.LBB4_2962:                             ;   in Loop: Header=BB4_2678 Depth=3
	s_delay_alu instid0(SALU_CYCLE_1) | instskip(SKIP_2) | instid1(VALU_DEP_1)
	s_or_b32 exec_lo, exec_lo, s13
	v_lshrrev_b16 v2, 8, v18
	s_mov_b32 s13, exec_lo
	v_cmpx_ne_u16_e32 0, v2
	s_cbranch_execz .LBB4_2970
; %bb.2963:                             ;   in Loop: Header=BB4_2678 Depth=3
	v_bfrev_b32_e32 v20, 1
	s_mov_b32 s44, exec_lo
	v_cmpx_ne_u16_e32 0x80, v2
	s_cbranch_execz .LBB4_2969
; %bb.2964:                             ;   in Loop: Header=BB4_2678 Depth=3
	v_and_b32_e32 v2, 0xffff, v2
	v_mov_b32_e32 v20, 0x7f800001
	s_mov_b32 s45, exec_lo
	s_delay_alu instid0(VALU_DEP_2) | instskip(NEXT) | instid1(VALU_DEP_1)
	v_and_b32_e32 v16, 0x7f, v2
	v_cmpx_ne_u32_e32 0x7f, v16
	s_cbranch_execz .LBB4_2968
; %bb.2965:                             ;   in Loop: Header=BB4_2678 Depth=3
	v_dual_lshrrev_b32 v20, 3, v16 :: v_dual_bitop2_b32 v2, 7, v2 bitop3:0x40
	v_cmp_gt_u32_e32 vcc_lo, 8, v16
	s_delay_alu instid0(VALU_DEP_2)
	v_mov_b64_e32 v[16:17], v[2:3]
	s_and_saveexec_b32 s74, vcc_lo
; %bb.2966:                             ;   in Loop: Header=BB4_2678 Depth=3
	v_clz_i32_u32_e32 v16, v2
	s_delay_alu instid0(VALU_DEP_1) | instskip(NEXT) | instid1(VALU_DEP_1)
	v_min_u32_e32 v20, 32, v16
	v_subrev_nc_u32_e32 v16, 28, v20
	v_sub_nc_u32_e32 v20, 29, v20
	s_delay_alu instid0(VALU_DEP_2) | instskip(NEXT) | instid1(VALU_DEP_1)
	v_lshlrev_b64_e32 v[16:17], v16, v[2:3]
	v_and_b32_e32 v16, 7, v16
; %bb.2967:                             ;   in Loop: Header=BB4_2678 Depth=3
	s_or_b32 exec_lo, exec_lo, s74
	s_delay_alu instid0(VALU_DEP_1) | instskip(SKIP_1) | instid1(VALU_DEP_2)
	v_dual_lshlrev_b32 v2, 16, v18 :: v_dual_lshlrev_b32 v16, 20, v16
	v_lshl_add_u32 v17, v20, 23, 0x3c000000
	v_and_b32_e32 v2, 0x80000000, v2
	s_delay_alu instid0(VALU_DEP_1)
	v_or3_b32 v20, v16, v2, v17
.LBB4_2968:                             ;   in Loop: Header=BB4_2678 Depth=3
	s_or_b32 exec_lo, exec_lo, s45
.LBB4_2969:                             ;   in Loop: Header=BB4_2678 Depth=3
	s_delay_alu instid0(SALU_CYCLE_1)
	s_or_b32 exec_lo, exec_lo, s44
.LBB4_2970:                             ;   in Loop: Header=BB4_2678 Depth=3
	s_delay_alu instid0(SALU_CYCLE_1) | instskip(NEXT) | instid1(VALU_DEP_1)
	s_or_b32 exec_lo, exec_lo, s13
	v_add_f32_e32 v16, v21, v20
                                        ; implicit-def: $vgpr79
	s_mov_b32 s13, exec_lo
	s_delay_alu instid0(VALU_DEP_1) | instskip(SKIP_1) | instid1(VALU_DEP_2)
	v_and_b32_e32 v2, 0x7f800000, v16
	v_lshrrev_b32_e32 v17, 24, v16
	v_cmpx_ne_u64_e32 0x7f800000, v[2:3]
	s_xor_b32 s44, exec_lo, s13
	s_cbranch_execz .LBB4_2984
; %bb.2971:                             ;   in Loop: Header=BB4_2678 Depth=3
	v_and_b32_e32 v2, 0x7fffffff, v16
	v_and_b32_e32 v26, 0x80, v17
                                        ; implicit-def: $vgpr79
	s_mov_b32 s13, exec_lo
	s_delay_alu instid0(VALU_DEP_2)
	v_cmpx_gt_u64_e32 0x43e00001, v[2:3]
	s_xor_b32 s45, exec_lo, s13
	s_cbranch_execz .LBB4_2981
; %bb.2972:                             ;   in Loop: Header=BB4_2678 Depth=3
	v_mov_b32_e32 v79, 0
	s_mov_b32 s74, exec_lo
	v_cmpx_ne_u32_e32 0, v16
	s_cbranch_execz .LBB4_2980
; %bb.2973:                             ;   in Loop: Header=BB4_2678 Depth=3
	v_bfe_u32 v24, v16, 23, 8
	s_delay_alu instid0(VALU_DEP_1) | instskip(SKIP_1) | instid1(VALU_DEP_2)
	v_sub_nc_u32_e32 v2, 0x79, v24
	v_cmp_gt_u32_e32 vcc_lo, 0x7a, v24
	v_cndmask_b32_e32 v2, 0, v2, vcc_lo
	v_cmp_eq_u32_e32 vcc_lo, 0, v24
	s_delay_alu instid0(VALU_DEP_2) | instskip(SKIP_1) | instid1(VALU_DEP_2)
	v_cndmask_b32_e64 v25, v2, 0x78, vcc_lo
	v_and_b32_e32 v2, 0x7fffff, v16
	v_add_nc_u32_e32 v16, 20, v25
	s_delay_alu instid0(VALU_DEP_2) | instskip(SKIP_1) | instid1(VALU_DEP_3)
	v_or_b32_e32 v20, 0x800000, v2
	v_add_nc_u32_e32 v21, 19, v25
	v_lshlrev_b64_e64 v[16:17], v16, -1
	s_delay_alu instid0(VALU_DEP_3) | instskip(NEXT) | instid1(VALU_DEP_3)
	v_cndmask_b32_e32 v2, v20, v2, vcc_lo
	v_lshlrev_b64_e64 v[20:21], v21, 1
	s_delay_alu instid0(VALU_DEP_3) | instskip(NEXT) | instid1(VALU_DEP_3)
	v_bfi_b32 v29, v17, 0, 0
	v_bfi_b32 v28, v16, 0, v2
	v_lshrrev_b64 v[16:17], v25, v[2:3]
	s_delay_alu instid0(VALU_DEP_2) | instskip(NEXT) | instid1(VALU_DEP_2)
	v_cmp_eq_u64_e64 s13, v[28:29], v[20:21]
	v_mov_b64_e32 v[20:21], v[16:17]
	s_and_saveexec_b32 s75, s13
; %bb.2974:                             ;   in Loop: Header=BB4_2678 Depth=3
	v_bfe_u32 v2, v16, 20, 1
	s_delay_alu instid0(VALU_DEP_1) | instskip(NEXT) | instid1(VALU_DEP_1)
	v_add_nc_u64_e32 v[20:21], v[16:17], v[2:3]
	v_add_nc_u64_e32 v[20:21], -1, v[20:21]
; %bb.2975:                             ;   in Loop: Header=BB4_2678 Depth=3
	s_or_b32 exec_lo, exec_lo, s75
	v_add_nc_u32_e32 v2, 0xffffff81, v24
	v_lshrrev_b32_e32 v17, 23, v16
	s_mov_b32 s13, exec_lo
	s_delay_alu instid0(VALU_DEP_2) | instskip(NEXT) | instid1(VALU_DEP_1)
	v_cndmask_b32_e64 v2, v2, 0xffffff82, vcc_lo
	v_add3_u32 v21, v25, v2, v17
	v_and_b32_e32 v2, 0xfffff, v20
                                        ; implicit-def: $vgpr20
	s_delay_alu instid0(VALU_DEP_1) | instskip(NEXT) | instid1(VALU_DEP_1)
	v_dual_add_nc_u32 v24, 6, v21 :: v_dual_add_nc_u32 v2, v2, v16
                                        ; implicit-def: $vgpr16_vgpr17
	v_cmpx_ne_u32_e32 0, v24
	s_xor_b32 s13, exec_lo, s13
; %bb.2976:                             ;   in Loop: Header=BB4_2678 Depth=3
	s_delay_alu instid0(VALU_DEP_2) | instskip(SKIP_1) | instid1(VALU_DEP_1)
	v_cmp_lt_u64_e32 vcc_lo, 0xffffff, v[2:3]
	v_add_nc_u32_e32 v16, 7, v21
	v_cndmask_b32_e32 v20, v24, v16, vcc_lo
	v_cndmask_b32_e64 v16, 0, 1, vcc_lo
	s_delay_alu instid0(VALU_DEP_1)
	v_lshrrev_b64 v[16:17], v16, v[2:3]
; %bb.2977:                             ;   in Loop: Header=BB4_2678 Depth=3
	s_and_not1_saveexec_b32 s13, s13
; %bb.2978:                             ;   in Loop: Header=BB4_2678 Depth=3
	v_mov_b64_e32 v[16:17], v[2:3]
	v_bfe_u32 v20, v2, 23, 1
; %bb.2979:                             ;   in Loop: Header=BB4_2678 Depth=3
	s_or_b32 exec_lo, exec_lo, s13
	s_delay_alu instid0(VALU_DEP_2) | instskip(NEXT) | instid1(VALU_DEP_2)
	v_lshrrev_b64 v[16:17], 20, v[16:17]
	v_cmp_gt_i32_e32 vcc_lo, 16, v20
	v_min_i32_e32 v2, 15, v20
	v_cmp_eq_u32_e64 s13, 0, v20
	s_delay_alu instid0(VALU_DEP_2) | instskip(SKIP_1) | instid1(VALU_DEP_2)
	v_dual_cndmask_b32 v17, 0, v17 :: v_dual_lshlrev_b32 v2, 3, v2
	v_cndmask_b32_e32 v16, 7, v16, vcc_lo
	v_and_b32_e32 v2, 0xf8, v2
	s_delay_alu instid0(VALU_DEP_2) | instskip(NEXT) | instid1(VALU_DEP_2)
	v_cmp_eq_u64_e32 vcc_lo, 0, v[16:17]
	v_and_or_b32 v2, v16, 7, v2
	s_and_b32 s13, s13, vcc_lo
	s_delay_alu instid0(VALU_DEP_1) | instid1(SALU_CYCLE_1)
	v_cndmask_b32_e64 v2, v2, 0, s13
	s_delay_alu instid0(VALU_DEP_1)
	v_or_b32_e32 v79, v2, v26
.LBB4_2980:                             ;   in Loop: Header=BB4_2678 Depth=3
	s_or_b32 exec_lo, exec_lo, s74
                                        ; implicit-def: $vgpr26
.LBB4_2981:                             ;   in Loop: Header=BB4_2678 Depth=3
	s_and_not1_saveexec_b32 s13, s45
; %bb.2982:                             ;   in Loop: Header=BB4_2678 Depth=3
	v_or_b32_e32 v79, 0x7e, v26
; %bb.2983:                             ;   in Loop: Header=BB4_2678 Depth=3
	s_or_b32 exec_lo, exec_lo, s13
                                        ; implicit-def: $vgpr17
.LBB4_2984:                             ;   in Loop: Header=BB4_2678 Depth=3
	s_and_not1_saveexec_b32 s13, s44
; %bb.2985:                             ;   in Loop: Header=BB4_2678 Depth=3
	v_or_b32_e32 v79, 0x7f, v17
; %bb.2986:                             ;   in Loop: Header=BB4_2678 Depth=3
	s_or_b32 exec_lo, exec_lo, s13
	v_dual_lshrrev_b32 v24, 16, v22 :: v_dual_mov_b32 v20, 0
	v_mov_b32_e32 v21, 0
	s_mov_b32 s13, exec_lo
	s_delay_alu instid0(VALU_DEP_2) | instskip(NEXT) | instid1(VALU_DEP_1)
	v_and_b32_e32 v2, 0xff, v24
	v_cmpx_ne_u16_e32 0, v2
	s_cbranch_execz .LBB4_2994
; %bb.2987:                             ;   in Loop: Header=BB4_2678 Depth=3
	v_bfrev_b32_e32 v21, 1
	s_mov_b32 s44, exec_lo
	v_cmpx_ne_u16_e32 0x80, v2
	s_cbranch_execz .LBB4_2993
; %bb.2988:                             ;   in Loop: Header=BB4_2678 Depth=3
	v_bfe_u32 v16, v22, 16, 7
	v_mov_b32_e32 v21, 0x7f800001
	s_mov_b32 s45, exec_lo
	s_delay_alu instid0(VALU_DEP_2)
	v_cmpx_ne_u32_e32 0x7f, v16
	s_cbranch_execz .LBB4_2992
; %bb.2989:                             ;   in Loop: Header=BB4_2678 Depth=3
	v_and_b32_e32 v2, 7, v24
	v_lshrrev_b32_e32 v21, 3, v16
	v_cmp_gt_u32_e32 vcc_lo, 8, v16
	s_delay_alu instid0(VALU_DEP_3)
	v_mov_b64_e32 v[16:17], v[2:3]
	s_and_saveexec_b32 s74, vcc_lo
; %bb.2990:                             ;   in Loop: Header=BB4_2678 Depth=3
	v_clz_i32_u32_e32 v16, v2
	s_delay_alu instid0(VALU_DEP_1) | instskip(NEXT) | instid1(VALU_DEP_1)
	v_min_u32_e32 v21, 32, v16
	v_subrev_nc_u32_e32 v16, 28, v21
	s_delay_alu instid0(VALU_DEP_1) | instskip(NEXT) | instid1(VALU_DEP_1)
	v_lshlrev_b64_e32 v[16:17], v16, v[2:3]
	v_dual_sub_nc_u32 v21, 29, v21 :: v_dual_bitop2_b32 v16, 7, v16 bitop3:0x40
; %bb.2991:                             ;   in Loop: Header=BB4_2678 Depth=3
	s_or_b32 exec_lo, exec_lo, s74
	v_lshlrev_b32_e32 v2, 24, v24
	s_delay_alu instid0(VALU_DEP_2) | instskip(NEXT) | instid1(VALU_DEP_3)
	v_lshlrev_b32_e32 v16, 20, v16
	v_lshl_add_u32 v17, v21, 23, 0x3c000000
	s_delay_alu instid0(VALU_DEP_3) | instskip(NEXT) | instid1(VALU_DEP_1)
	v_and_b32_e32 v2, 0x80000000, v2
	v_or3_b32 v21, v16, v2, v17
.LBB4_2992:                             ;   in Loop: Header=BB4_2678 Depth=3
	s_or_b32 exec_lo, exec_lo, s45
.LBB4_2993:                             ;   in Loop: Header=BB4_2678 Depth=3
	s_delay_alu instid0(SALU_CYCLE_1)
	s_or_b32 exec_lo, exec_lo, s44
.LBB4_2994:                             ;   in Loop: Header=BB4_2678 Depth=3
	s_delay_alu instid0(SALU_CYCLE_1) | instskip(SKIP_2) | instid1(VALU_DEP_1)
	s_or_b32 exec_lo, exec_lo, s13
	v_lshrrev_b32_e32 v2, 16, v18
	s_mov_b32 s13, exec_lo
	v_and_b32_e32 v16, 0xff, v2
	s_delay_alu instid0(VALU_DEP_1)
	v_cmpx_ne_u16_e32 0, v16
	s_cbranch_execz .LBB4_3002
; %bb.2995:                             ;   in Loop: Header=BB4_2678 Depth=3
	v_bfrev_b32_e32 v20, 1
	s_mov_b32 s44, exec_lo
	v_cmpx_ne_u16_e32 0x80, v16
	s_cbranch_execz .LBB4_3001
; %bb.2996:                             ;   in Loop: Header=BB4_2678 Depth=3
	v_bfe_u32 v16, v18, 16, 7
	v_mov_b32_e32 v20, 0x7f800001
	s_mov_b32 s45, exec_lo
	s_delay_alu instid0(VALU_DEP_2)
	v_cmpx_ne_u32_e32 0x7f, v16
	s_cbranch_execz .LBB4_3000
; %bb.2997:                             ;   in Loop: Header=BB4_2678 Depth=3
	v_dual_lshrrev_b32 v20, 3, v16 :: v_dual_bitop2_b32 v2, 7, v2 bitop3:0x40
	v_cmp_gt_u32_e32 vcc_lo, 8, v16
	s_delay_alu instid0(VALU_DEP_2)
	v_mov_b64_e32 v[16:17], v[2:3]
	s_and_saveexec_b32 s74, vcc_lo
; %bb.2998:                             ;   in Loop: Header=BB4_2678 Depth=3
	v_clz_i32_u32_e32 v16, v2
	s_delay_alu instid0(VALU_DEP_1) | instskip(NEXT) | instid1(VALU_DEP_1)
	v_min_u32_e32 v20, 32, v16
	v_subrev_nc_u32_e32 v16, 28, v20
	v_sub_nc_u32_e32 v20, 29, v20
	s_delay_alu instid0(VALU_DEP_2) | instskip(NEXT) | instid1(VALU_DEP_1)
	v_lshlrev_b64_e32 v[16:17], v16, v[2:3]
	v_and_b32_e32 v16, 7, v16
; %bb.2999:                             ;   in Loop: Header=BB4_2678 Depth=3
	s_or_b32 exec_lo, exec_lo, s74
	s_delay_alu instid0(VALU_DEP_1) | instskip(SKIP_1) | instid1(VALU_DEP_2)
	v_dual_lshlrev_b32 v2, 8, v18 :: v_dual_lshlrev_b32 v16, 20, v16
	v_lshl_add_u32 v17, v20, 23, 0x3c000000
	v_and_b32_e32 v2, 0x80000000, v2
	s_delay_alu instid0(VALU_DEP_1)
	v_or3_b32 v20, v16, v2, v17
.LBB4_3000:                             ;   in Loop: Header=BB4_2678 Depth=3
	s_or_b32 exec_lo, exec_lo, s45
.LBB4_3001:                             ;   in Loop: Header=BB4_2678 Depth=3
	s_delay_alu instid0(SALU_CYCLE_1)
	s_or_b32 exec_lo, exec_lo, s44
.LBB4_3002:                             ;   in Loop: Header=BB4_2678 Depth=3
	s_delay_alu instid0(SALU_CYCLE_1) | instskip(NEXT) | instid1(VALU_DEP_1)
	s_or_b32 exec_lo, exec_lo, s13
	v_add_f32_e32 v16, v21, v20
                                        ; implicit-def: $vgpr111
	s_mov_b32 s13, exec_lo
	s_delay_alu instid0(VALU_DEP_1) | instskip(SKIP_1) | instid1(VALU_DEP_2)
	v_and_b32_e32 v2, 0x7f800000, v16
	v_lshrrev_b32_e32 v17, 24, v16
	v_cmpx_ne_u64_e32 0x7f800000, v[2:3]
	s_xor_b32 s44, exec_lo, s13
	s_cbranch_execz .LBB4_3016
; %bb.3003:                             ;   in Loop: Header=BB4_2678 Depth=3
	v_and_b32_e32 v2, 0x7fffffff, v16
	v_and_b32_e32 v26, 0x80, v17
                                        ; implicit-def: $vgpr111
	s_mov_b32 s13, exec_lo
	s_delay_alu instid0(VALU_DEP_2)
	v_cmpx_gt_u64_e32 0x43e00001, v[2:3]
	s_xor_b32 s45, exec_lo, s13
	s_cbranch_execz .LBB4_3013
; %bb.3004:                             ;   in Loop: Header=BB4_2678 Depth=3
	v_mov_b32_e32 v111, 0
	s_mov_b32 s74, exec_lo
	v_cmpx_ne_u32_e32 0, v16
	s_cbranch_execz .LBB4_3012
; %bb.3005:                             ;   in Loop: Header=BB4_2678 Depth=3
	v_bfe_u32 v24, v16, 23, 8
	s_delay_alu instid0(VALU_DEP_1) | instskip(SKIP_1) | instid1(VALU_DEP_2)
	v_sub_nc_u32_e32 v2, 0x79, v24
	v_cmp_gt_u32_e32 vcc_lo, 0x7a, v24
	v_cndmask_b32_e32 v2, 0, v2, vcc_lo
	v_cmp_eq_u32_e32 vcc_lo, 0, v24
	s_delay_alu instid0(VALU_DEP_2) | instskip(SKIP_1) | instid1(VALU_DEP_2)
	v_cndmask_b32_e64 v25, v2, 0x78, vcc_lo
	v_and_b32_e32 v2, 0x7fffff, v16
	v_add_nc_u32_e32 v16, 20, v25
	s_delay_alu instid0(VALU_DEP_2) | instskip(SKIP_1) | instid1(VALU_DEP_3)
	v_or_b32_e32 v20, 0x800000, v2
	v_add_nc_u32_e32 v21, 19, v25
	v_lshlrev_b64_e64 v[16:17], v16, -1
	s_delay_alu instid0(VALU_DEP_3) | instskip(NEXT) | instid1(VALU_DEP_3)
	v_cndmask_b32_e32 v2, v20, v2, vcc_lo
	v_lshlrev_b64_e64 v[20:21], v21, 1
	s_delay_alu instid0(VALU_DEP_3) | instskip(NEXT) | instid1(VALU_DEP_3)
	v_bfi_b32 v29, v17, 0, 0
	v_bfi_b32 v28, v16, 0, v2
	v_lshrrev_b64 v[16:17], v25, v[2:3]
	s_delay_alu instid0(VALU_DEP_2) | instskip(NEXT) | instid1(VALU_DEP_2)
	v_cmp_eq_u64_e64 s13, v[28:29], v[20:21]
	v_mov_b64_e32 v[20:21], v[16:17]
	s_and_saveexec_b32 s75, s13
; %bb.3006:                             ;   in Loop: Header=BB4_2678 Depth=3
	v_bfe_u32 v2, v16, 20, 1
	s_delay_alu instid0(VALU_DEP_1) | instskip(NEXT) | instid1(VALU_DEP_1)
	v_add_nc_u64_e32 v[20:21], v[16:17], v[2:3]
	v_add_nc_u64_e32 v[20:21], -1, v[20:21]
; %bb.3007:                             ;   in Loop: Header=BB4_2678 Depth=3
	s_or_b32 exec_lo, exec_lo, s75
	v_add_nc_u32_e32 v2, 0xffffff81, v24
	v_lshrrev_b32_e32 v17, 23, v16
	s_mov_b32 s13, exec_lo
	s_delay_alu instid0(VALU_DEP_2) | instskip(NEXT) | instid1(VALU_DEP_1)
	v_cndmask_b32_e64 v2, v2, 0xffffff82, vcc_lo
	v_add3_u32 v21, v25, v2, v17
	v_and_b32_e32 v2, 0xfffff, v20
                                        ; implicit-def: $vgpr20
	s_delay_alu instid0(VALU_DEP_1) | instskip(NEXT) | instid1(VALU_DEP_1)
	v_dual_add_nc_u32 v24, 6, v21 :: v_dual_add_nc_u32 v2, v2, v16
                                        ; implicit-def: $vgpr16_vgpr17
	v_cmpx_ne_u32_e32 0, v24
	s_xor_b32 s13, exec_lo, s13
; %bb.3008:                             ;   in Loop: Header=BB4_2678 Depth=3
	s_delay_alu instid0(VALU_DEP_2) | instskip(SKIP_1) | instid1(VALU_DEP_1)
	v_cmp_lt_u64_e32 vcc_lo, 0xffffff, v[2:3]
	v_add_nc_u32_e32 v16, 7, v21
	v_cndmask_b32_e32 v20, v24, v16, vcc_lo
	v_cndmask_b32_e64 v16, 0, 1, vcc_lo
	s_delay_alu instid0(VALU_DEP_1)
	v_lshrrev_b64 v[16:17], v16, v[2:3]
; %bb.3009:                             ;   in Loop: Header=BB4_2678 Depth=3
	s_and_not1_saveexec_b32 s13, s13
; %bb.3010:                             ;   in Loop: Header=BB4_2678 Depth=3
	v_mov_b64_e32 v[16:17], v[2:3]
	v_bfe_u32 v20, v2, 23, 1
; %bb.3011:                             ;   in Loop: Header=BB4_2678 Depth=3
	s_or_b32 exec_lo, exec_lo, s13
	s_delay_alu instid0(VALU_DEP_2) | instskip(NEXT) | instid1(VALU_DEP_2)
	v_lshrrev_b64 v[16:17], 20, v[16:17]
	v_cmp_gt_i32_e32 vcc_lo, 16, v20
	v_min_i32_e32 v2, 15, v20
	v_cmp_eq_u32_e64 s13, 0, v20
	s_delay_alu instid0(VALU_DEP_2) | instskip(SKIP_1) | instid1(VALU_DEP_2)
	v_dual_cndmask_b32 v17, 0, v17 :: v_dual_lshlrev_b32 v2, 3, v2
	v_cndmask_b32_e32 v16, 7, v16, vcc_lo
	v_and_b32_e32 v2, 0xf8, v2
	s_delay_alu instid0(VALU_DEP_2) | instskip(NEXT) | instid1(VALU_DEP_2)
	v_cmp_eq_u64_e32 vcc_lo, 0, v[16:17]
	v_and_or_b32 v2, v16, 7, v2
	s_and_b32 s13, s13, vcc_lo
	s_delay_alu instid0(VALU_DEP_1) | instid1(SALU_CYCLE_1)
	v_cndmask_b32_e64 v2, v2, 0, s13
	s_delay_alu instid0(VALU_DEP_1)
	v_or_b32_e32 v111, v2, v26
.LBB4_3012:                             ;   in Loop: Header=BB4_2678 Depth=3
	s_or_b32 exec_lo, exec_lo, s74
                                        ; implicit-def: $vgpr26
.LBB4_3013:                             ;   in Loop: Header=BB4_2678 Depth=3
	s_and_not1_saveexec_b32 s13, s45
; %bb.3014:                             ;   in Loop: Header=BB4_2678 Depth=3
	v_or_b32_e32 v111, 0x7e, v26
; %bb.3015:                             ;   in Loop: Header=BB4_2678 Depth=3
	s_or_b32 exec_lo, exec_lo, s13
                                        ; implicit-def: $vgpr17
.LBB4_3016:                             ;   in Loop: Header=BB4_2678 Depth=3
	s_and_not1_saveexec_b32 s13, s44
; %bb.3017:                             ;   in Loop: Header=BB4_2678 Depth=3
	v_or_b32_e32 v111, 0x7f, v17
; %bb.3018:                             ;   in Loop: Header=BB4_2678 Depth=3
	s_or_b32 exec_lo, exec_lo, s13
	v_dual_mov_b32 v20, 0 :: v_dual_mov_b32 v21, 0
	s_mov_b32 s13, exec_lo
	v_cmpx_lt_u32_e32 0xffffff, v22
	s_cbranch_execz .LBB4_3026
; %bb.3019:                             ;   in Loop: Header=BB4_2678 Depth=3
	v_lshrrev_b32_e32 v24, 24, v22
	v_bfrev_b32_e32 v21, 1
	s_mov_b32 s44, exec_lo
	s_delay_alu instid0(VALU_DEP_2)
	v_cmpx_ne_u32_e32 0x80, v24
	s_cbranch_execz .LBB4_3025
; %bb.3020:                             ;   in Loop: Header=BB4_2678 Depth=3
	v_bfe_u32 v16, v22, 24, 7
	v_mov_b32_e32 v21, 0x7f800001
	s_mov_b32 s45, exec_lo
	s_delay_alu instid0(VALU_DEP_2)
	v_cmpx_ne_u32_e32 0x7f, v16
	s_cbranch_execz .LBB4_3024
; %bb.3021:                             ;   in Loop: Header=BB4_2678 Depth=3
	v_and_b32_e32 v2, 7, v24
	v_lshrrev_b32_e32 v21, 3, v16
	v_cmp_gt_u32_e32 vcc_lo, 8, v16
	s_delay_alu instid0(VALU_DEP_3)
	v_mov_b64_e32 v[16:17], v[2:3]
	s_and_saveexec_b32 s74, vcc_lo
; %bb.3022:                             ;   in Loop: Header=BB4_2678 Depth=3
	v_clz_i32_u32_e32 v16, v2
	s_delay_alu instid0(VALU_DEP_1) | instskip(NEXT) | instid1(VALU_DEP_1)
	v_min_u32_e32 v21, 32, v16
	v_subrev_nc_u32_e32 v16, 28, v21
	s_delay_alu instid0(VALU_DEP_1) | instskip(NEXT) | instid1(VALU_DEP_1)
	v_lshlrev_b64_e32 v[16:17], v16, v[2:3]
	v_dual_sub_nc_u32 v21, 29, v21 :: v_dual_bitop2_b32 v16, 7, v16 bitop3:0x40
; %bb.3023:                             ;   in Loop: Header=BB4_2678 Depth=3
	s_or_b32 exec_lo, exec_lo, s74
	v_lshlrev_b32_e32 v2, 24, v24
	s_delay_alu instid0(VALU_DEP_2) | instskip(NEXT) | instid1(VALU_DEP_3)
	v_lshlrev_b32_e32 v16, 20, v16
	v_lshl_add_u32 v17, v21, 23, 0x3c000000
	s_delay_alu instid0(VALU_DEP_3) | instskip(NEXT) | instid1(VALU_DEP_1)
	v_and_b32_e32 v2, 0x80000000, v2
	v_or3_b32 v21, v16, v2, v17
.LBB4_3024:                             ;   in Loop: Header=BB4_2678 Depth=3
	s_or_b32 exec_lo, exec_lo, s45
.LBB4_3025:                             ;   in Loop: Header=BB4_2678 Depth=3
	s_delay_alu instid0(SALU_CYCLE_1)
	s_or_b32 exec_lo, exec_lo, s44
.LBB4_3026:                             ;   in Loop: Header=BB4_2678 Depth=3
	s_delay_alu instid0(SALU_CYCLE_1) | instskip(NEXT) | instid1(SALU_CYCLE_1)
	s_or_b32 exec_lo, exec_lo, s13
	s_mov_b32 s13, exec_lo
	v_cmpx_lt_u32_e32 0xffffff, v18
	s_cbranch_execz .LBB4_3034
; %bb.3027:                             ;   in Loop: Header=BB4_2678 Depth=3
	v_lshrrev_b32_e32 v24, 24, v18
	v_bfrev_b32_e32 v20, 1
	s_mov_b32 s44, exec_lo
	s_delay_alu instid0(VALU_DEP_2)
	v_cmpx_ne_u32_e32 0x80, v24
	s_cbranch_execz .LBB4_3033
; %bb.3028:                             ;   in Loop: Header=BB4_2678 Depth=3
	v_bfe_u32 v16, v18, 24, 7
	v_mov_b32_e32 v20, 0x7f800001
	s_mov_b32 s45, exec_lo
	s_delay_alu instid0(VALU_DEP_2)
	v_cmpx_ne_u32_e32 0x7f, v16
	s_cbranch_execz .LBB4_3032
; %bb.3029:                             ;   in Loop: Header=BB4_2678 Depth=3
	v_and_b32_e32 v2, 7, v24
	v_lshrrev_b32_e32 v20, 3, v16
	v_cmp_gt_u32_e32 vcc_lo, 8, v16
	s_delay_alu instid0(VALU_DEP_3)
	v_mov_b64_e32 v[16:17], v[2:3]
	s_and_saveexec_b32 s74, vcc_lo
; %bb.3030:                             ;   in Loop: Header=BB4_2678 Depth=3
	v_clz_i32_u32_e32 v16, v2
	s_delay_alu instid0(VALU_DEP_1) | instskip(NEXT) | instid1(VALU_DEP_1)
	v_min_u32_e32 v20, 32, v16
	v_subrev_nc_u32_e32 v16, 28, v20
	v_sub_nc_u32_e32 v20, 29, v20
	s_delay_alu instid0(VALU_DEP_2) | instskip(NEXT) | instid1(VALU_DEP_1)
	v_lshlrev_b64_e32 v[16:17], v16, v[2:3]
	v_and_b32_e32 v16, 7, v16
; %bb.3031:                             ;   in Loop: Header=BB4_2678 Depth=3
	s_or_b32 exec_lo, exec_lo, s74
	v_lshlrev_b32_e32 v2, 24, v24
	s_delay_alu instid0(VALU_DEP_2) | instskip(SKIP_1) | instid1(VALU_DEP_3)
	v_lshlrev_b32_e32 v16, 20, v16
	v_lshl_add_u32 v17, v20, 23, 0x3c000000
	v_and_b32_e32 v2, 0x80000000, v2
	s_delay_alu instid0(VALU_DEP_1)
	v_or3_b32 v20, v16, v2, v17
.LBB4_3032:                             ;   in Loop: Header=BB4_2678 Depth=3
	s_or_b32 exec_lo, exec_lo, s45
.LBB4_3033:                             ;   in Loop: Header=BB4_2678 Depth=3
	s_delay_alu instid0(SALU_CYCLE_1)
	s_or_b32 exec_lo, exec_lo, s44
.LBB4_3034:                             ;   in Loop: Header=BB4_2678 Depth=3
	s_delay_alu instid0(SALU_CYCLE_1) | instskip(NEXT) | instid1(VALU_DEP_1)
	s_or_b32 exec_lo, exec_lo, s13
	v_add_f32_e32 v16, v21, v20
                                        ; implicit-def: $vgpr120
	s_mov_b32 s13, exec_lo
	s_delay_alu instid0(VALU_DEP_1) | instskip(SKIP_1) | instid1(VALU_DEP_2)
	v_and_b32_e32 v2, 0x7f800000, v16
	v_lshrrev_b32_e32 v17, 24, v16
	v_cmpx_ne_u64_e32 0x7f800000, v[2:3]
	s_xor_b32 s44, exec_lo, s13
	s_cbranch_execz .LBB4_3048
; %bb.3035:                             ;   in Loop: Header=BB4_2678 Depth=3
	v_and_b32_e32 v2, 0x7fffffff, v16
	v_and_b32_e32 v26, 0x80, v17
                                        ; implicit-def: $vgpr120
	s_mov_b32 s13, exec_lo
	s_delay_alu instid0(VALU_DEP_2)
	v_cmpx_gt_u64_e32 0x43e00001, v[2:3]
	s_xor_b32 s45, exec_lo, s13
	s_cbranch_execz .LBB4_3045
; %bb.3036:                             ;   in Loop: Header=BB4_2678 Depth=3
	v_mov_b32_e32 v120, 0
	s_mov_b32 s74, exec_lo
	v_cmpx_ne_u32_e32 0, v16
	s_cbranch_execz .LBB4_3044
; %bb.3037:                             ;   in Loop: Header=BB4_2678 Depth=3
	v_bfe_u32 v24, v16, 23, 8
	s_delay_alu instid0(VALU_DEP_1) | instskip(SKIP_1) | instid1(VALU_DEP_2)
	v_sub_nc_u32_e32 v2, 0x79, v24
	v_cmp_gt_u32_e32 vcc_lo, 0x7a, v24
	v_cndmask_b32_e32 v2, 0, v2, vcc_lo
	v_cmp_eq_u32_e32 vcc_lo, 0, v24
	s_delay_alu instid0(VALU_DEP_2) | instskip(SKIP_1) | instid1(VALU_DEP_2)
	v_cndmask_b32_e64 v25, v2, 0x78, vcc_lo
	v_and_b32_e32 v2, 0x7fffff, v16
	v_add_nc_u32_e32 v16, 20, v25
	s_delay_alu instid0(VALU_DEP_2) | instskip(SKIP_1) | instid1(VALU_DEP_3)
	v_or_b32_e32 v20, 0x800000, v2
	v_add_nc_u32_e32 v21, 19, v25
	v_lshlrev_b64_e64 v[16:17], v16, -1
	s_delay_alu instid0(VALU_DEP_3) | instskip(NEXT) | instid1(VALU_DEP_3)
	v_cndmask_b32_e32 v2, v20, v2, vcc_lo
	v_lshlrev_b64_e64 v[20:21], v21, 1
	s_delay_alu instid0(VALU_DEP_3) | instskip(NEXT) | instid1(VALU_DEP_3)
	v_bfi_b32 v29, v17, 0, 0
	v_bfi_b32 v28, v16, 0, v2
	v_lshrrev_b64 v[16:17], v25, v[2:3]
	s_delay_alu instid0(VALU_DEP_2) | instskip(NEXT) | instid1(VALU_DEP_2)
	v_cmp_eq_u64_e64 s13, v[28:29], v[20:21]
	v_mov_b64_e32 v[20:21], v[16:17]
	s_and_saveexec_b32 s75, s13
; %bb.3038:                             ;   in Loop: Header=BB4_2678 Depth=3
	v_bfe_u32 v2, v16, 20, 1
	s_delay_alu instid0(VALU_DEP_1) | instskip(NEXT) | instid1(VALU_DEP_1)
	v_add_nc_u64_e32 v[20:21], v[16:17], v[2:3]
	v_add_nc_u64_e32 v[20:21], -1, v[20:21]
; %bb.3039:                             ;   in Loop: Header=BB4_2678 Depth=3
	s_or_b32 exec_lo, exec_lo, s75
	v_add_nc_u32_e32 v2, 0xffffff81, v24
	v_lshrrev_b32_e32 v17, 23, v16
	s_mov_b32 s13, exec_lo
	s_delay_alu instid0(VALU_DEP_2) | instskip(NEXT) | instid1(VALU_DEP_1)
	v_cndmask_b32_e64 v2, v2, 0xffffff82, vcc_lo
	v_add3_u32 v21, v25, v2, v17
	v_and_b32_e32 v2, 0xfffff, v20
                                        ; implicit-def: $vgpr20
	s_delay_alu instid0(VALU_DEP_1) | instskip(NEXT) | instid1(VALU_DEP_1)
	v_dual_add_nc_u32 v24, 6, v21 :: v_dual_add_nc_u32 v2, v2, v16
                                        ; implicit-def: $vgpr16_vgpr17
	v_cmpx_ne_u32_e32 0, v24
	s_xor_b32 s13, exec_lo, s13
; %bb.3040:                             ;   in Loop: Header=BB4_2678 Depth=3
	s_delay_alu instid0(VALU_DEP_2) | instskip(SKIP_1) | instid1(VALU_DEP_1)
	v_cmp_lt_u64_e32 vcc_lo, 0xffffff, v[2:3]
	v_add_nc_u32_e32 v16, 7, v21
	v_cndmask_b32_e32 v20, v24, v16, vcc_lo
	v_cndmask_b32_e64 v16, 0, 1, vcc_lo
	s_delay_alu instid0(VALU_DEP_1)
	v_lshrrev_b64 v[16:17], v16, v[2:3]
; %bb.3041:                             ;   in Loop: Header=BB4_2678 Depth=3
	s_and_not1_saveexec_b32 s13, s13
; %bb.3042:                             ;   in Loop: Header=BB4_2678 Depth=3
	v_mov_b64_e32 v[16:17], v[2:3]
	v_bfe_u32 v20, v2, 23, 1
; %bb.3043:                             ;   in Loop: Header=BB4_2678 Depth=3
	s_or_b32 exec_lo, exec_lo, s13
	s_delay_alu instid0(VALU_DEP_2) | instskip(NEXT) | instid1(VALU_DEP_2)
	v_lshrrev_b64 v[16:17], 20, v[16:17]
	v_cmp_gt_i32_e32 vcc_lo, 16, v20
	v_min_i32_e32 v2, 15, v20
	v_cmp_eq_u32_e64 s13, 0, v20
	s_delay_alu instid0(VALU_DEP_2) | instskip(SKIP_1) | instid1(VALU_DEP_2)
	v_dual_cndmask_b32 v17, 0, v17 :: v_dual_lshlrev_b32 v2, 3, v2
	v_cndmask_b32_e32 v16, 7, v16, vcc_lo
	v_and_b32_e32 v2, 0xf8, v2
	s_delay_alu instid0(VALU_DEP_2) | instskip(NEXT) | instid1(VALU_DEP_2)
	v_cmp_eq_u64_e32 vcc_lo, 0, v[16:17]
	v_and_or_b32 v2, v16, 7, v2
	s_and_b32 s13, s13, vcc_lo
	s_delay_alu instid0(VALU_DEP_1) | instid1(SALU_CYCLE_1)
	v_cndmask_b32_e64 v2, v2, 0, s13
	s_delay_alu instid0(VALU_DEP_1)
	v_or_b32_e32 v120, v2, v26
.LBB4_3044:                             ;   in Loop: Header=BB4_2678 Depth=3
	s_or_b32 exec_lo, exec_lo, s74
                                        ; implicit-def: $vgpr26
.LBB4_3045:                             ;   in Loop: Header=BB4_2678 Depth=3
	s_and_not1_saveexec_b32 s13, s45
; %bb.3046:                             ;   in Loop: Header=BB4_2678 Depth=3
	v_or_b32_e32 v120, 0x7e, v26
; %bb.3047:                             ;   in Loop: Header=BB4_2678 Depth=3
	s_or_b32 exec_lo, exec_lo, s13
                                        ; implicit-def: $vgpr17
.LBB4_3048:                             ;   in Loop: Header=BB4_2678 Depth=3
	s_and_not1_saveexec_b32 s13, s44
; %bb.3049:                             ;   in Loop: Header=BB4_2678 Depth=3
	v_or_b32_e32 v120, 0x7f, v17
; %bb.3050:                             ;   in Loop: Header=BB4_2678 Depth=3
	s_or_b32 exec_lo, exec_lo, s13
	v_and_b32_e32 v20, 0xff, v23
	v_dual_mov_b32 v2, v23 :: v_dual_mov_b32 v17, 0
	v_mov_b32_e32 v16, 0
	s_mov_b32 s13, exec_lo
	s_delay_alu instid0(VALU_DEP_3)
	v_cmpx_ne_u16_e32 0, v20
	s_cbranch_execz .LBB4_3056
; %bb.3051:                             ;   in Loop: Header=BB4_2678 Depth=3
	v_bfrev_b32_e32 v16, 1
	s_mov_b32 s44, exec_lo
	v_cmpx_ne_u16_e32 0x80, v20
	s_cbranch_execz .LBB4_3055
; %bb.3052:                             ;   in Loop: Header=BB4_2678 Depth=3
	v_and_b32_e32 v20, 0x7f, v23
	v_mov_b32_e32 v16, 0x7f800001
	s_mov_b32 s45, exec_lo
	s_delay_alu instid0(VALU_DEP_2)
	v_cmpx_ne_u32_e32 0x7f, v20
	s_cbranch_execz .LBB4_3054
; %bb.3053:                             ;   in Loop: Header=BB4_2678 Depth=3
	v_dual_lshrrev_b32 v21, 3, v20 :: v_dual_bitop2_b32 v16, 7, v23 bitop3:0x40
	v_cmp_gt_u32_e32 vcc_lo, 8, v20
	s_delay_alu instid0(VALU_DEP_2) | instskip(NEXT) | instid1(VALU_DEP_1)
	v_clz_i32_u32_e32 v16, v16
	v_min_u32_e32 v16, 32, v16
	s_delay_alu instid0(VALU_DEP_1) | instskip(SKIP_1) | instid1(VALU_DEP_2)
	v_subrev_nc_u32_e32 v24, 28, v16
	v_sub_nc_u32_e32 v16, 29, v16
	v_cndmask_b32_e32 v20, 0, v24, vcc_lo
	s_delay_alu instid0(VALU_DEP_2) | instskip(NEXT) | instid1(VALU_DEP_2)
	v_cndmask_b32_e32 v16, v21, v16, vcc_lo
	v_lshlrev_b64_e32 v[20:21], v20, v[2:3]
	v_lshlrev_b32_e32 v21, 24, v2
	s_delay_alu instid0(VALU_DEP_3) | instskip(NEXT) | instid1(VALU_DEP_2)
	v_lshl_add_u32 v16, v16, 23, 0x3c000000
	v_and_b32_e32 v21, 0x80000000, v21
	s_delay_alu instid0(VALU_DEP_4) | instskip(NEXT) | instid1(VALU_DEP_1)
	v_lshlrev_b32_e32 v20, 20, v20
	v_and_b32_e32 v20, 0x700000, v20
	s_delay_alu instid0(VALU_DEP_1)
	v_or3_b32 v16, v20, v21, v16
.LBB4_3054:                             ;   in Loop: Header=BB4_2678 Depth=3
	s_or_b32 exec_lo, exec_lo, s45
.LBB4_3055:                             ;   in Loop: Header=BB4_2678 Depth=3
	s_delay_alu instid0(SALU_CYCLE_1)
	s_or_b32 exec_lo, exec_lo, s44
.LBB4_3056:                             ;   in Loop: Header=BB4_2678 Depth=3
	s_delay_alu instid0(SALU_CYCLE_1) | instskip(SKIP_2) | instid1(VALU_DEP_1)
	s_or_b32 exec_lo, exec_lo, s13
	v_and_b32_e32 v20, 0xff, v19
	s_mov_b32 s13, exec_lo
	v_cmpx_ne_u16_e32 0, v20
	s_cbranch_execz .LBB4_3062
; %bb.3057:                             ;   in Loop: Header=BB4_2678 Depth=3
	v_bfrev_b32_e32 v17, 1
	s_mov_b32 s44, exec_lo
	v_cmpx_ne_u16_e32 0x80, v20
	s_cbranch_execz .LBB4_3061
; %bb.3058:                             ;   in Loop: Header=BB4_2678 Depth=3
	v_and_b32_e32 v20, 0x7f, v19
	v_mov_b32_e32 v17, 0x7f800001
	s_mov_b32 s45, exec_lo
	s_delay_alu instid0(VALU_DEP_2)
	v_cmpx_ne_u32_e32 0x7f, v20
	s_cbranch_execz .LBB4_3060
; %bb.3059:                             ;   in Loop: Header=BB4_2678 Depth=3
	v_dual_lshrrev_b32 v24, 3, v20 :: v_dual_bitop2_b32 v17, 7, v19 bitop3:0x40
	v_cmp_gt_u32_e32 vcc_lo, 8, v20
	v_mov_b32_e32 v20, v19
	s_delay_alu instid0(VALU_DEP_3) | instskip(NEXT) | instid1(VALU_DEP_1)
	v_clz_i32_u32_e32 v17, v17
	v_min_u32_e32 v17, 32, v17
	s_delay_alu instid0(VALU_DEP_1) | instskip(SKIP_1) | instid1(VALU_DEP_2)
	v_sub_nc_u32_e32 v25, 29, v17
	v_subrev_nc_u32_e32 v17, 28, v17
	v_dual_mov_b32 v21, v3 :: v_dual_cndmask_b32 v26, v24, v25
	s_delay_alu instid0(VALU_DEP_2) | instskip(NEXT) | instid1(VALU_DEP_1)
	v_cndmask_b32_e32 v17, 0, v17, vcc_lo
	v_lshlrev_b64_e32 v[24:25], v17, v[20:21]
	v_lshlrev_b32_e32 v17, 24, v20
	s_delay_alu instid0(VALU_DEP_4) | instskip(NEXT) | instid1(VALU_DEP_2)
	v_lshl_add_u32 v21, v26, 23, 0x3c000000
	v_and_b32_e32 v17, 0x80000000, v17
	s_delay_alu instid0(VALU_DEP_4) | instskip(NEXT) | instid1(VALU_DEP_1)
	v_lshlrev_b32_e32 v20, 20, v24
	v_and_b32_e32 v20, 0x700000, v20
	s_delay_alu instid0(VALU_DEP_1)
	v_or3_b32 v17, v20, v17, v21
.LBB4_3060:                             ;   in Loop: Header=BB4_2678 Depth=3
	s_or_b32 exec_lo, exec_lo, s45
.LBB4_3061:                             ;   in Loop: Header=BB4_2678 Depth=3
	s_delay_alu instid0(SALU_CYCLE_1)
	s_or_b32 exec_lo, exec_lo, s44
.LBB4_3062:                             ;   in Loop: Header=BB4_2678 Depth=3
	s_delay_alu instid0(SALU_CYCLE_1) | instskip(NEXT) | instid1(VALU_DEP_1)
	s_or_b32 exec_lo, exec_lo, s13
	v_dual_add_f32 v16, v16, v17 :: v_dual_mov_b32 v21, v3
                                        ; implicit-def: $vgpr121
	s_mov_b32 s13, exec_lo
	s_delay_alu instid0(VALU_DEP_1) | instskip(SKIP_1) | instid1(VALU_DEP_2)
	v_and_b32_e32 v20, 0x7f800000, v16
	v_lshrrev_b32_e32 v17, 24, v16
	v_cmpx_ne_u64_e32 0x7f800000, v[20:21]
	s_xor_b32 s44, exec_lo, s13
	s_cbranch_execz .LBB4_3076
; %bb.3063:                             ;   in Loop: Header=BB4_2678 Depth=3
	v_and_b32_e32 v20, 0x7fffffff, v16
	v_mov_b32_e32 v21, v3
	v_and_b32_e32 v26, 0x80, v17
                                        ; implicit-def: $vgpr121
	s_mov_b32 s13, exec_lo
	s_delay_alu instid0(VALU_DEP_2)
	v_cmpx_gt_u64_e32 0x43e00001, v[20:21]
	s_xor_b32 s45, exec_lo, s13
	s_cbranch_execz .LBB4_3073
; %bb.3064:                             ;   in Loop: Header=BB4_2678 Depth=3
	v_mov_b32_e32 v121, 0
	s_mov_b32 s74, exec_lo
	v_cmpx_ne_u32_e32 0, v16
	s_cbranch_execz .LBB4_3072
; %bb.3065:                             ;   in Loop: Header=BB4_2678 Depth=3
	v_bfe_u32 v27, v16, 23, 8
	v_and_b32_e32 v17, 0x7fffff, v16
	s_delay_alu instid0(VALU_DEP_2) | instskip(SKIP_2) | instid1(VALU_DEP_4)
	v_cmp_gt_u32_e64 s13, 0x7a, v27
	v_sub_nc_u32_e32 v16, 0x79, v27
	v_cmp_eq_u32_e32 vcc_lo, 0, v27
	v_or_b32_e32 v20, 0x800000, v17
	s_delay_alu instid0(VALU_DEP_3) | instskip(NEXT) | instid1(VALU_DEP_1)
	v_cndmask_b32_e64 v16, 0, v16, s13
	v_cndmask_b32_e64 v24, v16, 0x78, vcc_lo
	s_delay_alu instid0(VALU_DEP_3) | instskip(NEXT) | instid1(VALU_DEP_2)
	v_dual_cndmask_b32 v16, v20, v17 :: v_dual_mov_b32 v17, v3
	v_dual_add_nc_u32 v20, 20, v24 :: v_dual_add_nc_u32 v25, 19, v24
	s_delay_alu instid0(VALU_DEP_1) | instskip(NEXT) | instid1(VALU_DEP_2)
	v_lshlrev_b64_e64 v[20:21], v20, -1
	v_lshlrev_b64_e64 v[28:29], v25, 1
	s_delay_alu instid0(VALU_DEP_2) | instskip(SKIP_1) | instid1(VALU_DEP_4)
	v_bfi_b32 v20, v20, 0, v16
	v_lshrrev_b64 v[16:17], v24, v[16:17]
	v_bfi_b32 v21, v21, 0, 0
	s_delay_alu instid0(VALU_DEP_1) | instskip(NEXT) | instid1(VALU_DEP_3)
	v_cmp_eq_u64_e64 s13, v[20:21], v[28:29]
	v_mov_b64_e32 v[20:21], v[16:17]
	s_and_saveexec_b32 s75, s13
; %bb.3066:                             ;   in Loop: Header=BB4_2678 Depth=3
	v_bfe_u32 v20, v16, 20, 1
	v_mov_b32_e32 v21, v3
	s_delay_alu instid0(VALU_DEP_1) | instskip(NEXT) | instid1(VALU_DEP_1)
	v_add_nc_u64_e32 v[20:21], v[16:17], v[20:21]
	v_add_nc_u64_e32 v[20:21], -1, v[20:21]
; %bb.3067:                             ;   in Loop: Header=BB4_2678 Depth=3
	s_or_b32 exec_lo, exec_lo, s75
	v_add_nc_u32_e32 v17, 0xffffff81, v27
	v_lshrrev_b32_e32 v21, 23, v16
	s_mov_b32 s13, exec_lo
	s_delay_alu instid0(VALU_DEP_2) | instskip(NEXT) | instid1(VALU_DEP_1)
	v_cndmask_b32_e64 v17, v17, 0xffffff82, vcc_lo
	v_add3_u32 v21, v24, v17, v21
	v_and_b32_e32 v17, 0xfffff, v20
                                        ; implicit-def: $vgpr20
	s_delay_alu instid0(VALU_DEP_1) | instskip(SKIP_1) | instid1(VALU_DEP_2)
	v_dual_add_nc_u32 v24, 6, v21 :: v_dual_add_nc_u32 v16, v17, v16
	v_mov_b32_e32 v17, v3
	v_cmpx_ne_u32_e32 0, v24
	s_xor_b32 s13, exec_lo, s13
; %bb.3068:                             ;   in Loop: Header=BB4_2678 Depth=3
	s_delay_alu instid0(VALU_DEP_2) | instskip(SKIP_2) | instid1(VALU_DEP_2)
	v_cmp_lt_u64_e32 vcc_lo, 0xffffff, v[16:17]
	v_add_nc_u32_e32 v20, 7, v21
	v_cndmask_b32_e64 v21, 0, 1, vcc_lo
	v_cndmask_b32_e32 v20, v24, v20, vcc_lo
	s_delay_alu instid0(VALU_DEP_2)
	v_lshrrev_b64 v[16:17], v21, v[16:17]
; %bb.3069:                             ;   in Loop: Header=BB4_2678 Depth=3
	s_and_not1_saveexec_b32 s13, s13
; %bb.3070:                             ;   in Loop: Header=BB4_2678 Depth=3
	s_delay_alu instid0(VALU_DEP_1)
	v_bfe_u32 v20, v16, 23, 1
; %bb.3071:                             ;   in Loop: Header=BB4_2678 Depth=3
	s_or_b32 exec_lo, exec_lo, s13
	s_delay_alu instid0(VALU_DEP_2) | instskip(NEXT) | instid1(VALU_DEP_2)
	v_lshrrev_b64 v[16:17], 20, v[16:17]
	v_cmp_gt_i32_e32 vcc_lo, 16, v20
	v_min_i32_e32 v21, 15, v20
	v_cmp_eq_u32_e64 s13, 0, v20
	s_delay_alu instid0(VALU_DEP_4) | instskip(NEXT) | instid1(VALU_DEP_3)
	v_cndmask_b32_e32 v17, 0, v17, vcc_lo
	v_dual_cndmask_b32 v16, 7, v16 :: v_dual_lshlrev_b32 v21, 3, v21
	s_delay_alu instid0(VALU_DEP_1) | instskip(NEXT) | instid1(VALU_DEP_2)
	v_and_b32_e32 v21, 0xf8, v21
	v_cmp_eq_u64_e32 vcc_lo, 0, v[16:17]
	s_delay_alu instid0(VALU_DEP_2)
	v_and_or_b32 v16, v16, 7, v21
	s_and_b32 s13, s13, vcc_lo
	s_delay_alu instid0(VALU_DEP_1) | instid1(SALU_CYCLE_1)
	v_cndmask_b32_e64 v16, v16, 0, s13
	s_delay_alu instid0(VALU_DEP_1)
	v_or_b32_e32 v121, v16, v26
.LBB4_3072:                             ;   in Loop: Header=BB4_2678 Depth=3
	s_or_b32 exec_lo, exec_lo, s74
                                        ; implicit-def: $vgpr26
.LBB4_3073:                             ;   in Loop: Header=BB4_2678 Depth=3
	s_and_not1_saveexec_b32 s13, s45
; %bb.3074:                             ;   in Loop: Header=BB4_2678 Depth=3
	v_or_b32_e32 v121, 0x7e, v26
; %bb.3075:                             ;   in Loop: Header=BB4_2678 Depth=3
	s_or_b32 exec_lo, exec_lo, s13
                                        ; implicit-def: $vgpr17
.LBB4_3076:                             ;   in Loop: Header=BB4_2678 Depth=3
	s_and_not1_saveexec_b32 s13, s44
; %bb.3077:                             ;   in Loop: Header=BB4_2678 Depth=3
	v_or_b32_e32 v121, 0x7f, v17
; %bb.3078:                             ;   in Loop: Header=BB4_2678 Depth=3
	s_or_b32 exec_lo, exec_lo, s13
	v_lshrrev_b16 v16, 8, v2
	v_dual_mov_b32 v20, 0 :: v_dual_mov_b32 v21, 0
	s_mov_b32 s13, exec_lo
	s_delay_alu instid0(VALU_DEP_2)
	v_cmpx_ne_u16_e32 0, v16
	s_cbranch_execz .LBB4_3086
; %bb.3079:                             ;   in Loop: Header=BB4_2678 Depth=3
	v_bfrev_b32_e32 v21, 1
	s_mov_b32 s44, exec_lo
	v_cmpx_ne_u16_e32 0x80, v16
	s_cbranch_execz .LBB4_3085
; %bb.3080:                             ;   in Loop: Header=BB4_2678 Depth=3
	v_and_b32_e32 v16, 0xffff, v16
	v_mov_b32_e32 v21, 0x7f800001
	s_mov_b32 s45, exec_lo
	s_delay_alu instid0(VALU_DEP_2) | instskip(NEXT) | instid1(VALU_DEP_1)
	v_and_b32_e32 v24, 0x7f, v16
	v_cmpx_ne_u32_e32 0x7f, v24
	s_cbranch_execz .LBB4_3084
; %bb.3081:                             ;   in Loop: Header=BB4_2678 Depth=3
	v_dual_mov_b32 v17, v3 :: v_dual_bitop2_b32 v16, 7, v16 bitop3:0x40
	v_lshrrev_b32_e32 v21, 3, v24
	s_mov_b32 s74, exec_lo
	v_cmpx_gt_u32_e32 8, v24
; %bb.3082:                             ;   in Loop: Header=BB4_2678 Depth=3
	s_delay_alu instid0(VALU_DEP_3) | instskip(NEXT) | instid1(VALU_DEP_1)
	v_clz_i32_u32_e32 v21, v16
	v_min_u32_e32 v21, 32, v21
	s_delay_alu instid0(VALU_DEP_1) | instskip(NEXT) | instid1(VALU_DEP_1)
	v_subrev_nc_u32_e32 v24, 28, v21
	v_lshlrev_b64_e32 v[16:17], v24, v[16:17]
	s_delay_alu instid0(VALU_DEP_1)
	v_dual_sub_nc_u32 v21, 29, v21 :: v_dual_bitop2_b32 v16, 7, v16 bitop3:0x40
; %bb.3083:                             ;   in Loop: Header=BB4_2678 Depth=3
	s_or_b32 exec_lo, exec_lo, s74
	s_delay_alu instid0(VALU_DEP_1) | instskip(NEXT) | instid1(VALU_DEP_2)
	v_dual_lshlrev_b32 v2, 16, v2 :: v_dual_lshlrev_b32 v16, 20, v16
	v_lshl_add_u32 v17, v21, 23, 0x3c000000
	s_delay_alu instid0(VALU_DEP_2) | instskip(NEXT) | instid1(VALU_DEP_1)
	v_and_b32_e32 v2, 0x80000000, v2
	v_or3_b32 v21, v16, v2, v17
.LBB4_3084:                             ;   in Loop: Header=BB4_2678 Depth=3
	s_or_b32 exec_lo, exec_lo, s45
.LBB4_3085:                             ;   in Loop: Header=BB4_2678 Depth=3
	s_delay_alu instid0(SALU_CYCLE_1)
	s_or_b32 exec_lo, exec_lo, s44
.LBB4_3086:                             ;   in Loop: Header=BB4_2678 Depth=3
	s_delay_alu instid0(SALU_CYCLE_1) | instskip(SKIP_2) | instid1(VALU_DEP_1)
	s_or_b32 exec_lo, exec_lo, s13
	v_lshrrev_b16 v2, 8, v19
	s_mov_b32 s13, exec_lo
	v_cmpx_ne_u16_e32 0, v2
	s_cbranch_execz .LBB4_3094
; %bb.3087:                             ;   in Loop: Header=BB4_2678 Depth=3
	v_bfrev_b32_e32 v20, 1
	s_mov_b32 s44, exec_lo
	v_cmpx_ne_u16_e32 0x80, v2
	s_cbranch_execz .LBB4_3093
; %bb.3088:                             ;   in Loop: Header=BB4_2678 Depth=3
	v_and_b32_e32 v2, 0xffff, v2
	v_mov_b32_e32 v20, 0x7f800001
	s_mov_b32 s45, exec_lo
	s_delay_alu instid0(VALU_DEP_2) | instskip(NEXT) | instid1(VALU_DEP_1)
	v_and_b32_e32 v16, 0x7f, v2
	v_cmpx_ne_u32_e32 0x7f, v16
	s_cbranch_execz .LBB4_3092
; %bb.3089:                             ;   in Loop: Header=BB4_2678 Depth=3
	v_dual_lshrrev_b32 v20, 3, v16 :: v_dual_bitop2_b32 v2, 7, v2 bitop3:0x40
	v_cmp_gt_u32_e32 vcc_lo, 8, v16
	s_delay_alu instid0(VALU_DEP_2)
	v_mov_b64_e32 v[16:17], v[2:3]
	s_and_saveexec_b32 s74, vcc_lo
; %bb.3090:                             ;   in Loop: Header=BB4_2678 Depth=3
	v_clz_i32_u32_e32 v16, v2
	s_delay_alu instid0(VALU_DEP_1) | instskip(NEXT) | instid1(VALU_DEP_1)
	v_min_u32_e32 v20, 32, v16
	v_subrev_nc_u32_e32 v16, 28, v20
	v_sub_nc_u32_e32 v20, 29, v20
	s_delay_alu instid0(VALU_DEP_2) | instskip(NEXT) | instid1(VALU_DEP_1)
	v_lshlrev_b64_e32 v[16:17], v16, v[2:3]
	v_and_b32_e32 v16, 7, v16
; %bb.3091:                             ;   in Loop: Header=BB4_2678 Depth=3
	s_or_b32 exec_lo, exec_lo, s74
	s_delay_alu instid0(VALU_DEP_1) | instskip(SKIP_1) | instid1(VALU_DEP_2)
	v_dual_lshlrev_b32 v2, 16, v19 :: v_dual_lshlrev_b32 v16, 20, v16
	v_lshl_add_u32 v17, v20, 23, 0x3c000000
	v_and_b32_e32 v2, 0x80000000, v2
	s_delay_alu instid0(VALU_DEP_1)
	v_or3_b32 v20, v16, v2, v17
.LBB4_3092:                             ;   in Loop: Header=BB4_2678 Depth=3
	s_or_b32 exec_lo, exec_lo, s45
.LBB4_3093:                             ;   in Loop: Header=BB4_2678 Depth=3
	s_delay_alu instid0(SALU_CYCLE_1)
	s_or_b32 exec_lo, exec_lo, s44
.LBB4_3094:                             ;   in Loop: Header=BB4_2678 Depth=3
	s_delay_alu instid0(SALU_CYCLE_1) | instskip(NEXT) | instid1(VALU_DEP_1)
	s_or_b32 exec_lo, exec_lo, s13
	v_add_f32_e32 v16, v21, v20
                                        ; implicit-def: $vgpr122
	s_mov_b32 s13, exec_lo
	s_delay_alu instid0(VALU_DEP_1) | instskip(SKIP_1) | instid1(VALU_DEP_2)
	v_and_b32_e32 v2, 0x7f800000, v16
	v_lshrrev_b32_e32 v17, 24, v16
	v_cmpx_ne_u64_e32 0x7f800000, v[2:3]
	s_xor_b32 s44, exec_lo, s13
	s_cbranch_execz .LBB4_3108
; %bb.3095:                             ;   in Loop: Header=BB4_2678 Depth=3
	v_and_b32_e32 v2, 0x7fffffff, v16
	v_and_b32_e32 v26, 0x80, v17
                                        ; implicit-def: $vgpr122
	s_mov_b32 s13, exec_lo
	s_delay_alu instid0(VALU_DEP_2)
	v_cmpx_gt_u64_e32 0x43e00001, v[2:3]
	s_xor_b32 s45, exec_lo, s13
	s_cbranch_execz .LBB4_3105
; %bb.3096:                             ;   in Loop: Header=BB4_2678 Depth=3
	v_mov_b32_e32 v122, 0
	s_mov_b32 s74, exec_lo
	v_cmpx_ne_u32_e32 0, v16
	s_cbranch_execz .LBB4_3104
; %bb.3097:                             ;   in Loop: Header=BB4_2678 Depth=3
	v_bfe_u32 v24, v16, 23, 8
	s_delay_alu instid0(VALU_DEP_1) | instskip(SKIP_1) | instid1(VALU_DEP_2)
	v_sub_nc_u32_e32 v2, 0x79, v24
	v_cmp_gt_u32_e32 vcc_lo, 0x7a, v24
	v_cndmask_b32_e32 v2, 0, v2, vcc_lo
	v_cmp_eq_u32_e32 vcc_lo, 0, v24
	s_delay_alu instid0(VALU_DEP_2) | instskip(SKIP_1) | instid1(VALU_DEP_2)
	v_cndmask_b32_e64 v25, v2, 0x78, vcc_lo
	v_and_b32_e32 v2, 0x7fffff, v16
	v_add_nc_u32_e32 v16, 20, v25
	s_delay_alu instid0(VALU_DEP_2) | instskip(SKIP_1) | instid1(VALU_DEP_3)
	v_or_b32_e32 v20, 0x800000, v2
	v_add_nc_u32_e32 v21, 19, v25
	v_lshlrev_b64_e64 v[16:17], v16, -1
	s_delay_alu instid0(VALU_DEP_3) | instskip(NEXT) | instid1(VALU_DEP_3)
	v_cndmask_b32_e32 v2, v20, v2, vcc_lo
	v_lshlrev_b64_e64 v[20:21], v21, 1
	s_delay_alu instid0(VALU_DEP_3) | instskip(NEXT) | instid1(VALU_DEP_3)
	v_bfi_b32 v29, v17, 0, 0
	v_bfi_b32 v28, v16, 0, v2
	v_lshrrev_b64 v[16:17], v25, v[2:3]
	s_delay_alu instid0(VALU_DEP_2) | instskip(NEXT) | instid1(VALU_DEP_2)
	v_cmp_eq_u64_e64 s13, v[28:29], v[20:21]
	v_mov_b64_e32 v[20:21], v[16:17]
	s_and_saveexec_b32 s75, s13
; %bb.3098:                             ;   in Loop: Header=BB4_2678 Depth=3
	v_bfe_u32 v2, v16, 20, 1
	s_delay_alu instid0(VALU_DEP_1) | instskip(NEXT) | instid1(VALU_DEP_1)
	v_add_nc_u64_e32 v[20:21], v[16:17], v[2:3]
	v_add_nc_u64_e32 v[20:21], -1, v[20:21]
; %bb.3099:                             ;   in Loop: Header=BB4_2678 Depth=3
	s_or_b32 exec_lo, exec_lo, s75
	v_add_nc_u32_e32 v2, 0xffffff81, v24
	v_lshrrev_b32_e32 v17, 23, v16
	s_mov_b32 s13, exec_lo
	s_delay_alu instid0(VALU_DEP_2) | instskip(NEXT) | instid1(VALU_DEP_1)
	v_cndmask_b32_e64 v2, v2, 0xffffff82, vcc_lo
	v_add3_u32 v21, v25, v2, v17
	v_and_b32_e32 v2, 0xfffff, v20
                                        ; implicit-def: $vgpr20
	s_delay_alu instid0(VALU_DEP_1) | instskip(NEXT) | instid1(VALU_DEP_1)
	v_dual_add_nc_u32 v24, 6, v21 :: v_dual_add_nc_u32 v2, v2, v16
                                        ; implicit-def: $vgpr16_vgpr17
	v_cmpx_ne_u32_e32 0, v24
	s_xor_b32 s13, exec_lo, s13
; %bb.3100:                             ;   in Loop: Header=BB4_2678 Depth=3
	s_delay_alu instid0(VALU_DEP_2) | instskip(SKIP_1) | instid1(VALU_DEP_1)
	v_cmp_lt_u64_e32 vcc_lo, 0xffffff, v[2:3]
	v_add_nc_u32_e32 v16, 7, v21
	v_cndmask_b32_e32 v20, v24, v16, vcc_lo
	v_cndmask_b32_e64 v16, 0, 1, vcc_lo
	s_delay_alu instid0(VALU_DEP_1)
	v_lshrrev_b64 v[16:17], v16, v[2:3]
; %bb.3101:                             ;   in Loop: Header=BB4_2678 Depth=3
	s_and_not1_saveexec_b32 s13, s13
; %bb.3102:                             ;   in Loop: Header=BB4_2678 Depth=3
	v_mov_b64_e32 v[16:17], v[2:3]
	v_bfe_u32 v20, v2, 23, 1
; %bb.3103:                             ;   in Loop: Header=BB4_2678 Depth=3
	s_or_b32 exec_lo, exec_lo, s13
	s_delay_alu instid0(VALU_DEP_2) | instskip(NEXT) | instid1(VALU_DEP_2)
	v_lshrrev_b64 v[16:17], 20, v[16:17]
	v_cmp_gt_i32_e32 vcc_lo, 16, v20
	v_min_i32_e32 v2, 15, v20
	v_cmp_eq_u32_e64 s13, 0, v20
	s_delay_alu instid0(VALU_DEP_2) | instskip(SKIP_1) | instid1(VALU_DEP_2)
	v_dual_cndmask_b32 v17, 0, v17 :: v_dual_lshlrev_b32 v2, 3, v2
	v_cndmask_b32_e32 v16, 7, v16, vcc_lo
	v_and_b32_e32 v2, 0xf8, v2
	s_delay_alu instid0(VALU_DEP_2) | instskip(NEXT) | instid1(VALU_DEP_2)
	v_cmp_eq_u64_e32 vcc_lo, 0, v[16:17]
	v_and_or_b32 v2, v16, 7, v2
	s_and_b32 s13, s13, vcc_lo
	s_delay_alu instid0(VALU_DEP_1) | instid1(SALU_CYCLE_1)
	v_cndmask_b32_e64 v2, v2, 0, s13
	s_delay_alu instid0(VALU_DEP_1)
	v_or_b32_e32 v122, v2, v26
.LBB4_3104:                             ;   in Loop: Header=BB4_2678 Depth=3
	s_or_b32 exec_lo, exec_lo, s74
                                        ; implicit-def: $vgpr26
.LBB4_3105:                             ;   in Loop: Header=BB4_2678 Depth=3
	s_and_not1_saveexec_b32 s13, s45
; %bb.3106:                             ;   in Loop: Header=BB4_2678 Depth=3
	v_or_b32_e32 v122, 0x7e, v26
; %bb.3107:                             ;   in Loop: Header=BB4_2678 Depth=3
	s_or_b32 exec_lo, exec_lo, s13
                                        ; implicit-def: $vgpr17
.LBB4_3108:                             ;   in Loop: Header=BB4_2678 Depth=3
	s_and_not1_saveexec_b32 s13, s44
; %bb.3109:                             ;   in Loop: Header=BB4_2678 Depth=3
	v_or_b32_e32 v122, 0x7f, v17
; %bb.3110:                             ;   in Loop: Header=BB4_2678 Depth=3
	s_or_b32 exec_lo, exec_lo, s13
	v_dual_lshrrev_b32 v24, 16, v23 :: v_dual_mov_b32 v20, 0
	v_mov_b32_e32 v21, 0
	s_mov_b32 s13, exec_lo
	s_delay_alu instid0(VALU_DEP_2) | instskip(NEXT) | instid1(VALU_DEP_1)
	v_and_b32_e32 v2, 0xff, v24
	v_cmpx_ne_u16_e32 0, v2
	s_cbranch_execz .LBB4_3118
; %bb.3111:                             ;   in Loop: Header=BB4_2678 Depth=3
	v_bfrev_b32_e32 v21, 1
	s_mov_b32 s44, exec_lo
	v_cmpx_ne_u16_e32 0x80, v2
	s_cbranch_execz .LBB4_3117
; %bb.3112:                             ;   in Loop: Header=BB4_2678 Depth=3
	v_bfe_u32 v16, v23, 16, 7
	v_mov_b32_e32 v21, 0x7f800001
	s_mov_b32 s45, exec_lo
	s_delay_alu instid0(VALU_DEP_2)
	v_cmpx_ne_u32_e32 0x7f, v16
	s_cbranch_execz .LBB4_3116
; %bb.3113:                             ;   in Loop: Header=BB4_2678 Depth=3
	v_and_b32_e32 v2, 7, v24
	v_lshrrev_b32_e32 v21, 3, v16
	v_cmp_gt_u32_e32 vcc_lo, 8, v16
	s_delay_alu instid0(VALU_DEP_3)
	v_mov_b64_e32 v[16:17], v[2:3]
	s_and_saveexec_b32 s74, vcc_lo
; %bb.3114:                             ;   in Loop: Header=BB4_2678 Depth=3
	v_clz_i32_u32_e32 v16, v2
	s_delay_alu instid0(VALU_DEP_1) | instskip(NEXT) | instid1(VALU_DEP_1)
	v_min_u32_e32 v21, 32, v16
	v_subrev_nc_u32_e32 v16, 28, v21
	s_delay_alu instid0(VALU_DEP_1) | instskip(NEXT) | instid1(VALU_DEP_1)
	v_lshlrev_b64_e32 v[16:17], v16, v[2:3]
	v_dual_sub_nc_u32 v21, 29, v21 :: v_dual_bitop2_b32 v16, 7, v16 bitop3:0x40
; %bb.3115:                             ;   in Loop: Header=BB4_2678 Depth=3
	s_or_b32 exec_lo, exec_lo, s74
	v_lshlrev_b32_e32 v2, 24, v24
	s_delay_alu instid0(VALU_DEP_2) | instskip(NEXT) | instid1(VALU_DEP_3)
	v_lshlrev_b32_e32 v16, 20, v16
	v_lshl_add_u32 v17, v21, 23, 0x3c000000
	s_delay_alu instid0(VALU_DEP_3) | instskip(NEXT) | instid1(VALU_DEP_1)
	v_and_b32_e32 v2, 0x80000000, v2
	v_or3_b32 v21, v16, v2, v17
.LBB4_3116:                             ;   in Loop: Header=BB4_2678 Depth=3
	s_or_b32 exec_lo, exec_lo, s45
.LBB4_3117:                             ;   in Loop: Header=BB4_2678 Depth=3
	s_delay_alu instid0(SALU_CYCLE_1)
	s_or_b32 exec_lo, exec_lo, s44
.LBB4_3118:                             ;   in Loop: Header=BB4_2678 Depth=3
	s_delay_alu instid0(SALU_CYCLE_1) | instskip(SKIP_2) | instid1(VALU_DEP_1)
	s_or_b32 exec_lo, exec_lo, s13
	v_lshrrev_b32_e32 v2, 16, v19
	s_mov_b32 s13, exec_lo
	v_and_b32_e32 v16, 0xff, v2
	s_delay_alu instid0(VALU_DEP_1)
	v_cmpx_ne_u16_e32 0, v16
	s_cbranch_execz .LBB4_3126
; %bb.3119:                             ;   in Loop: Header=BB4_2678 Depth=3
	v_bfrev_b32_e32 v20, 1
	s_mov_b32 s44, exec_lo
	v_cmpx_ne_u16_e32 0x80, v16
	s_cbranch_execz .LBB4_3125
; %bb.3120:                             ;   in Loop: Header=BB4_2678 Depth=3
	v_bfe_u32 v16, v19, 16, 7
	v_mov_b32_e32 v20, 0x7f800001
	s_mov_b32 s45, exec_lo
	s_delay_alu instid0(VALU_DEP_2)
	v_cmpx_ne_u32_e32 0x7f, v16
	s_cbranch_execz .LBB4_3124
; %bb.3121:                             ;   in Loop: Header=BB4_2678 Depth=3
	v_dual_lshrrev_b32 v20, 3, v16 :: v_dual_bitop2_b32 v2, 7, v2 bitop3:0x40
	v_cmp_gt_u32_e32 vcc_lo, 8, v16
	s_delay_alu instid0(VALU_DEP_2)
	v_mov_b64_e32 v[16:17], v[2:3]
	s_and_saveexec_b32 s74, vcc_lo
; %bb.3122:                             ;   in Loop: Header=BB4_2678 Depth=3
	v_clz_i32_u32_e32 v16, v2
	s_delay_alu instid0(VALU_DEP_1) | instskip(NEXT) | instid1(VALU_DEP_1)
	v_min_u32_e32 v20, 32, v16
	v_subrev_nc_u32_e32 v16, 28, v20
	v_sub_nc_u32_e32 v20, 29, v20
	s_delay_alu instid0(VALU_DEP_2) | instskip(NEXT) | instid1(VALU_DEP_1)
	v_lshlrev_b64_e32 v[16:17], v16, v[2:3]
	v_and_b32_e32 v16, 7, v16
; %bb.3123:                             ;   in Loop: Header=BB4_2678 Depth=3
	s_or_b32 exec_lo, exec_lo, s74
	s_delay_alu instid0(VALU_DEP_1) | instskip(SKIP_1) | instid1(VALU_DEP_2)
	v_dual_lshlrev_b32 v2, 8, v19 :: v_dual_lshlrev_b32 v16, 20, v16
	v_lshl_add_u32 v17, v20, 23, 0x3c000000
	v_and_b32_e32 v2, 0x80000000, v2
	s_delay_alu instid0(VALU_DEP_1)
	v_or3_b32 v20, v16, v2, v17
.LBB4_3124:                             ;   in Loop: Header=BB4_2678 Depth=3
	s_or_b32 exec_lo, exec_lo, s45
.LBB4_3125:                             ;   in Loop: Header=BB4_2678 Depth=3
	s_delay_alu instid0(SALU_CYCLE_1)
	s_or_b32 exec_lo, exec_lo, s44
.LBB4_3126:                             ;   in Loop: Header=BB4_2678 Depth=3
	s_delay_alu instid0(SALU_CYCLE_1) | instskip(NEXT) | instid1(VALU_DEP_1)
	s_or_b32 exec_lo, exec_lo, s13
	v_add_f32_e32 v16, v21, v20
                                        ; implicit-def: $vgpr20
	s_mov_b32 s13, exec_lo
	s_delay_alu instid0(VALU_DEP_1) | instskip(SKIP_1) | instid1(VALU_DEP_2)
	v_and_b32_e32 v2, 0x7f800000, v16
	v_lshrrev_b32_e32 v17, 24, v16
	v_cmpx_ne_u64_e32 0x7f800000, v[2:3]
	s_xor_b32 s44, exec_lo, s13
	s_cbranch_execz .LBB4_3140
; %bb.3127:                             ;   in Loop: Header=BB4_2678 Depth=3
	v_and_b32_e32 v2, 0x7fffffff, v16
	v_and_b32_e32 v26, 0x80, v17
                                        ; implicit-def: $vgpr20
	s_mov_b32 s13, exec_lo
	s_delay_alu instid0(VALU_DEP_2)
	v_cmpx_gt_u64_e32 0x43e00001, v[2:3]
	s_xor_b32 s45, exec_lo, s13
	s_cbranch_execz .LBB4_3137
; %bb.3128:                             ;   in Loop: Header=BB4_2678 Depth=3
	v_mov_b32_e32 v20, 0
	s_mov_b32 s74, exec_lo
	v_cmpx_ne_u32_e32 0, v16
	s_cbranch_execz .LBB4_3136
; %bb.3129:                             ;   in Loop: Header=BB4_2678 Depth=3
	v_bfe_u32 v27, v16, 23, 8
	v_and_b32_e32 v2, 0x7fffff, v16
	s_delay_alu instid0(VALU_DEP_2) | instskip(SKIP_2) | instid1(VALU_DEP_4)
	v_cmp_gt_u32_e64 s13, 0x7a, v27
	v_sub_nc_u32_e32 v16, 0x79, v27
	v_cmp_eq_u32_e32 vcc_lo, 0, v27
	v_or_b32_e32 v17, 0x800000, v2
	s_delay_alu instid0(VALU_DEP_1) | instskip(NEXT) | instid1(VALU_DEP_1)
	v_dual_cndmask_b32 v16, 0, v16, s13 :: v_dual_cndmask_b32 v2, v17, v2, vcc_lo
	v_cndmask_b32_e64 v24, v16, 0x78, vcc_lo
	s_delay_alu instid0(VALU_DEP_1) | instskip(NEXT) | instid1(VALU_DEP_1)
	v_dual_add_nc_u32 v16, 20, v24 :: v_dual_add_nc_u32 v20, 19, v24
	v_lshlrev_b64_e64 v[16:17], v16, -1
	s_delay_alu instid0(VALU_DEP_2) | instskip(NEXT) | instid1(VALU_DEP_2)
	v_lshlrev_b64_e64 v[20:21], v20, 1
	v_bfi_b32 v17, v17, 0, 0
	s_delay_alu instid0(VALU_DEP_3) | instskip(NEXT) | instid1(VALU_DEP_1)
	v_bfi_b32 v16, v16, 0, v2
	v_cmp_eq_u64_e64 s13, v[16:17], v[20:21]
	v_lshrrev_b64 v[16:17], v24, v[2:3]
	s_delay_alu instid0(VALU_DEP_1)
	v_mov_b64_e32 v[20:21], v[16:17]
	s_and_saveexec_b32 s75, s13
; %bb.3130:                             ;   in Loop: Header=BB4_2678 Depth=3
	v_bfe_u32 v2, v16, 20, 1
	s_delay_alu instid0(VALU_DEP_1) | instskip(NEXT) | instid1(VALU_DEP_1)
	v_add_nc_u64_e32 v[20:21], v[16:17], v[2:3]
	v_add_nc_u64_e32 v[20:21], -1, v[20:21]
; %bb.3131:                             ;   in Loop: Header=BB4_2678 Depth=3
	s_or_b32 exec_lo, exec_lo, s75
	v_add_nc_u32_e32 v2, 0xffffff81, v27
	v_lshrrev_b32_e32 v17, 23, v16
	s_mov_b32 s13, exec_lo
	s_delay_alu instid0(VALU_DEP_2) | instskip(NEXT) | instid1(VALU_DEP_1)
	v_cndmask_b32_e64 v2, v2, 0xffffff82, vcc_lo
	v_add3_u32 v21, v24, v2, v17
	v_and_b32_e32 v2, 0xfffff, v20
                                        ; implicit-def: $vgpr20
	s_delay_alu instid0(VALU_DEP_1) | instskip(NEXT) | instid1(VALU_DEP_1)
	v_dual_add_nc_u32 v24, 6, v21 :: v_dual_add_nc_u32 v2, v2, v16
                                        ; implicit-def: $vgpr16_vgpr17
	v_cmpx_ne_u32_e32 0, v24
	s_xor_b32 s13, exec_lo, s13
; %bb.3132:                             ;   in Loop: Header=BB4_2678 Depth=3
	s_delay_alu instid0(VALU_DEP_2) | instskip(SKIP_1) | instid1(VALU_DEP_1)
	v_cmp_lt_u64_e32 vcc_lo, 0xffffff, v[2:3]
	v_add_nc_u32_e32 v16, 7, v21
	v_cndmask_b32_e32 v20, v24, v16, vcc_lo
	v_cndmask_b32_e64 v16, 0, 1, vcc_lo
	s_delay_alu instid0(VALU_DEP_1)
	v_lshrrev_b64 v[16:17], v16, v[2:3]
; %bb.3133:                             ;   in Loop: Header=BB4_2678 Depth=3
	s_and_not1_saveexec_b32 s13, s13
; %bb.3134:                             ;   in Loop: Header=BB4_2678 Depth=3
	v_mov_b64_e32 v[16:17], v[2:3]
	v_bfe_u32 v20, v2, 23, 1
; %bb.3135:                             ;   in Loop: Header=BB4_2678 Depth=3
	s_or_b32 exec_lo, exec_lo, s13
	s_delay_alu instid0(VALU_DEP_2) | instskip(NEXT) | instid1(VALU_DEP_2)
	v_lshrrev_b64 v[16:17], 20, v[16:17]
	v_cmp_gt_i32_e32 vcc_lo, 16, v20
	v_min_i32_e32 v2, 15, v20
	v_cmp_eq_u32_e64 s13, 0, v20
	s_delay_alu instid0(VALU_DEP_2) | instskip(SKIP_1) | instid1(VALU_DEP_2)
	v_dual_cndmask_b32 v17, 0, v17 :: v_dual_lshlrev_b32 v2, 3, v2
	v_cndmask_b32_e32 v16, 7, v16, vcc_lo
	v_and_b32_e32 v2, 0xf8, v2
	s_delay_alu instid0(VALU_DEP_2) | instskip(NEXT) | instid1(VALU_DEP_2)
	v_cmp_eq_u64_e32 vcc_lo, 0, v[16:17]
	v_and_or_b32 v2, v16, 7, v2
	s_and_b32 s13, s13, vcc_lo
	s_delay_alu instid0(VALU_DEP_1) | instid1(SALU_CYCLE_1)
	v_cndmask_b32_e64 v2, v2, 0, s13
	s_delay_alu instid0(VALU_DEP_1)
	v_or_b32_e32 v20, v2, v26
.LBB4_3136:                             ;   in Loop: Header=BB4_2678 Depth=3
	s_or_b32 exec_lo, exec_lo, s74
                                        ; implicit-def: $vgpr26
.LBB4_3137:                             ;   in Loop: Header=BB4_2678 Depth=3
	s_and_not1_saveexec_b32 s13, s45
; %bb.3138:                             ;   in Loop: Header=BB4_2678 Depth=3
	v_or_b32_e32 v20, 0x7e, v26
; %bb.3139:                             ;   in Loop: Header=BB4_2678 Depth=3
	s_or_b32 exec_lo, exec_lo, s13
                                        ; implicit-def: $vgpr17
.LBB4_3140:                             ;   in Loop: Header=BB4_2678 Depth=3
	s_and_not1_saveexec_b32 s13, s44
; %bb.3141:                             ;   in Loop: Header=BB4_2678 Depth=3
	v_or_b32_e32 v20, 0x7f, v17
; %bb.3142:                             ;   in Loop: Header=BB4_2678 Depth=3
	s_or_b32 exec_lo, exec_lo, s13
	v_cmp_lt_u64_e32 vcc_lo, s[22:23], v[22:23]
	v_dual_mov_b32 v21, 0 :: v_dual_mov_b32 v22, 0
	s_and_saveexec_b32 s13, vcc_lo
	s_cbranch_execz .LBB4_3150
; %bb.3143:                             ;   in Loop: Header=BB4_2678 Depth=3
	v_lshrrev_b32_e32 v24, 24, v23
	v_bfrev_b32_e32 v22, 1
	s_mov_b32 s44, exec_lo
	s_delay_alu instid0(VALU_DEP_2)
	v_cmpx_ne_u32_e32 0x80, v24
	s_cbranch_execz .LBB4_3149
; %bb.3144:                             ;   in Loop: Header=BB4_2678 Depth=3
	v_bfe_u32 v16, v23, 24, 7
	v_mov_b32_e32 v22, 0x7f800001
	s_mov_b32 s45, exec_lo
	s_delay_alu instid0(VALU_DEP_2)
	v_cmpx_ne_u32_e32 0x7f, v16
	s_cbranch_execz .LBB4_3148
; %bb.3145:                             ;   in Loop: Header=BB4_2678 Depth=3
	v_and_b32_e32 v2, 7, v24
	v_lshrrev_b32_e32 v22, 3, v16
	v_cmp_gt_u32_e32 vcc_lo, 8, v16
	s_delay_alu instid0(VALU_DEP_3)
	v_mov_b64_e32 v[16:17], v[2:3]
	s_and_saveexec_b32 s74, vcc_lo
; %bb.3146:                             ;   in Loop: Header=BB4_2678 Depth=3
	v_clz_i32_u32_e32 v16, v2
	s_delay_alu instid0(VALU_DEP_1) | instskip(NEXT) | instid1(VALU_DEP_1)
	v_min_u32_e32 v22, 32, v16
	v_subrev_nc_u32_e32 v16, 28, v22
	s_delay_alu instid0(VALU_DEP_1) | instskip(NEXT) | instid1(VALU_DEP_1)
	v_lshlrev_b64_e32 v[16:17], v16, v[2:3]
	v_dual_sub_nc_u32 v22, 29, v22 :: v_dual_bitop2_b32 v16, 7, v16 bitop3:0x40
; %bb.3147:                             ;   in Loop: Header=BB4_2678 Depth=3
	s_or_b32 exec_lo, exec_lo, s74
	v_lshlrev_b32_e32 v2, 24, v24
	s_delay_alu instid0(VALU_DEP_2) | instskip(NEXT) | instid1(VALU_DEP_3)
	v_lshlrev_b32_e32 v16, 20, v16
	v_lshl_add_u32 v17, v22, 23, 0x3c000000
	s_delay_alu instid0(VALU_DEP_3) | instskip(NEXT) | instid1(VALU_DEP_1)
	v_and_b32_e32 v2, 0x80000000, v2
	v_or3_b32 v22, v16, v2, v17
.LBB4_3148:                             ;   in Loop: Header=BB4_2678 Depth=3
	s_or_b32 exec_lo, exec_lo, s45
.LBB4_3149:                             ;   in Loop: Header=BB4_2678 Depth=3
	s_delay_alu instid0(SALU_CYCLE_1)
	s_or_b32 exec_lo, exec_lo, s44
.LBB4_3150:                             ;   in Loop: Header=BB4_2678 Depth=3
	s_delay_alu instid0(SALU_CYCLE_1) | instskip(NEXT) | instid1(SALU_CYCLE_1)
	s_or_b32 exec_lo, exec_lo, s13
	s_mov_b32 s13, exec_lo
	v_cmpx_lt_u64_e64 s[22:23], v[18:19]
	s_cbranch_execz .LBB4_3158
; %bb.3151:                             ;   in Loop: Header=BB4_2678 Depth=3
	v_lshrrev_b32_e32 v18, 24, v19
	v_bfrev_b32_e32 v21, 1
	s_mov_b32 s44, exec_lo
	s_delay_alu instid0(VALU_DEP_2)
	v_cmpx_ne_u32_e32 0x80, v18
	s_cbranch_execz .LBB4_3157
; %bb.3152:                             ;   in Loop: Header=BB4_2678 Depth=3
	v_bfe_u32 v16, v19, 24, 7
	v_mov_b32_e32 v21, 0x7f800001
	s_mov_b32 s45, exec_lo
	s_delay_alu instid0(VALU_DEP_2)
	v_cmpx_ne_u32_e32 0x7f, v16
	s_cbranch_execz .LBB4_3156
; %bb.3153:                             ;   in Loop: Header=BB4_2678 Depth=3
	v_dual_lshrrev_b32 v19, 3, v16 :: v_dual_bitop2_b32 v2, 7, v18 bitop3:0x40
	v_cmp_gt_u32_e32 vcc_lo, 8, v16
	s_delay_alu instid0(VALU_DEP_2)
	v_mov_b64_e32 v[16:17], v[2:3]
	s_and_saveexec_b32 s74, vcc_lo
; %bb.3154:                             ;   in Loop: Header=BB4_2678 Depth=3
	v_clz_i32_u32_e32 v16, v2
	s_delay_alu instid0(VALU_DEP_1) | instskip(NEXT) | instid1(VALU_DEP_1)
	v_min_u32_e32 v19, 32, v16
	v_subrev_nc_u32_e32 v16, 28, v19
	s_delay_alu instid0(VALU_DEP_1) | instskip(NEXT) | instid1(VALU_DEP_1)
	v_lshlrev_b64_e32 v[16:17], v16, v[2:3]
	v_dual_sub_nc_u32 v19, 29, v19 :: v_dual_bitop2_b32 v16, 7, v16 bitop3:0x40
; %bb.3155:                             ;   in Loop: Header=BB4_2678 Depth=3
	s_or_b32 exec_lo, exec_lo, s74
	s_delay_alu instid0(VALU_DEP_1) | instskip(NEXT) | instid1(VALU_DEP_2)
	v_dual_lshlrev_b32 v2, 24, v18 :: v_dual_lshlrev_b32 v16, 20, v16
	v_lshl_add_u32 v17, v19, 23, 0x3c000000
	s_delay_alu instid0(VALU_DEP_2) | instskip(NEXT) | instid1(VALU_DEP_1)
	v_and_b32_e32 v2, 0x80000000, v2
	v_or3_b32 v21, v16, v2, v17
.LBB4_3156:                             ;   in Loop: Header=BB4_2678 Depth=3
	s_or_b32 exec_lo, exec_lo, s45
.LBB4_3157:                             ;   in Loop: Header=BB4_2678 Depth=3
	s_delay_alu instid0(SALU_CYCLE_1)
	s_or_b32 exec_lo, exec_lo, s44
.LBB4_3158:                             ;   in Loop: Header=BB4_2678 Depth=3
	s_delay_alu instid0(SALU_CYCLE_1) | instskip(NEXT) | instid1(VALU_DEP_1)
	s_or_b32 exec_lo, exec_lo, s13
	v_add_f32_e32 v16, v22, v21
                                        ; implicit-def: $vgpr21
	s_mov_b32 s13, exec_lo
	s_delay_alu instid0(VALU_DEP_1) | instskip(SKIP_1) | instid1(VALU_DEP_2)
	v_and_b32_e32 v2, 0x7f800000, v16
	v_lshrrev_b32_e32 v17, 24, v16
	v_cmpx_ne_u64_e32 0x7f800000, v[2:3]
	s_xor_b32 s44, exec_lo, s13
	s_cbranch_execz .LBB4_3172
; %bb.3159:                             ;   in Loop: Header=BB4_2678 Depth=3
	v_and_b32_e32 v2, 0x7fffffff, v16
	v_and_b32_e32 v22, 0x80, v17
                                        ; implicit-def: $vgpr21
	s_mov_b32 s13, exec_lo
	s_delay_alu instid0(VALU_DEP_2)
	v_cmpx_gt_u64_e32 0x43e00001, v[2:3]
	s_xor_b32 s45, exec_lo, s13
	s_cbranch_execz .LBB4_3169
; %bb.3160:                             ;   in Loop: Header=BB4_2678 Depth=3
	v_mov_b32_e32 v21, 0
	s_mov_b32 s74, exec_lo
	v_cmpx_ne_u32_e32 0, v16
	s_cbranch_execz .LBB4_3168
; %bb.3161:                             ;   in Loop: Header=BB4_2678 Depth=3
	v_bfe_u32 v21, v16, 23, 8
	s_delay_alu instid0(VALU_DEP_1) | instskip(SKIP_1) | instid1(VALU_DEP_2)
	v_sub_nc_u32_e32 v2, 0x79, v21
	v_cmp_gt_u32_e32 vcc_lo, 0x7a, v21
	v_cndmask_b32_e32 v2, 0, v2, vcc_lo
	v_cmp_eq_u32_e32 vcc_lo, 0, v21
	s_delay_alu instid0(VALU_DEP_2) | instskip(SKIP_1) | instid1(VALU_DEP_2)
	v_cndmask_b32_e64 v23, v2, 0x78, vcc_lo
	v_and_b32_e32 v2, 0x7fffff, v16
	v_add_nc_u32_e32 v16, 20, v23
	s_delay_alu instid0(VALU_DEP_2) | instskip(SKIP_1) | instid1(VALU_DEP_3)
	v_or_b32_e32 v18, 0x800000, v2
	v_add_nc_u32_e32 v19, 19, v23
	v_lshlrev_b64_e64 v[16:17], v16, -1
	s_delay_alu instid0(VALU_DEP_3) | instskip(NEXT) | instid1(VALU_DEP_3)
	v_cndmask_b32_e32 v2, v18, v2, vcc_lo
	v_lshlrev_b64_e64 v[18:19], v19, 1
	s_delay_alu instid0(VALU_DEP_3) | instskip(NEXT) | instid1(VALU_DEP_3)
	v_bfi_b32 v25, v17, 0, 0
	v_bfi_b32 v24, v16, 0, v2
	v_lshrrev_b64 v[16:17], v23, v[2:3]
	s_delay_alu instid0(VALU_DEP_2) | instskip(NEXT) | instid1(VALU_DEP_2)
	v_cmp_eq_u64_e64 s13, v[24:25], v[18:19]
	v_mov_b64_e32 v[18:19], v[16:17]
	s_and_saveexec_b32 s75, s13
; %bb.3162:                             ;   in Loop: Header=BB4_2678 Depth=3
	v_bfe_u32 v2, v16, 20, 1
	s_delay_alu instid0(VALU_DEP_1) | instskip(NEXT) | instid1(VALU_DEP_1)
	v_add_nc_u64_e32 v[18:19], v[16:17], v[2:3]
	v_add_nc_u64_e32 v[18:19], -1, v[18:19]
; %bb.3163:                             ;   in Loop: Header=BB4_2678 Depth=3
	s_or_b32 exec_lo, exec_lo, s75
	v_add_nc_u32_e32 v2, 0xffffff81, v21
	v_lshrrev_b32_e32 v17, 23, v16
	s_mov_b32 s13, exec_lo
	s_delay_alu instid0(VALU_DEP_2) | instskip(NEXT) | instid1(VALU_DEP_1)
	v_cndmask_b32_e64 v2, v2, 0xffffff82, vcc_lo
	v_add3_u32 v19, v23, v2, v17
	v_and_b32_e32 v2, 0xfffff, v18
                                        ; implicit-def: $vgpr18
	s_delay_alu instid0(VALU_DEP_1) | instskip(NEXT) | instid1(VALU_DEP_1)
	v_dual_add_nc_u32 v21, 6, v19 :: v_dual_add_nc_u32 v2, v2, v16
                                        ; implicit-def: $vgpr16_vgpr17
	v_cmpx_ne_u32_e32 0, v21
	s_xor_b32 s13, exec_lo, s13
; %bb.3164:                             ;   in Loop: Header=BB4_2678 Depth=3
	s_delay_alu instid0(VALU_DEP_2) | instskip(SKIP_1) | instid1(VALU_DEP_1)
	v_cmp_lt_u64_e32 vcc_lo, 0xffffff, v[2:3]
	v_add_nc_u32_e32 v16, 7, v19
	v_cndmask_b32_e32 v18, v21, v16, vcc_lo
	v_cndmask_b32_e64 v16, 0, 1, vcc_lo
	s_delay_alu instid0(VALU_DEP_1)
	v_lshrrev_b64 v[16:17], v16, v[2:3]
; %bb.3165:                             ;   in Loop: Header=BB4_2678 Depth=3
	s_and_not1_saveexec_b32 s13, s13
; %bb.3166:                             ;   in Loop: Header=BB4_2678 Depth=3
	v_mov_b64_e32 v[16:17], v[2:3]
	v_bfe_u32 v18, v2, 23, 1
; %bb.3167:                             ;   in Loop: Header=BB4_2678 Depth=3
	s_or_b32 exec_lo, exec_lo, s13
	s_delay_alu instid0(VALU_DEP_2) | instskip(NEXT) | instid1(VALU_DEP_2)
	v_lshrrev_b64 v[16:17], 20, v[16:17]
	v_cmp_gt_i32_e32 vcc_lo, 16, v18
	v_min_i32_e32 v2, 15, v18
	v_cmp_eq_u32_e64 s13, 0, v18
	s_delay_alu instid0(VALU_DEP_2) | instskip(SKIP_1) | instid1(VALU_DEP_2)
	v_dual_cndmask_b32 v17, 0, v17 :: v_dual_lshlrev_b32 v2, 3, v2
	v_cndmask_b32_e32 v16, 7, v16, vcc_lo
	v_and_b32_e32 v2, 0xf8, v2
	s_delay_alu instid0(VALU_DEP_2) | instskip(NEXT) | instid1(VALU_DEP_2)
	v_cmp_eq_u64_e32 vcc_lo, 0, v[16:17]
	v_and_or_b32 v2, v16, 7, v2
	s_and_b32 s13, s13, vcc_lo
	s_delay_alu instid0(VALU_DEP_1) | instid1(SALU_CYCLE_1)
	v_cndmask_b32_e64 v2, v2, 0, s13
	s_delay_alu instid0(VALU_DEP_1)
	v_or_b32_e32 v21, v2, v22
.LBB4_3168:                             ;   in Loop: Header=BB4_2678 Depth=3
	s_or_b32 exec_lo, exec_lo, s74
                                        ; implicit-def: $vgpr22
.LBB4_3169:                             ;   in Loop: Header=BB4_2678 Depth=3
	s_and_not1_saveexec_b32 s13, s45
; %bb.3170:                             ;   in Loop: Header=BB4_2678 Depth=3
	v_or_b32_e32 v21, 0x7e, v22
; %bb.3171:                             ;   in Loop: Header=BB4_2678 Depth=3
	s_or_b32 exec_lo, exec_lo, s13
                                        ; implicit-def: $vgpr17
.LBB4_3172:                             ;   in Loop: Header=BB4_2678 Depth=3
	s_and_not1_saveexec_b32 s13, s44
; %bb.3173:                             ;   in Loop: Header=BB4_2678 Depth=3
	v_or_b32_e32 v21, 0x7f, v17
; %bb.3174:                             ;   in Loop: Header=BB4_2678 Depth=3
	s_or_b32 exec_lo, exec_lo, s13
	v_and_b32_e32 v17, 0xff, v12
	v_dual_mov_b32 v2, 0 :: v_dual_mov_b32 v16, 0
	s_mov_b32 s13, exec_lo
	s_delay_alu instid0(VALU_DEP_2)
	v_cmpx_ne_u16_e32 0, v17
	s_cbranch_execz .LBB4_3180
; %bb.3175:                             ;   in Loop: Header=BB4_2678 Depth=3
	v_bfrev_b32_e32 v16, 1
	s_mov_b32 s44, exec_lo
	v_cmpx_ne_u16_e32 0x80, v17
	s_cbranch_execz .LBB4_3179
; %bb.3176:                             ;   in Loop: Header=BB4_2678 Depth=3
	v_and_b32_e32 v17, 0x7f, v12
	v_mov_b32_e32 v16, 0x7f800001
	s_mov_b32 s45, exec_lo
	s_delay_alu instid0(VALU_DEP_2)
	v_cmpx_ne_u32_e32 0x7f, v17
	s_cbranch_execz .LBB4_3178
; %bb.3177:                             ;   in Loop: Header=BB4_2678 Depth=3
	v_dual_lshrrev_b32 v18, 3, v17 :: v_dual_bitop2_b32 v16, 7, v12 bitop3:0x40
	v_cmp_gt_u32_e32 vcc_lo, 8, v17
	s_delay_alu instid0(VALU_DEP_2) | instskip(NEXT) | instid1(VALU_DEP_1)
	v_clz_i32_u32_e32 v16, v16
	v_min_u32_e32 v16, 32, v16
	s_delay_alu instid0(VALU_DEP_1) | instskip(SKIP_1) | instid1(VALU_DEP_1)
	v_subrev_nc_u32_e32 v19, 28, v16
	v_sub_nc_u32_e32 v16, 29, v16
	v_dual_cndmask_b32 v18, v18, v16, vcc_lo :: v_dual_cndmask_b32 v16, 0, v19, vcc_lo
	s_delay_alu instid0(VALU_DEP_1) | instskip(NEXT) | instid1(VALU_DEP_2)
	v_lshl_add_u32 v18, v18, 23, 0x3c000000
	v_lshlrev_b64_e32 v[16:17], v16, v[12:13]
	v_lshlrev_b32_e32 v17, 24, v12
	s_delay_alu instid0(VALU_DEP_1) | instskip(NEXT) | instid1(VALU_DEP_3)
	v_and_b32_e32 v17, 0x80000000, v17
	v_lshlrev_b32_e32 v16, 20, v16
	s_delay_alu instid0(VALU_DEP_1) | instskip(NEXT) | instid1(VALU_DEP_1)
	v_and_b32_e32 v16, 0x700000, v16
	v_or3_b32 v16, v16, v17, v18
.LBB4_3178:                             ;   in Loop: Header=BB4_2678 Depth=3
	s_or_b32 exec_lo, exec_lo, s45
.LBB4_3179:                             ;   in Loop: Header=BB4_2678 Depth=3
	s_delay_alu instid0(SALU_CYCLE_1)
	s_or_b32 exec_lo, exec_lo, s44
.LBB4_3180:                             ;   in Loop: Header=BB4_2678 Depth=3
	s_delay_alu instid0(SALU_CYCLE_1) | instskip(SKIP_3) | instid1(VALU_DEP_1)
	s_or_b32 exec_lo, exec_lo, s13
	s_wait_loadcnt 0x0
	v_and_b32_e32 v17, 0xff, v8
	s_mov_b32 s13, exec_lo
	v_cmpx_ne_u16_e32 0, v17
	s_cbranch_execz .LBB4_3186
; %bb.3181:                             ;   in Loop: Header=BB4_2678 Depth=3
	v_bfrev_b32_e32 v2, 1
	s_mov_b32 s44, exec_lo
	v_cmpx_ne_u16_e32 0x80, v17
	s_cbranch_execz .LBB4_3185
; %bb.3182:                             ;   in Loop: Header=BB4_2678 Depth=3
	v_and_b32_e32 v17, 0x7f, v8
	v_mov_b32_e32 v2, 0x7f800001
	s_mov_b32 s45, exec_lo
	s_delay_alu instid0(VALU_DEP_2)
	v_cmpx_ne_u32_e32 0x7f, v17
	s_cbranch_execz .LBB4_3184
; %bb.3183:                             ;   in Loop: Header=BB4_2678 Depth=3
	v_dual_lshrrev_b32 v18, 3, v17 :: v_dual_bitop2_b32 v2, 7, v8 bitop3:0x40
	v_cmp_gt_u32_e32 vcc_lo, 8, v17
	s_delay_alu instid0(VALU_DEP_2) | instskip(NEXT) | instid1(VALU_DEP_1)
	v_clz_i32_u32_e32 v2, v2
	v_min_u32_e32 v2, 32, v2
	s_delay_alu instid0(VALU_DEP_1) | instskip(NEXT) | instid1(VALU_DEP_1)
	v_subrev_nc_u32_e32 v19, 28, v2
	v_dual_cndmask_b32 v17, 0, v19 :: v_dual_sub_nc_u32 v2, 29, v2
	s_delay_alu instid0(VALU_DEP_1) | instskip(NEXT) | instid1(VALU_DEP_2)
	v_cndmask_b32_e32 v2, v18, v2, vcc_lo
	v_lshlrev_b64_e32 v[18:19], v17, v[8:9]
	v_lshlrev_b32_e32 v17, 24, v8
	s_delay_alu instid0(VALU_DEP_3) | instskip(NEXT) | instid1(VALU_DEP_2)
	v_lshl_add_u32 v2, v2, 23, 0x3c000000
	v_and_b32_e32 v17, 0x80000000, v17
	s_delay_alu instid0(VALU_DEP_4) | instskip(NEXT) | instid1(VALU_DEP_1)
	v_lshlrev_b32_e32 v18, 20, v18
	v_and_b32_e32 v18, 0x700000, v18
	s_delay_alu instid0(VALU_DEP_1)
	v_or3_b32 v2, v18, v17, v2
.LBB4_3184:                             ;   in Loop: Header=BB4_2678 Depth=3
	s_or_b32 exec_lo, exec_lo, s45
.LBB4_3185:                             ;   in Loop: Header=BB4_2678 Depth=3
	s_delay_alu instid0(SALU_CYCLE_1)
	s_or_b32 exec_lo, exec_lo, s44
.LBB4_3186:                             ;   in Loop: Header=BB4_2678 Depth=3
	s_delay_alu instid0(SALU_CYCLE_1) | instskip(NEXT) | instid1(VALU_DEP_1)
	s_or_b32 exec_lo, exec_lo, s13
	v_add_f32_e32 v16, v16, v2
                                        ; implicit-def: $vgpr22
	s_mov_b32 s13, exec_lo
	s_delay_alu instid0(VALU_DEP_1) | instskip(SKIP_1) | instid1(VALU_DEP_2)
	v_and_b32_e32 v2, 0x7f800000, v16
	v_lshrrev_b32_e32 v17, 24, v16
	v_cmpx_ne_u64_e32 0x7f800000, v[2:3]
	s_xor_b32 s44, exec_lo, s13
	s_cbranch_execz .LBB4_3200
; %bb.3187:                             ;   in Loop: Header=BB4_2678 Depth=3
	v_and_b32_e32 v2, 0x7fffffff, v16
	v_and_b32_e32 v23, 0x80, v17
                                        ; implicit-def: $vgpr22
	s_mov_b32 s13, exec_lo
	s_delay_alu instid0(VALU_DEP_2)
	v_cmpx_gt_u64_e32 0x43e00001, v[2:3]
	s_xor_b32 s45, exec_lo, s13
	s_cbranch_execz .LBB4_3197
; %bb.3188:                             ;   in Loop: Header=BB4_2678 Depth=3
	v_mov_b32_e32 v22, 0
	s_mov_b32 s74, exec_lo
	v_cmpx_ne_u32_e32 0, v16
	s_cbranch_execz .LBB4_3196
; %bb.3189:                             ;   in Loop: Header=BB4_2678 Depth=3
	v_bfe_u32 v22, v16, 23, 8
	s_delay_alu instid0(VALU_DEP_1) | instskip(SKIP_1) | instid1(VALU_DEP_2)
	v_sub_nc_u32_e32 v2, 0x79, v22
	v_cmp_gt_u32_e32 vcc_lo, 0x7a, v22
	v_cndmask_b32_e32 v2, 0, v2, vcc_lo
	v_cmp_eq_u32_e32 vcc_lo, 0, v22
	s_delay_alu instid0(VALU_DEP_2) | instskip(SKIP_1) | instid1(VALU_DEP_2)
	v_cndmask_b32_e64 v24, v2, 0x78, vcc_lo
	v_and_b32_e32 v2, 0x7fffff, v16
	v_add_nc_u32_e32 v16, 20, v24
	s_delay_alu instid0(VALU_DEP_2) | instskip(SKIP_1) | instid1(VALU_DEP_3)
	v_or_b32_e32 v18, 0x800000, v2
	v_add_nc_u32_e32 v19, 19, v24
	v_lshlrev_b64_e64 v[16:17], v16, -1
	s_delay_alu instid0(VALU_DEP_3) | instskip(NEXT) | instid1(VALU_DEP_3)
	v_cndmask_b32_e32 v2, v18, v2, vcc_lo
	v_lshlrev_b64_e64 v[18:19], v19, 1
	s_delay_alu instid0(VALU_DEP_3) | instskip(NEXT) | instid1(VALU_DEP_3)
	v_bfi_b32 v27, v17, 0, 0
	v_bfi_b32 v26, v16, 0, v2
	v_lshrrev_b64 v[16:17], v24, v[2:3]
	s_delay_alu instid0(VALU_DEP_2) | instskip(NEXT) | instid1(VALU_DEP_2)
	v_cmp_eq_u64_e64 s13, v[26:27], v[18:19]
	v_mov_b64_e32 v[18:19], v[16:17]
	s_and_saveexec_b32 s75, s13
; %bb.3190:                             ;   in Loop: Header=BB4_2678 Depth=3
	v_bfe_u32 v2, v16, 20, 1
	s_delay_alu instid0(VALU_DEP_1) | instskip(NEXT) | instid1(VALU_DEP_1)
	v_add_nc_u64_e32 v[18:19], v[16:17], v[2:3]
	v_add_nc_u64_e32 v[18:19], -1, v[18:19]
; %bb.3191:                             ;   in Loop: Header=BB4_2678 Depth=3
	s_or_b32 exec_lo, exec_lo, s75
	v_add_nc_u32_e32 v2, 0xffffff81, v22
	v_lshrrev_b32_e32 v17, 23, v16
	s_mov_b32 s13, exec_lo
	s_delay_alu instid0(VALU_DEP_2) | instskip(NEXT) | instid1(VALU_DEP_1)
	v_cndmask_b32_e64 v2, v2, 0xffffff82, vcc_lo
	v_add3_u32 v19, v24, v2, v17
	v_and_b32_e32 v2, 0xfffff, v18
                                        ; implicit-def: $vgpr18
	s_delay_alu instid0(VALU_DEP_1) | instskip(NEXT) | instid1(VALU_DEP_1)
	v_dual_add_nc_u32 v22, 6, v19 :: v_dual_add_nc_u32 v2, v2, v16
                                        ; implicit-def: $vgpr16_vgpr17
	v_cmpx_ne_u32_e32 0, v22
	s_xor_b32 s13, exec_lo, s13
; %bb.3192:                             ;   in Loop: Header=BB4_2678 Depth=3
	s_delay_alu instid0(VALU_DEP_2) | instskip(SKIP_1) | instid1(VALU_DEP_1)
	v_cmp_lt_u64_e32 vcc_lo, 0xffffff, v[2:3]
	v_add_nc_u32_e32 v16, 7, v19
	v_cndmask_b32_e32 v18, v22, v16, vcc_lo
	v_cndmask_b32_e64 v16, 0, 1, vcc_lo
	s_delay_alu instid0(VALU_DEP_1)
	v_lshrrev_b64 v[16:17], v16, v[2:3]
; %bb.3193:                             ;   in Loop: Header=BB4_2678 Depth=3
	s_and_not1_saveexec_b32 s13, s13
; %bb.3194:                             ;   in Loop: Header=BB4_2678 Depth=3
	v_mov_b64_e32 v[16:17], v[2:3]
	v_bfe_u32 v18, v2, 23, 1
; %bb.3195:                             ;   in Loop: Header=BB4_2678 Depth=3
	s_or_b32 exec_lo, exec_lo, s13
	s_delay_alu instid0(VALU_DEP_2) | instskip(NEXT) | instid1(VALU_DEP_2)
	v_lshrrev_b64 v[16:17], 20, v[16:17]
	v_cmp_gt_i32_e32 vcc_lo, 16, v18
	v_min_i32_e32 v2, 15, v18
	v_cmp_eq_u32_e64 s13, 0, v18
	s_delay_alu instid0(VALU_DEP_2) | instskip(SKIP_1) | instid1(VALU_DEP_2)
	v_dual_cndmask_b32 v17, 0, v17 :: v_dual_lshlrev_b32 v2, 3, v2
	v_cndmask_b32_e32 v16, 7, v16, vcc_lo
	v_and_b32_e32 v2, 0xf8, v2
	s_delay_alu instid0(VALU_DEP_2) | instskip(NEXT) | instid1(VALU_DEP_2)
	v_cmp_eq_u64_e32 vcc_lo, 0, v[16:17]
	v_and_or_b32 v2, v16, 7, v2
	s_and_b32 s13, s13, vcc_lo
	s_delay_alu instid0(VALU_DEP_1) | instid1(SALU_CYCLE_1)
	v_cndmask_b32_e64 v2, v2, 0, s13
	s_delay_alu instid0(VALU_DEP_1)
	v_or_b32_e32 v22, v2, v23
.LBB4_3196:                             ;   in Loop: Header=BB4_2678 Depth=3
	s_or_b32 exec_lo, exec_lo, s74
                                        ; implicit-def: $vgpr23
.LBB4_3197:                             ;   in Loop: Header=BB4_2678 Depth=3
	s_and_not1_saveexec_b32 s13, s45
; %bb.3198:                             ;   in Loop: Header=BB4_2678 Depth=3
	v_or_b32_e32 v22, 0x7e, v23
; %bb.3199:                             ;   in Loop: Header=BB4_2678 Depth=3
	s_or_b32 exec_lo, exec_lo, s13
                                        ; implicit-def: $vgpr17
.LBB4_3200:                             ;   in Loop: Header=BB4_2678 Depth=3
	s_and_not1_saveexec_b32 s13, s44
; %bb.3201:                             ;   in Loop: Header=BB4_2678 Depth=3
	v_or_b32_e32 v22, 0x7f, v17
; %bb.3202:                             ;   in Loop: Header=BB4_2678 Depth=3
	s_or_b32 exec_lo, exec_lo, s13
	v_lshrrev_b16 v2, 8, v12
	v_dual_mov_b32 v18, 0 :: v_dual_mov_b32 v19, 0
	s_mov_b32 s13, exec_lo
	s_delay_alu instid0(VALU_DEP_2)
	v_cmpx_ne_u16_e32 0, v2
	s_cbranch_execz .LBB4_3210
; %bb.3203:                             ;   in Loop: Header=BB4_2678 Depth=3
	v_bfrev_b32_e32 v19, 1
	s_mov_b32 s44, exec_lo
	v_cmpx_ne_u16_e32 0x80, v2
	s_cbranch_execz .LBB4_3209
; %bb.3204:                             ;   in Loop: Header=BB4_2678 Depth=3
	v_and_b32_e32 v2, 0xffff, v2
	v_mov_b32_e32 v19, 0x7f800001
	s_mov_b32 s45, exec_lo
	s_delay_alu instid0(VALU_DEP_2) | instskip(NEXT) | instid1(VALU_DEP_1)
	v_and_b32_e32 v16, 0x7f, v2
	v_cmpx_ne_u32_e32 0x7f, v16
	s_cbranch_execz .LBB4_3208
; %bb.3205:                             ;   in Loop: Header=BB4_2678 Depth=3
	v_dual_lshrrev_b32 v19, 3, v16 :: v_dual_bitop2_b32 v2, 7, v2 bitop3:0x40
	v_cmp_gt_u32_e32 vcc_lo, 8, v16
	s_delay_alu instid0(VALU_DEP_2)
	v_mov_b64_e32 v[16:17], v[2:3]
	s_and_saveexec_b32 s74, vcc_lo
; %bb.3206:                             ;   in Loop: Header=BB4_2678 Depth=3
	v_clz_i32_u32_e32 v16, v2
	s_delay_alu instid0(VALU_DEP_1) | instskip(NEXT) | instid1(VALU_DEP_1)
	v_min_u32_e32 v19, 32, v16
	v_subrev_nc_u32_e32 v16, 28, v19
	s_delay_alu instid0(VALU_DEP_1) | instskip(NEXT) | instid1(VALU_DEP_1)
	v_lshlrev_b64_e32 v[16:17], v16, v[2:3]
	v_dual_sub_nc_u32 v19, 29, v19 :: v_dual_bitop2_b32 v16, 7, v16 bitop3:0x40
; %bb.3207:                             ;   in Loop: Header=BB4_2678 Depth=3
	s_or_b32 exec_lo, exec_lo, s74
	v_lshlrev_b32_e32 v2, 16, v12
	s_delay_alu instid0(VALU_DEP_2) | instskip(NEXT) | instid1(VALU_DEP_3)
	v_lshlrev_b32_e32 v16, 20, v16
	v_lshl_add_u32 v17, v19, 23, 0x3c000000
	s_delay_alu instid0(VALU_DEP_3) | instskip(NEXT) | instid1(VALU_DEP_1)
	v_and_b32_e32 v2, 0x80000000, v2
	v_or3_b32 v19, v16, v2, v17
.LBB4_3208:                             ;   in Loop: Header=BB4_2678 Depth=3
	s_or_b32 exec_lo, exec_lo, s45
.LBB4_3209:                             ;   in Loop: Header=BB4_2678 Depth=3
	s_delay_alu instid0(SALU_CYCLE_1)
	s_or_b32 exec_lo, exec_lo, s44
.LBB4_3210:                             ;   in Loop: Header=BB4_2678 Depth=3
	s_delay_alu instid0(SALU_CYCLE_1) | instskip(SKIP_2) | instid1(VALU_DEP_1)
	s_or_b32 exec_lo, exec_lo, s13
	v_lshrrev_b16 v2, 8, v8
	s_mov_b32 s13, exec_lo
	v_cmpx_ne_u16_e32 0, v2
	s_cbranch_execz .LBB4_3218
; %bb.3211:                             ;   in Loop: Header=BB4_2678 Depth=3
	v_bfrev_b32_e32 v18, 1
	s_mov_b32 s44, exec_lo
	v_cmpx_ne_u16_e32 0x80, v2
	s_cbranch_execz .LBB4_3217
; %bb.3212:                             ;   in Loop: Header=BB4_2678 Depth=3
	v_and_b32_e32 v2, 0xffff, v2
	v_mov_b32_e32 v18, 0x7f800001
	s_mov_b32 s45, exec_lo
	s_delay_alu instid0(VALU_DEP_2) | instskip(NEXT) | instid1(VALU_DEP_1)
	v_and_b32_e32 v16, 0x7f, v2
	v_cmpx_ne_u32_e32 0x7f, v16
	s_cbranch_execz .LBB4_3216
; %bb.3213:                             ;   in Loop: Header=BB4_2678 Depth=3
	v_dual_lshrrev_b32 v18, 3, v16 :: v_dual_bitop2_b32 v2, 7, v2 bitop3:0x40
	v_cmp_gt_u32_e32 vcc_lo, 8, v16
	s_delay_alu instid0(VALU_DEP_2)
	v_mov_b64_e32 v[16:17], v[2:3]
	s_and_saveexec_b32 s74, vcc_lo
; %bb.3214:                             ;   in Loop: Header=BB4_2678 Depth=3
	v_clz_i32_u32_e32 v16, v2
	s_delay_alu instid0(VALU_DEP_1) | instskip(NEXT) | instid1(VALU_DEP_1)
	v_min_u32_e32 v18, 32, v16
	v_subrev_nc_u32_e32 v16, 28, v18
	s_delay_alu instid0(VALU_DEP_1) | instskip(NEXT) | instid1(VALU_DEP_1)
	v_lshlrev_b64_e32 v[16:17], v16, v[2:3]
	v_dual_sub_nc_u32 v18, 29, v18 :: v_dual_bitop2_b32 v16, 7, v16 bitop3:0x40
; %bb.3215:                             ;   in Loop: Header=BB4_2678 Depth=3
	s_or_b32 exec_lo, exec_lo, s74
	v_lshlrev_b32_e32 v2, 16, v8
	s_delay_alu instid0(VALU_DEP_2) | instskip(NEXT) | instid1(VALU_DEP_3)
	v_lshlrev_b32_e32 v16, 20, v16
	v_lshl_add_u32 v17, v18, 23, 0x3c000000
	s_delay_alu instid0(VALU_DEP_3) | instskip(NEXT) | instid1(VALU_DEP_1)
	v_and_b32_e32 v2, 0x80000000, v2
	v_or3_b32 v18, v16, v2, v17
.LBB4_3216:                             ;   in Loop: Header=BB4_2678 Depth=3
	s_or_b32 exec_lo, exec_lo, s45
.LBB4_3217:                             ;   in Loop: Header=BB4_2678 Depth=3
	s_delay_alu instid0(SALU_CYCLE_1)
	s_or_b32 exec_lo, exec_lo, s44
.LBB4_3218:                             ;   in Loop: Header=BB4_2678 Depth=3
	s_delay_alu instid0(SALU_CYCLE_1) | instskip(NEXT) | instid1(VALU_DEP_1)
	s_or_b32 exec_lo, exec_lo, s13
	v_add_f32_e32 v16, v19, v18
                                        ; implicit-def: $vgpr23
	s_mov_b32 s13, exec_lo
	s_delay_alu instid0(VALU_DEP_1) | instskip(SKIP_1) | instid1(VALU_DEP_2)
	v_and_b32_e32 v2, 0x7f800000, v16
	v_lshrrev_b32_e32 v17, 24, v16
	v_cmpx_ne_u64_e32 0x7f800000, v[2:3]
	s_xor_b32 s44, exec_lo, s13
	s_cbranch_execz .LBB4_3232
; %bb.3219:                             ;   in Loop: Header=BB4_2678 Depth=3
	v_and_b32_e32 v2, 0x7fffffff, v16
	v_and_b32_e32 v26, 0x80, v17
                                        ; implicit-def: $vgpr23
	s_mov_b32 s13, exec_lo
	s_delay_alu instid0(VALU_DEP_2)
	v_cmpx_gt_u64_e32 0x43e00001, v[2:3]
	s_xor_b32 s45, exec_lo, s13
	s_cbranch_execz .LBB4_3229
; %bb.3220:                             ;   in Loop: Header=BB4_2678 Depth=3
	v_mov_b32_e32 v23, 0
	s_mov_b32 s74, exec_lo
	v_cmpx_ne_u32_e32 0, v16
	s_cbranch_execz .LBB4_3228
; %bb.3221:                             ;   in Loop: Header=BB4_2678 Depth=3
	v_bfe_u32 v23, v16, 23, 8
	s_delay_alu instid0(VALU_DEP_1) | instskip(SKIP_1) | instid1(VALU_DEP_2)
	v_sub_nc_u32_e32 v2, 0x79, v23
	v_cmp_gt_u32_e32 vcc_lo, 0x7a, v23
	v_cndmask_b32_e32 v2, 0, v2, vcc_lo
	v_cmp_eq_u32_e32 vcc_lo, 0, v23
	s_delay_alu instid0(VALU_DEP_2) | instskip(SKIP_1) | instid1(VALU_DEP_2)
	v_cndmask_b32_e64 v24, v2, 0x78, vcc_lo
	v_and_b32_e32 v2, 0x7fffff, v16
	v_add_nc_u32_e32 v16, 20, v24
	s_delay_alu instid0(VALU_DEP_2) | instskip(SKIP_1) | instid1(VALU_DEP_3)
	v_or_b32_e32 v18, 0x800000, v2
	v_add_nc_u32_e32 v19, 19, v24
	v_lshlrev_b64_e64 v[16:17], v16, -1
	s_delay_alu instid0(VALU_DEP_3) | instskip(NEXT) | instid1(VALU_DEP_3)
	v_cndmask_b32_e32 v2, v18, v2, vcc_lo
	v_lshlrev_b64_e64 v[18:19], v19, 1
	s_delay_alu instid0(VALU_DEP_3) | instskip(NEXT) | instid1(VALU_DEP_3)
	v_bfi_b32 v29, v17, 0, 0
	v_bfi_b32 v28, v16, 0, v2
	v_lshrrev_b64 v[16:17], v24, v[2:3]
	s_delay_alu instid0(VALU_DEP_2) | instskip(NEXT) | instid1(VALU_DEP_2)
	v_cmp_eq_u64_e64 s13, v[28:29], v[18:19]
	v_mov_b64_e32 v[18:19], v[16:17]
	s_and_saveexec_b32 s75, s13
; %bb.3222:                             ;   in Loop: Header=BB4_2678 Depth=3
	v_bfe_u32 v2, v16, 20, 1
	s_delay_alu instid0(VALU_DEP_1) | instskip(NEXT) | instid1(VALU_DEP_1)
	v_add_nc_u64_e32 v[18:19], v[16:17], v[2:3]
	v_add_nc_u64_e32 v[18:19], -1, v[18:19]
; %bb.3223:                             ;   in Loop: Header=BB4_2678 Depth=3
	s_or_b32 exec_lo, exec_lo, s75
	v_add_nc_u32_e32 v2, 0xffffff81, v23
	v_lshrrev_b32_e32 v17, 23, v16
	s_mov_b32 s13, exec_lo
	s_delay_alu instid0(VALU_DEP_2) | instskip(NEXT) | instid1(VALU_DEP_1)
	v_cndmask_b32_e64 v2, v2, 0xffffff82, vcc_lo
	v_add3_u32 v19, v24, v2, v17
	v_and_b32_e32 v2, 0xfffff, v18
                                        ; implicit-def: $vgpr18
	s_delay_alu instid0(VALU_DEP_1) | instskip(NEXT) | instid1(VALU_DEP_1)
	v_dual_add_nc_u32 v23, 6, v19 :: v_dual_add_nc_u32 v2, v2, v16
                                        ; implicit-def: $vgpr16_vgpr17
	v_cmpx_ne_u32_e32 0, v23
	s_xor_b32 s13, exec_lo, s13
; %bb.3224:                             ;   in Loop: Header=BB4_2678 Depth=3
	s_delay_alu instid0(VALU_DEP_2) | instskip(SKIP_1) | instid1(VALU_DEP_1)
	v_cmp_lt_u64_e32 vcc_lo, 0xffffff, v[2:3]
	v_add_nc_u32_e32 v16, 7, v19
	v_cndmask_b32_e32 v18, v23, v16, vcc_lo
	v_cndmask_b32_e64 v16, 0, 1, vcc_lo
	s_delay_alu instid0(VALU_DEP_1)
	v_lshrrev_b64 v[16:17], v16, v[2:3]
; %bb.3225:                             ;   in Loop: Header=BB4_2678 Depth=3
	s_and_not1_saveexec_b32 s13, s13
; %bb.3226:                             ;   in Loop: Header=BB4_2678 Depth=3
	v_mov_b64_e32 v[16:17], v[2:3]
	v_bfe_u32 v18, v2, 23, 1
; %bb.3227:                             ;   in Loop: Header=BB4_2678 Depth=3
	s_or_b32 exec_lo, exec_lo, s13
	s_delay_alu instid0(VALU_DEP_2) | instskip(NEXT) | instid1(VALU_DEP_2)
	v_lshrrev_b64 v[16:17], 20, v[16:17]
	v_cmp_gt_i32_e32 vcc_lo, 16, v18
	v_min_i32_e32 v2, 15, v18
	v_cmp_eq_u32_e64 s13, 0, v18
	s_delay_alu instid0(VALU_DEP_2) | instskip(SKIP_1) | instid1(VALU_DEP_2)
	v_dual_cndmask_b32 v17, 0, v17 :: v_dual_lshlrev_b32 v2, 3, v2
	v_cndmask_b32_e32 v16, 7, v16, vcc_lo
	v_and_b32_e32 v2, 0xf8, v2
	s_delay_alu instid0(VALU_DEP_2) | instskip(NEXT) | instid1(VALU_DEP_2)
	v_cmp_eq_u64_e32 vcc_lo, 0, v[16:17]
	v_and_or_b32 v2, v16, 7, v2
	s_and_b32 s13, s13, vcc_lo
	s_delay_alu instid0(VALU_DEP_1) | instid1(SALU_CYCLE_1)
	v_cndmask_b32_e64 v2, v2, 0, s13
	s_delay_alu instid0(VALU_DEP_1)
	v_or_b32_e32 v23, v2, v26
.LBB4_3228:                             ;   in Loop: Header=BB4_2678 Depth=3
	s_or_b32 exec_lo, exec_lo, s74
                                        ; implicit-def: $vgpr26
.LBB4_3229:                             ;   in Loop: Header=BB4_2678 Depth=3
	s_and_not1_saveexec_b32 s13, s45
; %bb.3230:                             ;   in Loop: Header=BB4_2678 Depth=3
	v_or_b32_e32 v23, 0x7e, v26
; %bb.3231:                             ;   in Loop: Header=BB4_2678 Depth=3
	s_or_b32 exec_lo, exec_lo, s13
                                        ; implicit-def: $vgpr17
.LBB4_3232:                             ;   in Loop: Header=BB4_2678 Depth=3
	s_and_not1_saveexec_b32 s13, s44
; %bb.3233:                             ;   in Loop: Header=BB4_2678 Depth=3
	v_or_b32_e32 v23, 0x7f, v17
; %bb.3234:                             ;   in Loop: Header=BB4_2678 Depth=3
	s_or_b32 exec_lo, exec_lo, s13
	v_dual_lshrrev_b32 v24, 16, v12 :: v_dual_mov_b32 v18, 0
	v_mov_b32_e32 v19, 0
	s_mov_b32 s13, exec_lo
	s_delay_alu instid0(VALU_DEP_2) | instskip(NEXT) | instid1(VALU_DEP_1)
	v_and_b32_e32 v2, 0xff, v24
	v_cmpx_ne_u16_e32 0, v2
	s_cbranch_execz .LBB4_3242
; %bb.3235:                             ;   in Loop: Header=BB4_2678 Depth=3
	v_bfrev_b32_e32 v19, 1
	s_mov_b32 s44, exec_lo
	v_cmpx_ne_u16_e32 0x80, v2
	s_cbranch_execz .LBB4_3241
; %bb.3236:                             ;   in Loop: Header=BB4_2678 Depth=3
	v_bfe_u32 v16, v12, 16, 7
	v_mov_b32_e32 v19, 0x7f800001
	s_mov_b32 s45, exec_lo
	s_delay_alu instid0(VALU_DEP_2)
	v_cmpx_ne_u32_e32 0x7f, v16
	s_cbranch_execz .LBB4_3240
; %bb.3237:                             ;   in Loop: Header=BB4_2678 Depth=3
	v_and_b32_e32 v2, 7, v24
	v_lshrrev_b32_e32 v19, 3, v16
	v_cmp_gt_u32_e32 vcc_lo, 8, v16
	s_delay_alu instid0(VALU_DEP_3)
	v_mov_b64_e32 v[16:17], v[2:3]
	s_and_saveexec_b32 s74, vcc_lo
; %bb.3238:                             ;   in Loop: Header=BB4_2678 Depth=3
	v_clz_i32_u32_e32 v16, v2
	s_delay_alu instid0(VALU_DEP_1) | instskip(NEXT) | instid1(VALU_DEP_1)
	v_min_u32_e32 v19, 32, v16
	v_subrev_nc_u32_e32 v16, 28, v19
	s_delay_alu instid0(VALU_DEP_1) | instskip(NEXT) | instid1(VALU_DEP_1)
	v_lshlrev_b64_e32 v[16:17], v16, v[2:3]
	v_dual_sub_nc_u32 v19, 29, v19 :: v_dual_bitop2_b32 v16, 7, v16 bitop3:0x40
; %bb.3239:                             ;   in Loop: Header=BB4_2678 Depth=3
	s_or_b32 exec_lo, exec_lo, s74
	v_lshlrev_b32_e32 v2, 24, v24
	s_delay_alu instid0(VALU_DEP_2) | instskip(NEXT) | instid1(VALU_DEP_3)
	v_lshlrev_b32_e32 v16, 20, v16
	v_lshl_add_u32 v17, v19, 23, 0x3c000000
	s_delay_alu instid0(VALU_DEP_3) | instskip(NEXT) | instid1(VALU_DEP_1)
	v_and_b32_e32 v2, 0x80000000, v2
	v_or3_b32 v19, v16, v2, v17
.LBB4_3240:                             ;   in Loop: Header=BB4_2678 Depth=3
	s_or_b32 exec_lo, exec_lo, s45
.LBB4_3241:                             ;   in Loop: Header=BB4_2678 Depth=3
	s_delay_alu instid0(SALU_CYCLE_1)
	s_or_b32 exec_lo, exec_lo, s44
.LBB4_3242:                             ;   in Loop: Header=BB4_2678 Depth=3
	s_delay_alu instid0(SALU_CYCLE_1) | instskip(SKIP_2) | instid1(VALU_DEP_1)
	s_or_b32 exec_lo, exec_lo, s13
	v_lshrrev_b32_e32 v2, 16, v8
	s_mov_b32 s13, exec_lo
	v_and_b32_e32 v16, 0xff, v2
	s_delay_alu instid0(VALU_DEP_1)
	v_cmpx_ne_u16_e32 0, v16
	s_cbranch_execz .LBB4_3250
; %bb.3243:                             ;   in Loop: Header=BB4_2678 Depth=3
	v_bfrev_b32_e32 v18, 1
	s_mov_b32 s44, exec_lo
	v_cmpx_ne_u16_e32 0x80, v16
	s_cbranch_execz .LBB4_3249
; %bb.3244:                             ;   in Loop: Header=BB4_2678 Depth=3
	v_bfe_u32 v16, v8, 16, 7
	v_mov_b32_e32 v18, 0x7f800001
	s_mov_b32 s45, exec_lo
	s_delay_alu instid0(VALU_DEP_2)
	v_cmpx_ne_u32_e32 0x7f, v16
	s_cbranch_execz .LBB4_3248
; %bb.3245:                             ;   in Loop: Header=BB4_2678 Depth=3
	v_dual_lshrrev_b32 v18, 3, v16 :: v_dual_bitop2_b32 v2, 7, v2 bitop3:0x40
	v_cmp_gt_u32_e32 vcc_lo, 8, v16
	s_delay_alu instid0(VALU_DEP_2)
	v_mov_b64_e32 v[16:17], v[2:3]
	s_and_saveexec_b32 s74, vcc_lo
; %bb.3246:                             ;   in Loop: Header=BB4_2678 Depth=3
	v_clz_i32_u32_e32 v16, v2
	s_delay_alu instid0(VALU_DEP_1) | instskip(NEXT) | instid1(VALU_DEP_1)
	v_min_u32_e32 v18, 32, v16
	v_subrev_nc_u32_e32 v16, 28, v18
	s_delay_alu instid0(VALU_DEP_1) | instskip(NEXT) | instid1(VALU_DEP_1)
	v_lshlrev_b64_e32 v[16:17], v16, v[2:3]
	v_dual_sub_nc_u32 v18, 29, v18 :: v_dual_bitop2_b32 v16, 7, v16 bitop3:0x40
; %bb.3247:                             ;   in Loop: Header=BB4_2678 Depth=3
	s_or_b32 exec_lo, exec_lo, s74
	v_lshlrev_b32_e32 v2, 8, v8
	s_delay_alu instid0(VALU_DEP_2) | instskip(NEXT) | instid1(VALU_DEP_3)
	v_lshlrev_b32_e32 v16, 20, v16
	v_lshl_add_u32 v17, v18, 23, 0x3c000000
	s_delay_alu instid0(VALU_DEP_3) | instskip(NEXT) | instid1(VALU_DEP_1)
	v_and_b32_e32 v2, 0x80000000, v2
	v_or3_b32 v18, v16, v2, v17
.LBB4_3248:                             ;   in Loop: Header=BB4_2678 Depth=3
	s_or_b32 exec_lo, exec_lo, s45
.LBB4_3249:                             ;   in Loop: Header=BB4_2678 Depth=3
	s_delay_alu instid0(SALU_CYCLE_1)
	s_or_b32 exec_lo, exec_lo, s44
.LBB4_3250:                             ;   in Loop: Header=BB4_2678 Depth=3
	s_delay_alu instid0(SALU_CYCLE_1) | instskip(NEXT) | instid1(VALU_DEP_1)
	s_or_b32 exec_lo, exec_lo, s13
	v_add_f32_e32 v16, v19, v18
                                        ; implicit-def: $vgpr123
	s_mov_b32 s13, exec_lo
	s_delay_alu instid0(VALU_DEP_1) | instskip(SKIP_1) | instid1(VALU_DEP_2)
	v_and_b32_e32 v2, 0x7f800000, v16
	v_lshrrev_b32_e32 v17, 24, v16
	v_cmpx_ne_u64_e32 0x7f800000, v[2:3]
	s_xor_b32 s44, exec_lo, s13
	s_cbranch_execz .LBB4_3264
; %bb.3251:                             ;   in Loop: Header=BB4_2678 Depth=3
	v_and_b32_e32 v2, 0x7fffffff, v16
	v_and_b32_e32 v26, 0x80, v17
                                        ; implicit-def: $vgpr123
	s_mov_b32 s13, exec_lo
	s_delay_alu instid0(VALU_DEP_2)
	v_cmpx_gt_u64_e32 0x43e00001, v[2:3]
	s_xor_b32 s45, exec_lo, s13
	s_cbranch_execz .LBB4_3261
; %bb.3252:                             ;   in Loop: Header=BB4_2678 Depth=3
	v_mov_b32_e32 v123, 0
	s_mov_b32 s74, exec_lo
	v_cmpx_ne_u32_e32 0, v16
	s_cbranch_execz .LBB4_3260
; %bb.3253:                             ;   in Loop: Header=BB4_2678 Depth=3
	v_bfe_u32 v27, v16, 23, 8
	v_and_b32_e32 v2, 0x7fffff, v16
	s_delay_alu instid0(VALU_DEP_2) | instskip(SKIP_2) | instid1(VALU_DEP_4)
	v_cmp_gt_u32_e64 s13, 0x7a, v27
	v_sub_nc_u32_e32 v16, 0x79, v27
	v_cmp_eq_u32_e32 vcc_lo, 0, v27
	v_or_b32_e32 v17, 0x800000, v2
	s_delay_alu instid0(VALU_DEP_1) | instskip(NEXT) | instid1(VALU_DEP_1)
	v_dual_cndmask_b32 v16, 0, v16, s13 :: v_dual_cndmask_b32 v2, v17, v2, vcc_lo
	v_cndmask_b32_e64 v24, v16, 0x78, vcc_lo
	s_delay_alu instid0(VALU_DEP_1) | instskip(NEXT) | instid1(VALU_DEP_1)
	v_dual_add_nc_u32 v16, 20, v24 :: v_dual_add_nc_u32 v18, 19, v24
	v_lshlrev_b64_e64 v[16:17], v16, -1
	s_delay_alu instid0(VALU_DEP_2) | instskip(NEXT) | instid1(VALU_DEP_2)
	v_lshlrev_b64_e64 v[18:19], v18, 1
	v_bfi_b32 v17, v17, 0, 0
	s_delay_alu instid0(VALU_DEP_3) | instskip(NEXT) | instid1(VALU_DEP_1)
	v_bfi_b32 v16, v16, 0, v2
	v_cmp_eq_u64_e64 s13, v[16:17], v[18:19]
	v_lshrrev_b64 v[16:17], v24, v[2:3]
	s_delay_alu instid0(VALU_DEP_1)
	v_mov_b64_e32 v[18:19], v[16:17]
	s_and_saveexec_b32 s75, s13
; %bb.3254:                             ;   in Loop: Header=BB4_2678 Depth=3
	v_bfe_u32 v2, v16, 20, 1
	s_delay_alu instid0(VALU_DEP_1) | instskip(NEXT) | instid1(VALU_DEP_1)
	v_add_nc_u64_e32 v[18:19], v[16:17], v[2:3]
	v_add_nc_u64_e32 v[18:19], -1, v[18:19]
; %bb.3255:                             ;   in Loop: Header=BB4_2678 Depth=3
	s_or_b32 exec_lo, exec_lo, s75
	v_add_nc_u32_e32 v2, 0xffffff81, v27
	v_lshrrev_b32_e32 v17, 23, v16
	s_mov_b32 s13, exec_lo
	s_delay_alu instid0(VALU_DEP_2) | instskip(NEXT) | instid1(VALU_DEP_1)
	v_cndmask_b32_e64 v2, v2, 0xffffff82, vcc_lo
	v_add3_u32 v19, v24, v2, v17
	v_and_b32_e32 v2, 0xfffff, v18
                                        ; implicit-def: $vgpr18
	s_delay_alu instid0(VALU_DEP_1) | instskip(NEXT) | instid1(VALU_DEP_1)
	v_dual_add_nc_u32 v24, 6, v19 :: v_dual_add_nc_u32 v2, v2, v16
                                        ; implicit-def: $vgpr16_vgpr17
	v_cmpx_ne_u32_e32 0, v24
	s_xor_b32 s13, exec_lo, s13
; %bb.3256:                             ;   in Loop: Header=BB4_2678 Depth=3
	s_delay_alu instid0(VALU_DEP_2) | instskip(SKIP_1) | instid1(VALU_DEP_1)
	v_cmp_lt_u64_e32 vcc_lo, 0xffffff, v[2:3]
	v_add_nc_u32_e32 v16, 7, v19
	v_cndmask_b32_e32 v18, v24, v16, vcc_lo
	v_cndmask_b32_e64 v16, 0, 1, vcc_lo
	s_delay_alu instid0(VALU_DEP_1)
	v_lshrrev_b64 v[16:17], v16, v[2:3]
; %bb.3257:                             ;   in Loop: Header=BB4_2678 Depth=3
	s_and_not1_saveexec_b32 s13, s13
; %bb.3258:                             ;   in Loop: Header=BB4_2678 Depth=3
	v_mov_b64_e32 v[16:17], v[2:3]
	v_bfe_u32 v18, v2, 23, 1
; %bb.3259:                             ;   in Loop: Header=BB4_2678 Depth=3
	s_or_b32 exec_lo, exec_lo, s13
	s_delay_alu instid0(VALU_DEP_2) | instskip(NEXT) | instid1(VALU_DEP_2)
	v_lshrrev_b64 v[16:17], 20, v[16:17]
	v_cmp_gt_i32_e32 vcc_lo, 16, v18
	v_min_i32_e32 v2, 15, v18
	v_cmp_eq_u32_e64 s13, 0, v18
	s_delay_alu instid0(VALU_DEP_2) | instskip(SKIP_1) | instid1(VALU_DEP_2)
	v_dual_cndmask_b32 v17, 0, v17 :: v_dual_lshlrev_b32 v2, 3, v2
	v_cndmask_b32_e32 v16, 7, v16, vcc_lo
	v_and_b32_e32 v2, 0xf8, v2
	s_delay_alu instid0(VALU_DEP_2) | instskip(NEXT) | instid1(VALU_DEP_2)
	v_cmp_eq_u64_e32 vcc_lo, 0, v[16:17]
	v_and_or_b32 v2, v16, 7, v2
	s_and_b32 s13, s13, vcc_lo
	s_delay_alu instid0(VALU_DEP_1) | instid1(SALU_CYCLE_1)
	v_cndmask_b32_e64 v2, v2, 0, s13
	s_delay_alu instid0(VALU_DEP_1)
	v_or_b32_e32 v123, v2, v26
.LBB4_3260:                             ;   in Loop: Header=BB4_2678 Depth=3
	s_or_b32 exec_lo, exec_lo, s74
                                        ; implicit-def: $vgpr26
.LBB4_3261:                             ;   in Loop: Header=BB4_2678 Depth=3
	s_and_not1_saveexec_b32 s13, s45
; %bb.3262:                             ;   in Loop: Header=BB4_2678 Depth=3
	v_or_b32_e32 v123, 0x7e, v26
; %bb.3263:                             ;   in Loop: Header=BB4_2678 Depth=3
	s_or_b32 exec_lo, exec_lo, s13
                                        ; implicit-def: $vgpr17
.LBB4_3264:                             ;   in Loop: Header=BB4_2678 Depth=3
	s_and_not1_saveexec_b32 s13, s44
; %bb.3265:                             ;   in Loop: Header=BB4_2678 Depth=3
	v_or_b32_e32 v123, 0x7f, v17
; %bb.3266:                             ;   in Loop: Header=BB4_2678 Depth=3
	s_or_b32 exec_lo, exec_lo, s13
	v_dual_mov_b32 v18, 0 :: v_dual_mov_b32 v19, 0
	s_mov_b32 s13, exec_lo
	v_cmpx_lt_u32_e32 0xffffff, v12
	s_cbranch_execz .LBB4_3274
; %bb.3267:                             ;   in Loop: Header=BB4_2678 Depth=3
	v_lshrrev_b32_e32 v24, 24, v12
	v_bfrev_b32_e32 v19, 1
	s_mov_b32 s44, exec_lo
	s_delay_alu instid0(VALU_DEP_2)
	v_cmpx_ne_u32_e32 0x80, v24
	s_cbranch_execz .LBB4_3273
; %bb.3268:                             ;   in Loop: Header=BB4_2678 Depth=3
	v_bfe_u32 v16, v12, 24, 7
	v_mov_b32_e32 v19, 0x7f800001
	s_mov_b32 s45, exec_lo
	s_delay_alu instid0(VALU_DEP_2)
	v_cmpx_ne_u32_e32 0x7f, v16
	s_cbranch_execz .LBB4_3272
; %bb.3269:                             ;   in Loop: Header=BB4_2678 Depth=3
	v_and_b32_e32 v2, 7, v24
	v_lshrrev_b32_e32 v19, 3, v16
	v_cmp_gt_u32_e32 vcc_lo, 8, v16
	s_delay_alu instid0(VALU_DEP_3)
	v_mov_b64_e32 v[16:17], v[2:3]
	s_and_saveexec_b32 s74, vcc_lo
; %bb.3270:                             ;   in Loop: Header=BB4_2678 Depth=3
	v_clz_i32_u32_e32 v16, v2
	s_delay_alu instid0(VALU_DEP_1) | instskip(NEXT) | instid1(VALU_DEP_1)
	v_min_u32_e32 v19, 32, v16
	v_subrev_nc_u32_e32 v16, 28, v19
	s_delay_alu instid0(VALU_DEP_1) | instskip(NEXT) | instid1(VALU_DEP_1)
	v_lshlrev_b64_e32 v[16:17], v16, v[2:3]
	v_dual_sub_nc_u32 v19, 29, v19 :: v_dual_bitop2_b32 v16, 7, v16 bitop3:0x40
; %bb.3271:                             ;   in Loop: Header=BB4_2678 Depth=3
	s_or_b32 exec_lo, exec_lo, s74
	v_lshlrev_b32_e32 v2, 24, v24
	s_delay_alu instid0(VALU_DEP_2) | instskip(NEXT) | instid1(VALU_DEP_3)
	v_lshlrev_b32_e32 v16, 20, v16
	v_lshl_add_u32 v17, v19, 23, 0x3c000000
	s_delay_alu instid0(VALU_DEP_3) | instskip(NEXT) | instid1(VALU_DEP_1)
	v_and_b32_e32 v2, 0x80000000, v2
	v_or3_b32 v19, v16, v2, v17
.LBB4_3272:                             ;   in Loop: Header=BB4_2678 Depth=3
	s_or_b32 exec_lo, exec_lo, s45
.LBB4_3273:                             ;   in Loop: Header=BB4_2678 Depth=3
	s_delay_alu instid0(SALU_CYCLE_1)
	s_or_b32 exec_lo, exec_lo, s44
.LBB4_3274:                             ;   in Loop: Header=BB4_2678 Depth=3
	s_delay_alu instid0(SALU_CYCLE_1) | instskip(NEXT) | instid1(SALU_CYCLE_1)
	s_or_b32 exec_lo, exec_lo, s13
	s_mov_b32 s13, exec_lo
	v_cmpx_lt_u32_e32 0xffffff, v8
	s_cbranch_execz .LBB4_3282
; %bb.3275:                             ;   in Loop: Header=BB4_2678 Depth=3
	v_lshrrev_b32_e32 v24, 24, v8
	v_bfrev_b32_e32 v18, 1
	s_mov_b32 s44, exec_lo
	s_delay_alu instid0(VALU_DEP_2)
	v_cmpx_ne_u32_e32 0x80, v24
	s_cbranch_execz .LBB4_3281
; %bb.3276:                             ;   in Loop: Header=BB4_2678 Depth=3
	v_bfe_u32 v16, v8, 24, 7
	v_mov_b32_e32 v18, 0x7f800001
	s_mov_b32 s45, exec_lo
	s_delay_alu instid0(VALU_DEP_2)
	v_cmpx_ne_u32_e32 0x7f, v16
	s_cbranch_execz .LBB4_3280
; %bb.3277:                             ;   in Loop: Header=BB4_2678 Depth=3
	v_and_b32_e32 v2, 7, v24
	v_lshrrev_b32_e32 v18, 3, v16
	v_cmp_gt_u32_e32 vcc_lo, 8, v16
	s_delay_alu instid0(VALU_DEP_3)
	v_mov_b64_e32 v[16:17], v[2:3]
	s_and_saveexec_b32 s74, vcc_lo
; %bb.3278:                             ;   in Loop: Header=BB4_2678 Depth=3
	v_clz_i32_u32_e32 v16, v2
	s_delay_alu instid0(VALU_DEP_1) | instskip(NEXT) | instid1(VALU_DEP_1)
	v_min_u32_e32 v18, 32, v16
	v_subrev_nc_u32_e32 v16, 28, v18
	s_delay_alu instid0(VALU_DEP_1) | instskip(NEXT) | instid1(VALU_DEP_1)
	v_lshlrev_b64_e32 v[16:17], v16, v[2:3]
	v_dual_sub_nc_u32 v18, 29, v18 :: v_dual_bitop2_b32 v16, 7, v16 bitop3:0x40
; %bb.3279:                             ;   in Loop: Header=BB4_2678 Depth=3
	s_or_b32 exec_lo, exec_lo, s74
	v_lshlrev_b32_e32 v2, 24, v24
	s_delay_alu instid0(VALU_DEP_2) | instskip(NEXT) | instid1(VALU_DEP_3)
	v_lshlrev_b32_e32 v16, 20, v16
	v_lshl_add_u32 v17, v18, 23, 0x3c000000
	s_delay_alu instid0(VALU_DEP_3) | instskip(NEXT) | instid1(VALU_DEP_1)
	v_and_b32_e32 v2, 0x80000000, v2
	v_or3_b32 v18, v16, v2, v17
.LBB4_3280:                             ;   in Loop: Header=BB4_2678 Depth=3
	s_or_b32 exec_lo, exec_lo, s45
.LBB4_3281:                             ;   in Loop: Header=BB4_2678 Depth=3
	s_delay_alu instid0(SALU_CYCLE_1)
	s_or_b32 exec_lo, exec_lo, s44
.LBB4_3282:                             ;   in Loop: Header=BB4_2678 Depth=3
	s_delay_alu instid0(SALU_CYCLE_1) | instskip(NEXT) | instid1(VALU_DEP_1)
	s_or_b32 exec_lo, exec_lo, s13
	v_add_f32_e32 v16, v19, v18
                                        ; implicit-def: $vgpr124
	s_mov_b32 s13, exec_lo
	s_delay_alu instid0(VALU_DEP_1) | instskip(SKIP_1) | instid1(VALU_DEP_2)
	v_and_b32_e32 v2, 0x7f800000, v16
	v_lshrrev_b32_e32 v17, 24, v16
	v_cmpx_ne_u64_e32 0x7f800000, v[2:3]
	s_xor_b32 s44, exec_lo, s13
	s_cbranch_execz .LBB4_3296
; %bb.3283:                             ;   in Loop: Header=BB4_2678 Depth=3
	v_and_b32_e32 v2, 0x7fffffff, v16
	v_and_b32_e32 v26, 0x80, v17
                                        ; implicit-def: $vgpr124
	s_mov_b32 s13, exec_lo
	s_delay_alu instid0(VALU_DEP_2)
	v_cmpx_gt_u64_e32 0x43e00001, v[2:3]
	s_xor_b32 s45, exec_lo, s13
	s_cbranch_execz .LBB4_3293
; %bb.3284:                             ;   in Loop: Header=BB4_2678 Depth=3
	v_mov_b32_e32 v124, 0
	s_mov_b32 s74, exec_lo
	v_cmpx_ne_u32_e32 0, v16
	s_cbranch_execz .LBB4_3292
; %bb.3285:                             ;   in Loop: Header=BB4_2678 Depth=3
	v_bfe_u32 v27, v16, 23, 8
	v_and_b32_e32 v2, 0x7fffff, v16
	s_delay_alu instid0(VALU_DEP_2) | instskip(SKIP_2) | instid1(VALU_DEP_4)
	v_cmp_gt_u32_e64 s13, 0x7a, v27
	v_sub_nc_u32_e32 v16, 0x79, v27
	v_cmp_eq_u32_e32 vcc_lo, 0, v27
	v_or_b32_e32 v17, 0x800000, v2
	s_delay_alu instid0(VALU_DEP_1) | instskip(NEXT) | instid1(VALU_DEP_1)
	v_dual_cndmask_b32 v16, 0, v16, s13 :: v_dual_cndmask_b32 v2, v17, v2, vcc_lo
	v_cndmask_b32_e64 v24, v16, 0x78, vcc_lo
	s_delay_alu instid0(VALU_DEP_1) | instskip(NEXT) | instid1(VALU_DEP_1)
	v_dual_add_nc_u32 v16, 20, v24 :: v_dual_add_nc_u32 v18, 19, v24
	v_lshlrev_b64_e64 v[16:17], v16, -1
	s_delay_alu instid0(VALU_DEP_2) | instskip(NEXT) | instid1(VALU_DEP_2)
	v_lshlrev_b64_e64 v[18:19], v18, 1
	v_bfi_b32 v17, v17, 0, 0
	s_delay_alu instid0(VALU_DEP_3) | instskip(NEXT) | instid1(VALU_DEP_1)
	v_bfi_b32 v16, v16, 0, v2
	v_cmp_eq_u64_e64 s13, v[16:17], v[18:19]
	v_lshrrev_b64 v[16:17], v24, v[2:3]
	s_delay_alu instid0(VALU_DEP_1)
	v_mov_b64_e32 v[18:19], v[16:17]
	s_and_saveexec_b32 s75, s13
; %bb.3286:                             ;   in Loop: Header=BB4_2678 Depth=3
	v_bfe_u32 v2, v16, 20, 1
	s_delay_alu instid0(VALU_DEP_1) | instskip(NEXT) | instid1(VALU_DEP_1)
	v_add_nc_u64_e32 v[18:19], v[16:17], v[2:3]
	v_add_nc_u64_e32 v[18:19], -1, v[18:19]
; %bb.3287:                             ;   in Loop: Header=BB4_2678 Depth=3
	s_or_b32 exec_lo, exec_lo, s75
	v_add_nc_u32_e32 v2, 0xffffff81, v27
	v_lshrrev_b32_e32 v17, 23, v16
	s_mov_b32 s13, exec_lo
	s_delay_alu instid0(VALU_DEP_2) | instskip(NEXT) | instid1(VALU_DEP_1)
	v_cndmask_b32_e64 v2, v2, 0xffffff82, vcc_lo
	v_add3_u32 v19, v24, v2, v17
	v_and_b32_e32 v2, 0xfffff, v18
                                        ; implicit-def: $vgpr18
	s_delay_alu instid0(VALU_DEP_1) | instskip(NEXT) | instid1(VALU_DEP_1)
	v_dual_add_nc_u32 v24, 6, v19 :: v_dual_add_nc_u32 v2, v2, v16
                                        ; implicit-def: $vgpr16_vgpr17
	v_cmpx_ne_u32_e32 0, v24
	s_xor_b32 s13, exec_lo, s13
; %bb.3288:                             ;   in Loop: Header=BB4_2678 Depth=3
	s_delay_alu instid0(VALU_DEP_2) | instskip(SKIP_1) | instid1(VALU_DEP_1)
	v_cmp_lt_u64_e32 vcc_lo, 0xffffff, v[2:3]
	v_add_nc_u32_e32 v16, 7, v19
	v_cndmask_b32_e32 v18, v24, v16, vcc_lo
	v_cndmask_b32_e64 v16, 0, 1, vcc_lo
	s_delay_alu instid0(VALU_DEP_1)
	v_lshrrev_b64 v[16:17], v16, v[2:3]
; %bb.3289:                             ;   in Loop: Header=BB4_2678 Depth=3
	s_and_not1_saveexec_b32 s13, s13
; %bb.3290:                             ;   in Loop: Header=BB4_2678 Depth=3
	v_mov_b64_e32 v[16:17], v[2:3]
	v_bfe_u32 v18, v2, 23, 1
; %bb.3291:                             ;   in Loop: Header=BB4_2678 Depth=3
	s_or_b32 exec_lo, exec_lo, s13
	s_delay_alu instid0(VALU_DEP_2) | instskip(NEXT) | instid1(VALU_DEP_2)
	v_lshrrev_b64 v[16:17], 20, v[16:17]
	v_cmp_gt_i32_e32 vcc_lo, 16, v18
	v_min_i32_e32 v2, 15, v18
	v_cmp_eq_u32_e64 s13, 0, v18
	s_delay_alu instid0(VALU_DEP_2) | instskip(SKIP_1) | instid1(VALU_DEP_2)
	v_dual_cndmask_b32 v17, 0, v17 :: v_dual_lshlrev_b32 v2, 3, v2
	v_cndmask_b32_e32 v16, 7, v16, vcc_lo
	v_and_b32_e32 v2, 0xf8, v2
	s_delay_alu instid0(VALU_DEP_2) | instskip(NEXT) | instid1(VALU_DEP_2)
	v_cmp_eq_u64_e32 vcc_lo, 0, v[16:17]
	v_and_or_b32 v2, v16, 7, v2
	s_and_b32 s13, s13, vcc_lo
	s_delay_alu instid0(VALU_DEP_1) | instid1(SALU_CYCLE_1)
	v_cndmask_b32_e64 v2, v2, 0, s13
	s_delay_alu instid0(VALU_DEP_1)
	v_or_b32_e32 v124, v2, v26
.LBB4_3292:                             ;   in Loop: Header=BB4_2678 Depth=3
	s_or_b32 exec_lo, exec_lo, s74
                                        ; implicit-def: $vgpr26
.LBB4_3293:                             ;   in Loop: Header=BB4_2678 Depth=3
	s_and_not1_saveexec_b32 s13, s45
; %bb.3294:                             ;   in Loop: Header=BB4_2678 Depth=3
	v_or_b32_e32 v124, 0x7e, v26
; %bb.3295:                             ;   in Loop: Header=BB4_2678 Depth=3
	s_or_b32 exec_lo, exec_lo, s13
                                        ; implicit-def: $vgpr17
.LBB4_3296:                             ;   in Loop: Header=BB4_2678 Depth=3
	s_and_not1_saveexec_b32 s13, s44
; %bb.3297:                             ;   in Loop: Header=BB4_2678 Depth=3
	v_or_b32_e32 v124, 0x7f, v17
; %bb.3298:                             ;   in Loop: Header=BB4_2678 Depth=3
	s_or_b32 exec_lo, exec_lo, s13
	v_and_b32_e32 v18, 0xff, v13
	v_dual_mov_b32 v2, v13 :: v_dual_mov_b32 v17, 0
	v_mov_b32_e32 v16, 0
	s_mov_b32 s13, exec_lo
	s_delay_alu instid0(VALU_DEP_3)
	v_cmpx_ne_u16_e32 0, v18
	s_cbranch_execz .LBB4_3304
; %bb.3299:                             ;   in Loop: Header=BB4_2678 Depth=3
	v_bfrev_b32_e32 v16, 1
	s_mov_b32 s44, exec_lo
	v_cmpx_ne_u16_e32 0x80, v18
	s_cbranch_execz .LBB4_3303
; %bb.3300:                             ;   in Loop: Header=BB4_2678 Depth=3
	v_and_b32_e32 v18, 0x7f, v13
	v_mov_b32_e32 v16, 0x7f800001
	s_mov_b32 s45, exec_lo
	s_delay_alu instid0(VALU_DEP_2)
	v_cmpx_ne_u32_e32 0x7f, v18
	s_cbranch_execz .LBB4_3302
; %bb.3301:                             ;   in Loop: Header=BB4_2678 Depth=3
	v_dual_lshrrev_b32 v19, 3, v18 :: v_dual_bitop2_b32 v16, 7, v13 bitop3:0x40
	v_cmp_gt_u32_e32 vcc_lo, 8, v18
	s_delay_alu instid0(VALU_DEP_2) | instskip(NEXT) | instid1(VALU_DEP_1)
	v_clz_i32_u32_e32 v16, v16
	v_min_u32_e32 v16, 32, v16
	s_delay_alu instid0(VALU_DEP_1) | instskip(SKIP_1) | instid1(VALU_DEP_2)
	v_subrev_nc_u32_e32 v24, 28, v16
	v_sub_nc_u32_e32 v16, 29, v16
	v_cndmask_b32_e32 v18, 0, v24, vcc_lo
	s_delay_alu instid0(VALU_DEP_2) | instskip(NEXT) | instid1(VALU_DEP_2)
	v_cndmask_b32_e32 v16, v19, v16, vcc_lo
	v_lshlrev_b64_e32 v[18:19], v18, v[2:3]
	v_lshlrev_b32_e32 v19, 24, v2
	s_delay_alu instid0(VALU_DEP_1) | instskip(NEXT) | instid1(VALU_DEP_3)
	v_and_b32_e32 v19, 0x80000000, v19
	v_lshlrev_b32_e32 v18, 20, v18
	v_lshl_add_u32 v16, v16, 23, 0x3c000000
	s_delay_alu instid0(VALU_DEP_2) | instskip(NEXT) | instid1(VALU_DEP_1)
	v_and_b32_e32 v18, 0x700000, v18
	v_or3_b32 v16, v18, v19, v16
.LBB4_3302:                             ;   in Loop: Header=BB4_2678 Depth=3
	s_or_b32 exec_lo, exec_lo, s45
.LBB4_3303:                             ;   in Loop: Header=BB4_2678 Depth=3
	s_delay_alu instid0(SALU_CYCLE_1)
	s_or_b32 exec_lo, exec_lo, s44
.LBB4_3304:                             ;   in Loop: Header=BB4_2678 Depth=3
	s_delay_alu instid0(SALU_CYCLE_1) | instskip(SKIP_2) | instid1(VALU_DEP_1)
	s_or_b32 exec_lo, exec_lo, s13
	v_and_b32_e32 v18, 0xff, v9
	s_mov_b32 s13, exec_lo
	v_cmpx_ne_u16_e32 0, v18
	s_cbranch_execz .LBB4_3310
; %bb.3305:                             ;   in Loop: Header=BB4_2678 Depth=3
	v_bfrev_b32_e32 v17, 1
	s_mov_b32 s44, exec_lo
	v_cmpx_ne_u16_e32 0x80, v18
	s_cbranch_execz .LBB4_3309
; %bb.3306:                             ;   in Loop: Header=BB4_2678 Depth=3
	v_and_b32_e32 v18, 0x7f, v9
	v_mov_b32_e32 v17, 0x7f800001
	s_mov_b32 s45, exec_lo
	s_delay_alu instid0(VALU_DEP_2)
	v_cmpx_ne_u32_e32 0x7f, v18
	s_cbranch_execz .LBB4_3308
; %bb.3307:                             ;   in Loop: Header=BB4_2678 Depth=3
	v_dual_lshrrev_b32 v24, 3, v18 :: v_dual_bitop2_b32 v17, 7, v9 bitop3:0x40
	v_cmp_gt_u32_e32 vcc_lo, 8, v18
	v_mov_b32_e32 v18, v9
	s_delay_alu instid0(VALU_DEP_3) | instskip(NEXT) | instid1(VALU_DEP_1)
	v_clz_i32_u32_e32 v17, v17
	v_min_u32_e32 v17, 32, v17
	s_delay_alu instid0(VALU_DEP_1) | instskip(SKIP_1) | instid1(VALU_DEP_2)
	v_sub_nc_u32_e32 v25, 29, v17
	v_subrev_nc_u32_e32 v17, 28, v17
	v_dual_mov_b32 v19, v3 :: v_dual_cndmask_b32 v26, v24, v25
	s_delay_alu instid0(VALU_DEP_2) | instskip(NEXT) | instid1(VALU_DEP_1)
	v_cndmask_b32_e32 v17, 0, v17, vcc_lo
	v_lshlrev_b64_e32 v[24:25], v17, v[18:19]
	v_lshlrev_b32_e32 v17, 24, v18
	s_delay_alu instid0(VALU_DEP_4) | instskip(NEXT) | instid1(VALU_DEP_2)
	v_lshl_add_u32 v19, v26, 23, 0x3c000000
	v_and_b32_e32 v17, 0x80000000, v17
	s_delay_alu instid0(VALU_DEP_4) | instskip(NEXT) | instid1(VALU_DEP_1)
	v_lshlrev_b32_e32 v18, 20, v24
	v_and_b32_e32 v18, 0x700000, v18
	s_delay_alu instid0(VALU_DEP_1)
	v_or3_b32 v17, v18, v17, v19
.LBB4_3308:                             ;   in Loop: Header=BB4_2678 Depth=3
	s_or_b32 exec_lo, exec_lo, s45
.LBB4_3309:                             ;   in Loop: Header=BB4_2678 Depth=3
	s_delay_alu instid0(SALU_CYCLE_1)
	s_or_b32 exec_lo, exec_lo, s44
.LBB4_3310:                             ;   in Loop: Header=BB4_2678 Depth=3
	s_delay_alu instid0(SALU_CYCLE_1) | instskip(NEXT) | instid1(VALU_DEP_1)
	s_or_b32 exec_lo, exec_lo, s13
	v_dual_add_f32 v16, v16, v17 :: v_dual_mov_b32 v19, v3
                                        ; implicit-def: $vgpr125
	s_mov_b32 s13, exec_lo
	s_delay_alu instid0(VALU_DEP_1) | instskip(SKIP_1) | instid1(VALU_DEP_2)
	v_and_b32_e32 v18, 0x7f800000, v16
	v_lshrrev_b32_e32 v17, 24, v16
	v_cmpx_ne_u64_e32 0x7f800000, v[18:19]
	s_xor_b32 s44, exec_lo, s13
	s_cbranch_execz .LBB4_3324
; %bb.3311:                             ;   in Loop: Header=BB4_2678 Depth=3
	v_and_b32_e32 v18, 0x7fffffff, v16
	v_mov_b32_e32 v19, v3
	v_and_b32_e32 v26, 0x80, v17
                                        ; implicit-def: $vgpr125
	s_mov_b32 s13, exec_lo
	s_delay_alu instid0(VALU_DEP_2)
	v_cmpx_gt_u64_e32 0x43e00001, v[18:19]
	s_xor_b32 s45, exec_lo, s13
	s_cbranch_execz .LBB4_3321
; %bb.3312:                             ;   in Loop: Header=BB4_2678 Depth=3
	v_mov_b32_e32 v125, 0
	s_mov_b32 s74, exec_lo
	v_cmpx_ne_u32_e32 0, v16
	s_cbranch_execz .LBB4_3320
; %bb.3313:                             ;   in Loop: Header=BB4_2678 Depth=3
	v_bfe_u32 v27, v16, 23, 8
	v_and_b32_e32 v17, 0x7fffff, v16
	s_delay_alu instid0(VALU_DEP_2) | instskip(SKIP_2) | instid1(VALU_DEP_4)
	v_cmp_gt_u32_e64 s13, 0x7a, v27
	v_sub_nc_u32_e32 v16, 0x79, v27
	v_cmp_eq_u32_e32 vcc_lo, 0, v27
	v_or_b32_e32 v18, 0x800000, v17
	s_delay_alu instid0(VALU_DEP_3) | instskip(NEXT) | instid1(VALU_DEP_1)
	v_cndmask_b32_e64 v16, 0, v16, s13
	v_cndmask_b32_e64 v24, v16, 0x78, vcc_lo
	s_delay_alu instid0(VALU_DEP_3) | instskip(NEXT) | instid1(VALU_DEP_2)
	v_dual_cndmask_b32 v16, v18, v17 :: v_dual_mov_b32 v17, v3
	v_dual_add_nc_u32 v18, 20, v24 :: v_dual_add_nc_u32 v25, 19, v24
	s_delay_alu instid0(VALU_DEP_1) | instskip(NEXT) | instid1(VALU_DEP_2)
	v_lshlrev_b64_e64 v[18:19], v18, -1
	v_lshlrev_b64_e64 v[28:29], v25, 1
	s_delay_alu instid0(VALU_DEP_2) | instskip(SKIP_1) | instid1(VALU_DEP_4)
	v_bfi_b32 v18, v18, 0, v16
	v_lshrrev_b64 v[16:17], v24, v[16:17]
	v_bfi_b32 v19, v19, 0, 0
	s_delay_alu instid0(VALU_DEP_1) | instskip(NEXT) | instid1(VALU_DEP_3)
	v_cmp_eq_u64_e64 s13, v[18:19], v[28:29]
	v_mov_b64_e32 v[18:19], v[16:17]
	s_and_saveexec_b32 s75, s13
; %bb.3314:                             ;   in Loop: Header=BB4_2678 Depth=3
	v_bfe_u32 v18, v16, 20, 1
	v_mov_b32_e32 v19, v3
	s_delay_alu instid0(VALU_DEP_1) | instskip(NEXT) | instid1(VALU_DEP_1)
	v_add_nc_u64_e32 v[18:19], v[16:17], v[18:19]
	v_add_nc_u64_e32 v[18:19], -1, v[18:19]
; %bb.3315:                             ;   in Loop: Header=BB4_2678 Depth=3
	s_or_b32 exec_lo, exec_lo, s75
	v_add_nc_u32_e32 v17, 0xffffff81, v27
	v_lshrrev_b32_e32 v19, 23, v16
	s_mov_b32 s13, exec_lo
	s_delay_alu instid0(VALU_DEP_2) | instskip(NEXT) | instid1(VALU_DEP_1)
	v_cndmask_b32_e64 v17, v17, 0xffffff82, vcc_lo
	v_add3_u32 v19, v24, v17, v19
	v_and_b32_e32 v17, 0xfffff, v18
                                        ; implicit-def: $vgpr18
	s_delay_alu instid0(VALU_DEP_1) | instskip(SKIP_1) | instid1(VALU_DEP_2)
	v_dual_add_nc_u32 v24, 6, v19 :: v_dual_add_nc_u32 v16, v17, v16
	v_mov_b32_e32 v17, v3
	v_cmpx_ne_u32_e32 0, v24
	s_xor_b32 s13, exec_lo, s13
; %bb.3316:                             ;   in Loop: Header=BB4_2678 Depth=3
	s_delay_alu instid0(VALU_DEP_2) | instskip(SKIP_2) | instid1(VALU_DEP_2)
	v_cmp_lt_u64_e32 vcc_lo, 0xffffff, v[16:17]
	v_add_nc_u32_e32 v18, 7, v19
	v_cndmask_b32_e64 v19, 0, 1, vcc_lo
	v_cndmask_b32_e32 v18, v24, v18, vcc_lo
	s_delay_alu instid0(VALU_DEP_2)
	v_lshrrev_b64 v[16:17], v19, v[16:17]
; %bb.3317:                             ;   in Loop: Header=BB4_2678 Depth=3
	s_and_not1_saveexec_b32 s13, s13
; %bb.3318:                             ;   in Loop: Header=BB4_2678 Depth=3
	s_delay_alu instid0(VALU_DEP_1)
	v_bfe_u32 v18, v16, 23, 1
; %bb.3319:                             ;   in Loop: Header=BB4_2678 Depth=3
	s_or_b32 exec_lo, exec_lo, s13
	s_delay_alu instid0(VALU_DEP_2) | instskip(NEXT) | instid1(VALU_DEP_2)
	v_lshrrev_b64 v[16:17], 20, v[16:17]
	v_cmp_gt_i32_e32 vcc_lo, 16, v18
	v_min_i32_e32 v19, 15, v18
	v_cmp_eq_u32_e64 s13, 0, v18
	s_delay_alu instid0(VALU_DEP_2) | instskip(SKIP_1) | instid1(VALU_DEP_2)
	v_dual_cndmask_b32 v17, 0, v17, vcc_lo :: v_dual_lshlrev_b32 v19, 3, v19
	v_cndmask_b32_e32 v16, 7, v16, vcc_lo
	v_and_b32_e32 v19, 0xf8, v19
	s_delay_alu instid0(VALU_DEP_2) | instskip(NEXT) | instid1(VALU_DEP_2)
	v_cmp_eq_u64_e32 vcc_lo, 0, v[16:17]
	v_and_or_b32 v16, v16, 7, v19
	s_and_b32 s13, s13, vcc_lo
	s_delay_alu instid0(VALU_DEP_1) | instid1(SALU_CYCLE_1)
	v_cndmask_b32_e64 v16, v16, 0, s13
	s_delay_alu instid0(VALU_DEP_1)
	v_or_b32_e32 v125, v16, v26
.LBB4_3320:                             ;   in Loop: Header=BB4_2678 Depth=3
	s_or_b32 exec_lo, exec_lo, s74
                                        ; implicit-def: $vgpr26
.LBB4_3321:                             ;   in Loop: Header=BB4_2678 Depth=3
	s_and_not1_saveexec_b32 s13, s45
; %bb.3322:                             ;   in Loop: Header=BB4_2678 Depth=3
	v_or_b32_e32 v125, 0x7e, v26
; %bb.3323:                             ;   in Loop: Header=BB4_2678 Depth=3
	s_or_b32 exec_lo, exec_lo, s13
                                        ; implicit-def: $vgpr17
.LBB4_3324:                             ;   in Loop: Header=BB4_2678 Depth=3
	s_and_not1_saveexec_b32 s13, s44
; %bb.3325:                             ;   in Loop: Header=BB4_2678 Depth=3
	v_or_b32_e32 v125, 0x7f, v17
; %bb.3326:                             ;   in Loop: Header=BB4_2678 Depth=3
	s_or_b32 exec_lo, exec_lo, s13
	v_lshrrev_b16 v16, 8, v2
	v_dual_mov_b32 v18, 0 :: v_dual_mov_b32 v19, 0
	s_mov_b32 s13, exec_lo
	s_delay_alu instid0(VALU_DEP_2)
	v_cmpx_ne_u16_e32 0, v16
	s_cbranch_execz .LBB4_3334
; %bb.3327:                             ;   in Loop: Header=BB4_2678 Depth=3
	v_bfrev_b32_e32 v19, 1
	s_mov_b32 s44, exec_lo
	v_cmpx_ne_u16_e32 0x80, v16
	s_cbranch_execz .LBB4_3333
; %bb.3328:                             ;   in Loop: Header=BB4_2678 Depth=3
	v_and_b32_e32 v16, 0xffff, v16
	v_mov_b32_e32 v19, 0x7f800001
	s_mov_b32 s45, exec_lo
	s_delay_alu instid0(VALU_DEP_2) | instskip(NEXT) | instid1(VALU_DEP_1)
	v_and_b32_e32 v24, 0x7f, v16
	v_cmpx_ne_u32_e32 0x7f, v24
	s_cbranch_execz .LBB4_3332
; %bb.3329:                             ;   in Loop: Header=BB4_2678 Depth=3
	v_dual_mov_b32 v17, v3 :: v_dual_bitop2_b32 v16, 7, v16 bitop3:0x40
	v_lshrrev_b32_e32 v19, 3, v24
	s_mov_b32 s74, exec_lo
	v_cmpx_gt_u32_e32 8, v24
; %bb.3330:                             ;   in Loop: Header=BB4_2678 Depth=3
	s_delay_alu instid0(VALU_DEP_3) | instskip(NEXT) | instid1(VALU_DEP_1)
	v_clz_i32_u32_e32 v19, v16
	v_min_u32_e32 v19, 32, v19
	s_delay_alu instid0(VALU_DEP_1) | instskip(NEXT) | instid1(VALU_DEP_1)
	v_subrev_nc_u32_e32 v24, 28, v19
	v_lshlrev_b64_e32 v[16:17], v24, v[16:17]
	s_delay_alu instid0(VALU_DEP_1)
	v_dual_sub_nc_u32 v19, 29, v19 :: v_dual_bitop2_b32 v16, 7, v16 bitop3:0x40
; %bb.3331:                             ;   in Loop: Header=BB4_2678 Depth=3
	s_or_b32 exec_lo, exec_lo, s74
	s_delay_alu instid0(VALU_DEP_1) | instskip(NEXT) | instid1(VALU_DEP_2)
	v_dual_lshlrev_b32 v2, 16, v2 :: v_dual_lshlrev_b32 v16, 20, v16
	v_lshl_add_u32 v17, v19, 23, 0x3c000000
	s_delay_alu instid0(VALU_DEP_2) | instskip(NEXT) | instid1(VALU_DEP_1)
	v_and_b32_e32 v2, 0x80000000, v2
	v_or3_b32 v19, v16, v2, v17
.LBB4_3332:                             ;   in Loop: Header=BB4_2678 Depth=3
	s_or_b32 exec_lo, exec_lo, s45
.LBB4_3333:                             ;   in Loop: Header=BB4_2678 Depth=3
	s_delay_alu instid0(SALU_CYCLE_1)
	s_or_b32 exec_lo, exec_lo, s44
.LBB4_3334:                             ;   in Loop: Header=BB4_2678 Depth=3
	s_delay_alu instid0(SALU_CYCLE_1) | instskip(SKIP_2) | instid1(VALU_DEP_1)
	s_or_b32 exec_lo, exec_lo, s13
	v_lshrrev_b16 v2, 8, v9
	s_mov_b32 s13, exec_lo
	v_cmpx_ne_u16_e32 0, v2
	s_cbranch_execz .LBB4_3342
; %bb.3335:                             ;   in Loop: Header=BB4_2678 Depth=3
	v_bfrev_b32_e32 v18, 1
	s_mov_b32 s44, exec_lo
	v_cmpx_ne_u16_e32 0x80, v2
	s_cbranch_execz .LBB4_3341
; %bb.3336:                             ;   in Loop: Header=BB4_2678 Depth=3
	v_and_b32_e32 v2, 0xffff, v2
	v_mov_b32_e32 v18, 0x7f800001
	s_mov_b32 s45, exec_lo
	s_delay_alu instid0(VALU_DEP_2) | instskip(NEXT) | instid1(VALU_DEP_1)
	v_and_b32_e32 v16, 0x7f, v2
	v_cmpx_ne_u32_e32 0x7f, v16
	s_cbranch_execz .LBB4_3340
; %bb.3337:                             ;   in Loop: Header=BB4_2678 Depth=3
	v_dual_lshrrev_b32 v18, 3, v16 :: v_dual_bitop2_b32 v2, 7, v2 bitop3:0x40
	v_cmp_gt_u32_e32 vcc_lo, 8, v16
	s_delay_alu instid0(VALU_DEP_2)
	v_mov_b64_e32 v[16:17], v[2:3]
	s_and_saveexec_b32 s74, vcc_lo
; %bb.3338:                             ;   in Loop: Header=BB4_2678 Depth=3
	v_clz_i32_u32_e32 v16, v2
	s_delay_alu instid0(VALU_DEP_1) | instskip(NEXT) | instid1(VALU_DEP_1)
	v_min_u32_e32 v18, 32, v16
	v_subrev_nc_u32_e32 v16, 28, v18
	s_delay_alu instid0(VALU_DEP_1) | instskip(NEXT) | instid1(VALU_DEP_1)
	v_lshlrev_b64_e32 v[16:17], v16, v[2:3]
	v_dual_sub_nc_u32 v18, 29, v18 :: v_dual_bitop2_b32 v16, 7, v16 bitop3:0x40
; %bb.3339:                             ;   in Loop: Header=BB4_2678 Depth=3
	s_or_b32 exec_lo, exec_lo, s74
	s_delay_alu instid0(VALU_DEP_1) | instskip(NEXT) | instid1(VALU_DEP_2)
	v_dual_lshlrev_b32 v2, 16, v9 :: v_dual_lshlrev_b32 v16, 20, v16
	v_lshl_add_u32 v17, v18, 23, 0x3c000000
	s_delay_alu instid0(VALU_DEP_2) | instskip(NEXT) | instid1(VALU_DEP_1)
	v_and_b32_e32 v2, 0x80000000, v2
	v_or3_b32 v18, v16, v2, v17
.LBB4_3340:                             ;   in Loop: Header=BB4_2678 Depth=3
	s_or_b32 exec_lo, exec_lo, s45
.LBB4_3341:                             ;   in Loop: Header=BB4_2678 Depth=3
	s_delay_alu instid0(SALU_CYCLE_1)
	s_or_b32 exec_lo, exec_lo, s44
.LBB4_3342:                             ;   in Loop: Header=BB4_2678 Depth=3
	s_delay_alu instid0(SALU_CYCLE_1) | instskip(NEXT) | instid1(VALU_DEP_1)
	s_or_b32 exec_lo, exec_lo, s13
	v_add_f32_e32 v16, v19, v18
                                        ; implicit-def: $vgpr126
	s_mov_b32 s13, exec_lo
	s_delay_alu instid0(VALU_DEP_1) | instskip(SKIP_1) | instid1(VALU_DEP_2)
	v_and_b32_e32 v2, 0x7f800000, v16
	v_lshrrev_b32_e32 v17, 24, v16
	v_cmpx_ne_u64_e32 0x7f800000, v[2:3]
	s_xor_b32 s44, exec_lo, s13
	s_cbranch_execz .LBB4_3356
; %bb.3343:                             ;   in Loop: Header=BB4_2678 Depth=3
	v_and_b32_e32 v2, 0x7fffffff, v16
	v_and_b32_e32 v26, 0x80, v17
                                        ; implicit-def: $vgpr126
	s_mov_b32 s13, exec_lo
	s_delay_alu instid0(VALU_DEP_2)
	v_cmpx_gt_u64_e32 0x43e00001, v[2:3]
	s_xor_b32 s45, exec_lo, s13
	s_cbranch_execz .LBB4_3353
; %bb.3344:                             ;   in Loop: Header=BB4_2678 Depth=3
	v_mov_b32_e32 v126, 0
	s_mov_b32 s74, exec_lo
	v_cmpx_ne_u32_e32 0, v16
	s_cbranch_execz .LBB4_3352
; %bb.3345:                             ;   in Loop: Header=BB4_2678 Depth=3
	v_bfe_u32 v27, v16, 23, 8
	v_and_b32_e32 v2, 0x7fffff, v16
	s_delay_alu instid0(VALU_DEP_2) | instskip(SKIP_2) | instid1(VALU_DEP_4)
	v_cmp_gt_u32_e64 s13, 0x7a, v27
	v_sub_nc_u32_e32 v16, 0x79, v27
	v_cmp_eq_u32_e32 vcc_lo, 0, v27
	v_or_b32_e32 v17, 0x800000, v2
	s_delay_alu instid0(VALU_DEP_1) | instskip(NEXT) | instid1(VALU_DEP_1)
	v_dual_cndmask_b32 v16, 0, v16, s13 :: v_dual_cndmask_b32 v2, v17, v2, vcc_lo
	v_cndmask_b32_e64 v24, v16, 0x78, vcc_lo
	s_delay_alu instid0(VALU_DEP_1) | instskip(NEXT) | instid1(VALU_DEP_1)
	v_dual_add_nc_u32 v16, 20, v24 :: v_dual_add_nc_u32 v18, 19, v24
	v_lshlrev_b64_e64 v[16:17], v16, -1
	s_delay_alu instid0(VALU_DEP_2) | instskip(NEXT) | instid1(VALU_DEP_2)
	v_lshlrev_b64_e64 v[18:19], v18, 1
	v_bfi_b32 v17, v17, 0, 0
	s_delay_alu instid0(VALU_DEP_3) | instskip(NEXT) | instid1(VALU_DEP_1)
	v_bfi_b32 v16, v16, 0, v2
	v_cmp_eq_u64_e64 s13, v[16:17], v[18:19]
	v_lshrrev_b64 v[16:17], v24, v[2:3]
	s_delay_alu instid0(VALU_DEP_1)
	v_mov_b64_e32 v[18:19], v[16:17]
	s_and_saveexec_b32 s75, s13
; %bb.3346:                             ;   in Loop: Header=BB4_2678 Depth=3
	v_bfe_u32 v2, v16, 20, 1
	s_delay_alu instid0(VALU_DEP_1) | instskip(NEXT) | instid1(VALU_DEP_1)
	v_add_nc_u64_e32 v[18:19], v[16:17], v[2:3]
	v_add_nc_u64_e32 v[18:19], -1, v[18:19]
; %bb.3347:                             ;   in Loop: Header=BB4_2678 Depth=3
	s_or_b32 exec_lo, exec_lo, s75
	v_add_nc_u32_e32 v2, 0xffffff81, v27
	v_lshrrev_b32_e32 v17, 23, v16
	s_mov_b32 s13, exec_lo
	s_delay_alu instid0(VALU_DEP_2) | instskip(NEXT) | instid1(VALU_DEP_1)
	v_cndmask_b32_e64 v2, v2, 0xffffff82, vcc_lo
	v_add3_u32 v19, v24, v2, v17
	v_and_b32_e32 v2, 0xfffff, v18
                                        ; implicit-def: $vgpr18
	s_delay_alu instid0(VALU_DEP_1) | instskip(NEXT) | instid1(VALU_DEP_1)
	v_dual_add_nc_u32 v24, 6, v19 :: v_dual_add_nc_u32 v2, v2, v16
                                        ; implicit-def: $vgpr16_vgpr17
	v_cmpx_ne_u32_e32 0, v24
	s_xor_b32 s13, exec_lo, s13
; %bb.3348:                             ;   in Loop: Header=BB4_2678 Depth=3
	s_delay_alu instid0(VALU_DEP_2) | instskip(SKIP_1) | instid1(VALU_DEP_1)
	v_cmp_lt_u64_e32 vcc_lo, 0xffffff, v[2:3]
	v_add_nc_u32_e32 v16, 7, v19
	v_cndmask_b32_e32 v18, v24, v16, vcc_lo
	v_cndmask_b32_e64 v16, 0, 1, vcc_lo
	s_delay_alu instid0(VALU_DEP_1)
	v_lshrrev_b64 v[16:17], v16, v[2:3]
; %bb.3349:                             ;   in Loop: Header=BB4_2678 Depth=3
	s_and_not1_saveexec_b32 s13, s13
; %bb.3350:                             ;   in Loop: Header=BB4_2678 Depth=3
	v_mov_b64_e32 v[16:17], v[2:3]
	v_bfe_u32 v18, v2, 23, 1
; %bb.3351:                             ;   in Loop: Header=BB4_2678 Depth=3
	s_or_b32 exec_lo, exec_lo, s13
	s_delay_alu instid0(VALU_DEP_2) | instskip(NEXT) | instid1(VALU_DEP_2)
	v_lshrrev_b64 v[16:17], 20, v[16:17]
	v_cmp_gt_i32_e32 vcc_lo, 16, v18
	v_min_i32_e32 v2, 15, v18
	v_cmp_eq_u32_e64 s13, 0, v18
	s_delay_alu instid0(VALU_DEP_2) | instskip(SKIP_1) | instid1(VALU_DEP_2)
	v_dual_cndmask_b32 v17, 0, v17 :: v_dual_lshlrev_b32 v2, 3, v2
	v_cndmask_b32_e32 v16, 7, v16, vcc_lo
	v_and_b32_e32 v2, 0xf8, v2
	s_delay_alu instid0(VALU_DEP_2) | instskip(NEXT) | instid1(VALU_DEP_2)
	v_cmp_eq_u64_e32 vcc_lo, 0, v[16:17]
	v_and_or_b32 v2, v16, 7, v2
	s_and_b32 s13, s13, vcc_lo
	s_delay_alu instid0(VALU_DEP_1) | instid1(SALU_CYCLE_1)
	v_cndmask_b32_e64 v2, v2, 0, s13
	s_delay_alu instid0(VALU_DEP_1)
	v_or_b32_e32 v126, v2, v26
.LBB4_3352:                             ;   in Loop: Header=BB4_2678 Depth=3
	s_or_b32 exec_lo, exec_lo, s74
                                        ; implicit-def: $vgpr26
.LBB4_3353:                             ;   in Loop: Header=BB4_2678 Depth=3
	s_and_not1_saveexec_b32 s13, s45
; %bb.3354:                             ;   in Loop: Header=BB4_2678 Depth=3
	v_or_b32_e32 v126, 0x7e, v26
; %bb.3355:                             ;   in Loop: Header=BB4_2678 Depth=3
	s_or_b32 exec_lo, exec_lo, s13
                                        ; implicit-def: $vgpr17
.LBB4_3356:                             ;   in Loop: Header=BB4_2678 Depth=3
	s_and_not1_saveexec_b32 s13, s44
; %bb.3357:                             ;   in Loop: Header=BB4_2678 Depth=3
	v_or_b32_e32 v126, 0x7f, v17
; %bb.3358:                             ;   in Loop: Header=BB4_2678 Depth=3
	s_or_b32 exec_lo, exec_lo, s13
	v_dual_lshrrev_b32 v24, 16, v13 :: v_dual_mov_b32 v18, 0
	v_mov_b32_e32 v19, 0
	s_mov_b32 s13, exec_lo
	s_delay_alu instid0(VALU_DEP_2) | instskip(NEXT) | instid1(VALU_DEP_1)
	v_and_b32_e32 v2, 0xff, v24
	v_cmpx_ne_u16_e32 0, v2
	s_cbranch_execz .LBB4_3366
; %bb.3359:                             ;   in Loop: Header=BB4_2678 Depth=3
	v_bfrev_b32_e32 v19, 1
	s_mov_b32 s44, exec_lo
	v_cmpx_ne_u16_e32 0x80, v2
	s_cbranch_execz .LBB4_3365
; %bb.3360:                             ;   in Loop: Header=BB4_2678 Depth=3
	v_bfe_u32 v16, v13, 16, 7
	v_mov_b32_e32 v19, 0x7f800001
	s_mov_b32 s45, exec_lo
	s_delay_alu instid0(VALU_DEP_2)
	v_cmpx_ne_u32_e32 0x7f, v16
	s_cbranch_execz .LBB4_3364
; %bb.3361:                             ;   in Loop: Header=BB4_2678 Depth=3
	v_and_b32_e32 v2, 7, v24
	v_lshrrev_b32_e32 v19, 3, v16
	v_cmp_gt_u32_e32 vcc_lo, 8, v16
	s_delay_alu instid0(VALU_DEP_3)
	v_mov_b64_e32 v[16:17], v[2:3]
	s_and_saveexec_b32 s74, vcc_lo
; %bb.3362:                             ;   in Loop: Header=BB4_2678 Depth=3
	v_clz_i32_u32_e32 v16, v2
	s_delay_alu instid0(VALU_DEP_1) | instskip(NEXT) | instid1(VALU_DEP_1)
	v_min_u32_e32 v19, 32, v16
	v_subrev_nc_u32_e32 v16, 28, v19
	s_delay_alu instid0(VALU_DEP_1) | instskip(NEXT) | instid1(VALU_DEP_1)
	v_lshlrev_b64_e32 v[16:17], v16, v[2:3]
	v_dual_sub_nc_u32 v19, 29, v19 :: v_dual_bitop2_b32 v16, 7, v16 bitop3:0x40
; %bb.3363:                             ;   in Loop: Header=BB4_2678 Depth=3
	s_or_b32 exec_lo, exec_lo, s74
	v_lshlrev_b32_e32 v2, 24, v24
	s_delay_alu instid0(VALU_DEP_2) | instskip(NEXT) | instid1(VALU_DEP_3)
	v_lshlrev_b32_e32 v16, 20, v16
	v_lshl_add_u32 v17, v19, 23, 0x3c000000
	s_delay_alu instid0(VALU_DEP_3) | instskip(NEXT) | instid1(VALU_DEP_1)
	v_and_b32_e32 v2, 0x80000000, v2
	v_or3_b32 v19, v16, v2, v17
.LBB4_3364:                             ;   in Loop: Header=BB4_2678 Depth=3
	s_or_b32 exec_lo, exec_lo, s45
.LBB4_3365:                             ;   in Loop: Header=BB4_2678 Depth=3
	s_delay_alu instid0(SALU_CYCLE_1)
	s_or_b32 exec_lo, exec_lo, s44
.LBB4_3366:                             ;   in Loop: Header=BB4_2678 Depth=3
	s_delay_alu instid0(SALU_CYCLE_1) | instskip(SKIP_2) | instid1(VALU_DEP_1)
	s_or_b32 exec_lo, exec_lo, s13
	v_lshrrev_b32_e32 v2, 16, v9
	s_mov_b32 s13, exec_lo
	v_and_b32_e32 v16, 0xff, v2
	s_delay_alu instid0(VALU_DEP_1)
	v_cmpx_ne_u16_e32 0, v16
	s_cbranch_execz .LBB4_3374
; %bb.3367:                             ;   in Loop: Header=BB4_2678 Depth=3
	v_bfrev_b32_e32 v18, 1
	s_mov_b32 s44, exec_lo
	v_cmpx_ne_u16_e32 0x80, v16
	s_cbranch_execz .LBB4_3373
; %bb.3368:                             ;   in Loop: Header=BB4_2678 Depth=3
	v_bfe_u32 v16, v9, 16, 7
	v_mov_b32_e32 v18, 0x7f800001
	s_mov_b32 s45, exec_lo
	s_delay_alu instid0(VALU_DEP_2)
	v_cmpx_ne_u32_e32 0x7f, v16
	s_cbranch_execz .LBB4_3372
; %bb.3369:                             ;   in Loop: Header=BB4_2678 Depth=3
	v_dual_lshrrev_b32 v18, 3, v16 :: v_dual_bitop2_b32 v2, 7, v2 bitop3:0x40
	v_cmp_gt_u32_e32 vcc_lo, 8, v16
	s_delay_alu instid0(VALU_DEP_2)
	v_mov_b64_e32 v[16:17], v[2:3]
	s_and_saveexec_b32 s74, vcc_lo
; %bb.3370:                             ;   in Loop: Header=BB4_2678 Depth=3
	v_clz_i32_u32_e32 v16, v2
	s_delay_alu instid0(VALU_DEP_1) | instskip(NEXT) | instid1(VALU_DEP_1)
	v_min_u32_e32 v18, 32, v16
	v_subrev_nc_u32_e32 v16, 28, v18
	s_delay_alu instid0(VALU_DEP_1) | instskip(NEXT) | instid1(VALU_DEP_1)
	v_lshlrev_b64_e32 v[16:17], v16, v[2:3]
	v_dual_sub_nc_u32 v18, 29, v18 :: v_dual_bitop2_b32 v16, 7, v16 bitop3:0x40
; %bb.3371:                             ;   in Loop: Header=BB4_2678 Depth=3
	s_or_b32 exec_lo, exec_lo, s74
	s_delay_alu instid0(VALU_DEP_1) | instskip(NEXT) | instid1(VALU_DEP_2)
	v_dual_lshlrev_b32 v2, 8, v9 :: v_dual_lshlrev_b32 v16, 20, v16
	v_lshl_add_u32 v17, v18, 23, 0x3c000000
	s_delay_alu instid0(VALU_DEP_2) | instskip(NEXT) | instid1(VALU_DEP_1)
	v_and_b32_e32 v2, 0x80000000, v2
	v_or3_b32 v18, v16, v2, v17
.LBB4_3372:                             ;   in Loop: Header=BB4_2678 Depth=3
	s_or_b32 exec_lo, exec_lo, s45
.LBB4_3373:                             ;   in Loop: Header=BB4_2678 Depth=3
	s_delay_alu instid0(SALU_CYCLE_1)
	s_or_b32 exec_lo, exec_lo, s44
.LBB4_3374:                             ;   in Loop: Header=BB4_2678 Depth=3
	s_delay_alu instid0(SALU_CYCLE_1) | instskip(NEXT) | instid1(VALU_DEP_1)
	s_or_b32 exec_lo, exec_lo, s13
	v_add_f32_e32 v17, v19, v18
                                        ; implicit-def: $vgpr16
	s_mov_b32 s13, exec_lo
	s_delay_alu instid0(VALU_DEP_1) | instskip(SKIP_1) | instid1(VALU_DEP_2)
	v_and_b32_e32 v2, 0x7f800000, v17
	v_lshrrev_b32_e32 v18, 24, v17
	v_cmpx_ne_u64_e32 0x7f800000, v[2:3]
	s_xor_b32 s44, exec_lo, s13
	s_cbranch_execz .LBB4_3388
; %bb.3375:                             ;   in Loop: Header=BB4_2678 Depth=3
	v_and_b32_e32 v2, 0x7fffffff, v17
	v_and_b32_e32 v26, 0x80, v18
                                        ; implicit-def: $vgpr16
	s_mov_b32 s13, exec_lo
	s_delay_alu instid0(VALU_DEP_2)
	v_cmpx_gt_u64_e32 0x43e00001, v[2:3]
	s_xor_b32 s45, exec_lo, s13
	s_cbranch_execz .LBB4_3385
; %bb.3376:                             ;   in Loop: Header=BB4_2678 Depth=3
	v_mov_b32_e32 v16, 0
	s_mov_b32 s74, exec_lo
	v_cmpx_ne_u32_e32 0, v17
	s_cbranch_execz .LBB4_3384
; %bb.3377:                             ;   in Loop: Header=BB4_2678 Depth=3
	v_bfe_u32 v27, v17, 23, 8
	v_and_b32_e32 v2, 0x7fffff, v17
	s_delay_alu instid0(VALU_DEP_2) | instskip(SKIP_2) | instid1(VALU_DEP_4)
	v_cmp_gt_u32_e64 s13, 0x7a, v27
	v_sub_nc_u32_e32 v16, 0x79, v27
	v_cmp_eq_u32_e32 vcc_lo, 0, v27
	v_or_b32_e32 v17, 0x800000, v2
	s_delay_alu instid0(VALU_DEP_1) | instskip(NEXT) | instid1(VALU_DEP_1)
	v_dual_cndmask_b32 v16, 0, v16, s13 :: v_dual_cndmask_b32 v2, v17, v2, vcc_lo
	v_cndmask_b32_e64 v24, v16, 0x78, vcc_lo
	s_delay_alu instid0(VALU_DEP_1) | instskip(NEXT) | instid1(VALU_DEP_1)
	v_dual_add_nc_u32 v16, 20, v24 :: v_dual_add_nc_u32 v18, 19, v24
	v_lshlrev_b64_e64 v[16:17], v16, -1
	s_delay_alu instid0(VALU_DEP_2) | instskip(NEXT) | instid1(VALU_DEP_2)
	v_lshlrev_b64_e64 v[18:19], v18, 1
	v_bfi_b32 v17, v17, 0, 0
	s_delay_alu instid0(VALU_DEP_3) | instskip(NEXT) | instid1(VALU_DEP_1)
	v_bfi_b32 v16, v16, 0, v2
	v_cmp_eq_u64_e64 s13, v[16:17], v[18:19]
	v_lshrrev_b64 v[16:17], v24, v[2:3]
	s_delay_alu instid0(VALU_DEP_1)
	v_mov_b64_e32 v[18:19], v[16:17]
	s_and_saveexec_b32 s75, s13
; %bb.3378:                             ;   in Loop: Header=BB4_2678 Depth=3
	v_bfe_u32 v2, v16, 20, 1
	s_delay_alu instid0(VALU_DEP_1) | instskip(NEXT) | instid1(VALU_DEP_1)
	v_add_nc_u64_e32 v[18:19], v[16:17], v[2:3]
	v_add_nc_u64_e32 v[18:19], -1, v[18:19]
; %bb.3379:                             ;   in Loop: Header=BB4_2678 Depth=3
	s_or_b32 exec_lo, exec_lo, s75
	v_add_nc_u32_e32 v2, 0xffffff81, v27
	v_lshrrev_b32_e32 v17, 23, v16
	s_mov_b32 s13, exec_lo
	s_delay_alu instid0(VALU_DEP_2) | instskip(NEXT) | instid1(VALU_DEP_1)
	v_cndmask_b32_e64 v2, v2, 0xffffff82, vcc_lo
	v_add3_u32 v24, v24, v2, v17
	v_and_b32_e32 v2, 0xfffff, v18
                                        ; implicit-def: $vgpr18
	s_delay_alu instid0(VALU_DEP_2) | instskip(NEXT) | instid1(VALU_DEP_2)
	v_add_nc_u32_e32 v19, 6, v24
	v_add_nc_u32_e32 v2, v2, v16
                                        ; implicit-def: $vgpr16_vgpr17
	s_delay_alu instid0(VALU_DEP_2)
	v_cmpx_ne_u32_e32 0, v19
	s_xor_b32 s13, exec_lo, s13
; %bb.3380:                             ;   in Loop: Header=BB4_2678 Depth=3
	s_delay_alu instid0(VALU_DEP_2) | instskip(SKIP_1) | instid1(VALU_DEP_1)
	v_cmp_lt_u64_e32 vcc_lo, 0xffffff, v[2:3]
	v_add_nc_u32_e32 v16, 7, v24
	v_cndmask_b32_e32 v18, v19, v16, vcc_lo
	v_cndmask_b32_e64 v16, 0, 1, vcc_lo
	s_delay_alu instid0(VALU_DEP_1)
	v_lshrrev_b64 v[16:17], v16, v[2:3]
; %bb.3381:                             ;   in Loop: Header=BB4_2678 Depth=3
	s_and_not1_saveexec_b32 s13, s13
; %bb.3382:                             ;   in Loop: Header=BB4_2678 Depth=3
	v_mov_b64_e32 v[16:17], v[2:3]
	v_bfe_u32 v18, v2, 23, 1
; %bb.3383:                             ;   in Loop: Header=BB4_2678 Depth=3
	s_or_b32 exec_lo, exec_lo, s13
	s_delay_alu instid0(VALU_DEP_2) | instskip(NEXT) | instid1(VALU_DEP_2)
	v_lshrrev_b64 v[16:17], 20, v[16:17]
	v_cmp_gt_i32_e32 vcc_lo, 16, v18
	v_min_i32_e32 v2, 15, v18
	v_cmp_eq_u32_e64 s13, 0, v18
	s_delay_alu instid0(VALU_DEP_2) | instskip(SKIP_1) | instid1(VALU_DEP_2)
	v_dual_cndmask_b32 v17, 0, v17 :: v_dual_lshlrev_b32 v2, 3, v2
	v_cndmask_b32_e32 v16, 7, v16, vcc_lo
	v_and_b32_e32 v2, 0xf8, v2
	s_delay_alu instid0(VALU_DEP_2) | instskip(NEXT) | instid1(VALU_DEP_2)
	v_cmp_eq_u64_e32 vcc_lo, 0, v[16:17]
	v_and_or_b32 v2, v16, 7, v2
	s_and_b32 s13, s13, vcc_lo
	s_delay_alu instid0(VALU_DEP_1) | instid1(SALU_CYCLE_1)
	v_cndmask_b32_e64 v2, v2, 0, s13
	s_delay_alu instid0(VALU_DEP_1)
	v_or_b32_e32 v16, v2, v26
.LBB4_3384:                             ;   in Loop: Header=BB4_2678 Depth=3
	s_or_b32 exec_lo, exec_lo, s74
                                        ; implicit-def: $vgpr26
.LBB4_3385:                             ;   in Loop: Header=BB4_2678 Depth=3
	s_and_not1_saveexec_b32 s13, s45
; %bb.3386:                             ;   in Loop: Header=BB4_2678 Depth=3
	v_or_b32_e32 v16, 0x7e, v26
; %bb.3387:                             ;   in Loop: Header=BB4_2678 Depth=3
	s_or_b32 exec_lo, exec_lo, s13
                                        ; implicit-def: $vgpr18
.LBB4_3388:                             ;   in Loop: Header=BB4_2678 Depth=3
	s_and_not1_saveexec_b32 s13, s44
; %bb.3389:                             ;   in Loop: Header=BB4_2678 Depth=3
	v_or_b32_e32 v16, 0x7f, v18
; %bb.3390:                             ;   in Loop: Header=BB4_2678 Depth=3
	s_or_b32 exec_lo, exec_lo, s13
	v_cmp_lt_u64_e32 vcc_lo, s[22:23], v[12:13]
	v_dual_mov_b32 v17, 0 :: v_dual_mov_b32 v12, 0
	s_and_saveexec_b32 s13, vcc_lo
	s_cbranch_execz .LBB4_3398
; %bb.3391:                             ;   in Loop: Header=BB4_2678 Depth=3
	v_lshrrev_b32_e32 v18, 24, v13
	v_bfrev_b32_e32 v12, 1
	s_mov_b32 s44, exec_lo
	s_delay_alu instid0(VALU_DEP_2)
	v_cmpx_ne_u32_e32 0x80, v18
	s_cbranch_execz .LBB4_3397
; %bb.3392:                             ;   in Loop: Header=BB4_2678 Depth=3
	v_bfe_u32 v13, v13, 24, 7
	v_mov_b32_e32 v12, 0x7f800001
	s_mov_b32 s45, exec_lo
	s_delay_alu instid0(VALU_DEP_2)
	v_cmpx_ne_u32_e32 0x7f, v13
	s_cbranch_execz .LBB4_3396
; %bb.3393:                             ;   in Loop: Header=BB4_2678 Depth=3
	v_dual_lshrrev_b32 v19, 3, v13 :: v_dual_bitop2_b32 v2, 7, v18 bitop3:0x40
	v_cmp_gt_u32_e32 vcc_lo, 8, v13
	s_delay_alu instid0(VALU_DEP_2)
	v_mov_b64_e32 v[12:13], v[2:3]
	s_and_saveexec_b32 s74, vcc_lo
; %bb.3394:                             ;   in Loop: Header=BB4_2678 Depth=3
	v_clz_i32_u32_e32 v12, v2
	s_delay_alu instid0(VALU_DEP_1) | instskip(NEXT) | instid1(VALU_DEP_1)
	v_min_u32_e32 v19, 32, v12
	v_subrev_nc_u32_e32 v12, 28, v19
	s_delay_alu instid0(VALU_DEP_1) | instskip(NEXT) | instid1(VALU_DEP_1)
	v_lshlrev_b64_e32 v[12:13], v12, v[2:3]
	v_dual_sub_nc_u32 v19, 29, v19 :: v_dual_bitop2_b32 v12, 7, v12 bitop3:0x40
; %bb.3395:                             ;   in Loop: Header=BB4_2678 Depth=3
	s_or_b32 exec_lo, exec_lo, s74
	s_delay_alu instid0(VALU_DEP_1) | instskip(NEXT) | instid1(VALU_DEP_2)
	v_dual_lshlrev_b32 v2, 24, v18 :: v_dual_lshlrev_b32 v12, 20, v12
	v_lshl_add_u32 v13, v19, 23, 0x3c000000
	s_delay_alu instid0(VALU_DEP_2) | instskip(NEXT) | instid1(VALU_DEP_1)
	v_and_b32_e32 v2, 0x80000000, v2
	v_or3_b32 v12, v12, v2, v13
.LBB4_3396:                             ;   in Loop: Header=BB4_2678 Depth=3
	s_or_b32 exec_lo, exec_lo, s45
.LBB4_3397:                             ;   in Loop: Header=BB4_2678 Depth=3
	s_delay_alu instid0(SALU_CYCLE_1)
	s_or_b32 exec_lo, exec_lo, s44
.LBB4_3398:                             ;   in Loop: Header=BB4_2678 Depth=3
	s_delay_alu instid0(SALU_CYCLE_1) | instskip(NEXT) | instid1(SALU_CYCLE_1)
	s_or_b32 exec_lo, exec_lo, s13
	s_mov_b32 s13, exec_lo
	v_cmpx_lt_u64_e64 s[22:23], v[8:9]
	s_cbranch_execz .LBB4_3406
; %bb.3399:                             ;   in Loop: Header=BB4_2678 Depth=3
	v_lshrrev_b32_e32 v13, 24, v9
	v_bfrev_b32_e32 v17, 1
	s_mov_b32 s44, exec_lo
	s_delay_alu instid0(VALU_DEP_2)
	v_cmpx_ne_u32_e32 0x80, v13
	s_cbranch_execz .LBB4_3405
; %bb.3400:                             ;   in Loop: Header=BB4_2678 Depth=3
	v_bfe_u32 v8, v9, 24, 7
	v_mov_b32_e32 v17, 0x7f800001
	s_mov_b32 s45, exec_lo
	s_delay_alu instid0(VALU_DEP_2)
	v_cmpx_ne_u32_e32 0x7f, v8
	s_cbranch_execz .LBB4_3404
; %bb.3401:                             ;   in Loop: Header=BB4_2678 Depth=3
	v_dual_lshrrev_b32 v17, 3, v8 :: v_dual_bitop2_b32 v2, 7, v13 bitop3:0x40
	v_cmp_gt_u32_e32 vcc_lo, 8, v8
	s_delay_alu instid0(VALU_DEP_2)
	v_mov_b64_e32 v[8:9], v[2:3]
	s_and_saveexec_b32 s74, vcc_lo
; %bb.3402:                             ;   in Loop: Header=BB4_2678 Depth=3
	v_clz_i32_u32_e32 v8, v2
	s_delay_alu instid0(VALU_DEP_1) | instskip(NEXT) | instid1(VALU_DEP_1)
	v_min_u32_e32 v17, 32, v8
	v_subrev_nc_u32_e32 v8, 28, v17
	s_delay_alu instid0(VALU_DEP_1) | instskip(NEXT) | instid1(VALU_DEP_1)
	v_lshlrev_b64_e32 v[8:9], v8, v[2:3]
	v_dual_sub_nc_u32 v17, 29, v17 :: v_dual_bitop2_b32 v8, 7, v8 bitop3:0x40
; %bb.3403:                             ;   in Loop: Header=BB4_2678 Depth=3
	s_or_b32 exec_lo, exec_lo, s74
	s_delay_alu instid0(VALU_DEP_1) | instskip(NEXT) | instid1(VALU_DEP_2)
	v_dual_lshlrev_b32 v2, 24, v13 :: v_dual_lshlrev_b32 v8, 20, v8
	v_lshl_add_u32 v9, v17, 23, 0x3c000000
	s_delay_alu instid0(VALU_DEP_2) | instskip(NEXT) | instid1(VALU_DEP_1)
	v_and_b32_e32 v2, 0x80000000, v2
	v_or3_b32 v17, v8, v2, v9
.LBB4_3404:                             ;   in Loop: Header=BB4_2678 Depth=3
	s_or_b32 exec_lo, exec_lo, s45
.LBB4_3405:                             ;   in Loop: Header=BB4_2678 Depth=3
	s_delay_alu instid0(SALU_CYCLE_1)
	s_or_b32 exec_lo, exec_lo, s44
.LBB4_3406:                             ;   in Loop: Header=BB4_2678 Depth=3
	s_delay_alu instid0(SALU_CYCLE_1) | instskip(NEXT) | instid1(VALU_DEP_1)
	s_or_b32 exec_lo, exec_lo, s13
	v_add_f32_e32 v8, v12, v17
                                        ; implicit-def: $vgpr17
	s_mov_b32 s13, exec_lo
	s_delay_alu instid0(VALU_DEP_1) | instskip(SKIP_1) | instid1(VALU_DEP_2)
	v_and_b32_e32 v2, 0x7f800000, v8
	v_lshrrev_b32_e32 v9, 24, v8
	v_cmpx_ne_u64_e32 0x7f800000, v[2:3]
	s_xor_b32 s44, exec_lo, s13
	s_cbranch_execz .LBB4_3420
; %bb.3407:                             ;   in Loop: Header=BB4_2678 Depth=3
	v_and_b32_e32 v2, 0x7fffffff, v8
	v_and_b32_e32 v18, 0x80, v9
                                        ; implicit-def: $vgpr17
	s_mov_b32 s13, exec_lo
	s_delay_alu instid0(VALU_DEP_2)
	v_cmpx_gt_u64_e32 0x43e00001, v[2:3]
	s_xor_b32 s45, exec_lo, s13
	s_cbranch_execz .LBB4_3417
; %bb.3408:                             ;   in Loop: Header=BB4_2678 Depth=3
	v_mov_b32_e32 v17, 0
	s_mov_b32 s74, exec_lo
	v_cmpx_ne_u32_e32 0, v8
	s_cbranch_execz .LBB4_3416
; %bb.3409:                             ;   in Loop: Header=BB4_2678 Depth=3
	v_bfe_u32 v17, v8, 23, 8
	v_and_b32_e32 v2, 0x7fffff, v8
	s_delay_alu instid0(VALU_DEP_2) | instskip(SKIP_2) | instid1(VALU_DEP_4)
	v_cmp_gt_u32_e64 s13, 0x7a, v17
	v_sub_nc_u32_e32 v8, 0x79, v17
	v_cmp_eq_u32_e32 vcc_lo, 0, v17
	v_or_b32_e32 v9, 0x800000, v2
	s_delay_alu instid0(VALU_DEP_1) | instskip(NEXT) | instid1(VALU_DEP_1)
	v_dual_cndmask_b32 v8, 0, v8, s13 :: v_dual_cndmask_b32 v2, v9, v2, vcc_lo
	v_cndmask_b32_e64 v19, v8, 0x78, vcc_lo
	s_delay_alu instid0(VALU_DEP_1) | instskip(NEXT) | instid1(VALU_DEP_1)
	v_dual_add_nc_u32 v8, 20, v19 :: v_dual_add_nc_u32 v12, 19, v19
	v_lshlrev_b64_e64 v[8:9], v8, -1
	s_delay_alu instid0(VALU_DEP_2) | instskip(NEXT) | instid1(VALU_DEP_2)
	v_lshlrev_b64_e64 v[12:13], v12, 1
	v_bfi_b32 v9, v9, 0, 0
	s_delay_alu instid0(VALU_DEP_3) | instskip(NEXT) | instid1(VALU_DEP_1)
	v_bfi_b32 v8, v8, 0, v2
	v_cmp_eq_u64_e64 s13, v[8:9], v[12:13]
	v_lshrrev_b64 v[8:9], v19, v[2:3]
	s_delay_alu instid0(VALU_DEP_1)
	v_mov_b64_e32 v[12:13], v[8:9]
	s_and_saveexec_b32 s75, s13
; %bb.3410:                             ;   in Loop: Header=BB4_2678 Depth=3
	v_bfe_u32 v2, v8, 20, 1
	s_delay_alu instid0(VALU_DEP_1) | instskip(NEXT) | instid1(VALU_DEP_1)
	v_add_nc_u64_e32 v[12:13], v[8:9], v[2:3]
	v_add_nc_u64_e32 v[12:13], -1, v[12:13]
; %bb.3411:                             ;   in Loop: Header=BB4_2678 Depth=3
	s_or_b32 exec_lo, exec_lo, s75
	v_add_nc_u32_e32 v2, 0xffffff81, v17
	v_lshrrev_b32_e32 v9, 23, v8
	s_mov_b32 s13, exec_lo
	s_delay_alu instid0(VALU_DEP_2) | instskip(NEXT) | instid1(VALU_DEP_1)
	v_cndmask_b32_e64 v2, v2, 0xffffff82, vcc_lo
	v_add3_u32 v13, v19, v2, v9
	v_and_b32_e32 v2, 0xfffff, v12
                                        ; implicit-def: $vgpr12
	s_delay_alu instid0(VALU_DEP_1) | instskip(NEXT) | instid1(VALU_DEP_1)
	v_dual_add_nc_u32 v17, 6, v13 :: v_dual_add_nc_u32 v2, v2, v8
                                        ; implicit-def: $vgpr8_vgpr9
	v_cmpx_ne_u32_e32 0, v17
	s_xor_b32 s13, exec_lo, s13
; %bb.3412:                             ;   in Loop: Header=BB4_2678 Depth=3
	s_delay_alu instid0(VALU_DEP_2) | instskip(SKIP_1) | instid1(VALU_DEP_1)
	v_cmp_lt_u64_e32 vcc_lo, 0xffffff, v[2:3]
	v_add_nc_u32_e32 v8, 7, v13
	v_cndmask_b32_e32 v12, v17, v8, vcc_lo
	v_cndmask_b32_e64 v8, 0, 1, vcc_lo
	s_delay_alu instid0(VALU_DEP_1)
	v_lshrrev_b64 v[8:9], v8, v[2:3]
; %bb.3413:                             ;   in Loop: Header=BB4_2678 Depth=3
	s_and_not1_saveexec_b32 s13, s13
; %bb.3414:                             ;   in Loop: Header=BB4_2678 Depth=3
	v_mov_b64_e32 v[8:9], v[2:3]
	v_bfe_u32 v12, v2, 23, 1
; %bb.3415:                             ;   in Loop: Header=BB4_2678 Depth=3
	s_or_b32 exec_lo, exec_lo, s13
	s_delay_alu instid0(VALU_DEP_2) | instskip(NEXT) | instid1(VALU_DEP_2)
	v_lshrrev_b64 v[8:9], 20, v[8:9]
	v_cmp_gt_i32_e32 vcc_lo, 16, v12
	v_min_i32_e32 v2, 15, v12
	v_cmp_eq_u32_e64 s13, 0, v12
	s_delay_alu instid0(VALU_DEP_2) | instskip(SKIP_1) | instid1(VALU_DEP_2)
	v_dual_cndmask_b32 v9, 0, v9 :: v_dual_lshlrev_b32 v2, 3, v2
	v_cndmask_b32_e32 v8, 7, v8, vcc_lo
	v_and_b32_e32 v2, 0xf8, v2
	s_delay_alu instid0(VALU_DEP_2) | instskip(NEXT) | instid1(VALU_DEP_2)
	v_cmp_eq_u64_e32 vcc_lo, 0, v[8:9]
	v_and_or_b32 v2, v8, 7, v2
	s_and_b32 s13, s13, vcc_lo
	s_delay_alu instid0(VALU_DEP_1) | instid1(SALU_CYCLE_1)
	v_cndmask_b32_e64 v2, v2, 0, s13
	s_delay_alu instid0(VALU_DEP_1)
	v_or_b32_e32 v17, v2, v18
.LBB4_3416:                             ;   in Loop: Header=BB4_2678 Depth=3
	s_or_b32 exec_lo, exec_lo, s74
                                        ; implicit-def: $vgpr18
.LBB4_3417:                             ;   in Loop: Header=BB4_2678 Depth=3
	s_and_not1_saveexec_b32 s13, s45
; %bb.3418:                             ;   in Loop: Header=BB4_2678 Depth=3
	v_or_b32_e32 v17, 0x7e, v18
; %bb.3419:                             ;   in Loop: Header=BB4_2678 Depth=3
	s_or_b32 exec_lo, exec_lo, s13
                                        ; implicit-def: $vgpr9
.LBB4_3420:                             ;   in Loop: Header=BB4_2678 Depth=3
	s_and_not1_saveexec_b32 s13, s44
; %bb.3421:                             ;   in Loop: Header=BB4_2678 Depth=3
	v_or_b32_e32 v17, 0x7f, v9
; %bb.3422:                             ;   in Loop: Header=BB4_2678 Depth=3
	s_or_b32 exec_lo, exec_lo, s13
	v_and_b32_e32 v9, 0xff, v14
	v_dual_mov_b32 v2, 0 :: v_dual_mov_b32 v8, 0
	s_mov_b32 s13, exec_lo
	s_delay_alu instid0(VALU_DEP_2)
	v_cmpx_ne_u16_e32 0, v9
	s_cbranch_execz .LBB4_3428
; %bb.3423:                             ;   in Loop: Header=BB4_2678 Depth=3
	v_bfrev_b32_e32 v8, 1
	s_mov_b32 s44, exec_lo
	v_cmpx_ne_u16_e32 0x80, v9
	s_cbranch_execz .LBB4_3427
; %bb.3424:                             ;   in Loop: Header=BB4_2678 Depth=3
	v_and_b32_e32 v9, 0x7f, v14
	v_mov_b32_e32 v8, 0x7f800001
	s_mov_b32 s45, exec_lo
	s_delay_alu instid0(VALU_DEP_2)
	v_cmpx_ne_u32_e32 0x7f, v9
	s_cbranch_execz .LBB4_3426
; %bb.3425:                             ;   in Loop: Header=BB4_2678 Depth=3
	v_dual_lshrrev_b32 v12, 3, v9 :: v_dual_bitop2_b32 v8, 7, v14 bitop3:0x40
	v_cmp_gt_u32_e32 vcc_lo, 8, v9
	s_delay_alu instid0(VALU_DEP_2) | instskip(NEXT) | instid1(VALU_DEP_1)
	v_clz_i32_u32_e32 v8, v8
	v_min_u32_e32 v8, 32, v8
	s_delay_alu instid0(VALU_DEP_1) | instskip(SKIP_1) | instid1(VALU_DEP_1)
	v_subrev_nc_u32_e32 v13, 28, v8
	v_sub_nc_u32_e32 v8, 29, v8
	v_dual_cndmask_b32 v12, v12, v8, vcc_lo :: v_dual_cndmask_b32 v8, 0, v13, vcc_lo
	s_delay_alu instid0(VALU_DEP_1) | instskip(NEXT) | instid1(VALU_DEP_2)
	v_lshl_add_u32 v12, v12, 23, 0x3c000000
	v_lshlrev_b64_e32 v[8:9], v8, v[14:15]
	v_lshlrev_b32_e32 v9, 24, v14
	s_delay_alu instid0(VALU_DEP_1) | instskip(NEXT) | instid1(VALU_DEP_3)
	v_and_b32_e32 v9, 0x80000000, v9
	v_lshlrev_b32_e32 v8, 20, v8
	s_delay_alu instid0(VALU_DEP_1) | instskip(NEXT) | instid1(VALU_DEP_1)
	v_and_b32_e32 v8, 0x700000, v8
	v_or3_b32 v8, v8, v9, v12
.LBB4_3426:                             ;   in Loop: Header=BB4_2678 Depth=3
	s_or_b32 exec_lo, exec_lo, s45
.LBB4_3427:                             ;   in Loop: Header=BB4_2678 Depth=3
	s_delay_alu instid0(SALU_CYCLE_1)
	s_or_b32 exec_lo, exec_lo, s44
.LBB4_3428:                             ;   in Loop: Header=BB4_2678 Depth=3
	s_delay_alu instid0(SALU_CYCLE_1) | instskip(SKIP_2) | instid1(VALU_DEP_1)
	s_or_b32 exec_lo, exec_lo, s13
	v_and_b32_e32 v9, 0xff, v10
	s_mov_b32 s13, exec_lo
	v_cmpx_ne_u16_e32 0, v9
	s_cbranch_execz .LBB4_3434
; %bb.3429:                             ;   in Loop: Header=BB4_2678 Depth=3
	v_bfrev_b32_e32 v2, 1
	s_mov_b32 s44, exec_lo
	v_cmpx_ne_u16_e32 0x80, v9
	s_cbranch_execz .LBB4_3433
; %bb.3430:                             ;   in Loop: Header=BB4_2678 Depth=3
	v_and_b32_e32 v9, 0x7f, v10
	v_mov_b32_e32 v2, 0x7f800001
	s_mov_b32 s45, exec_lo
	s_delay_alu instid0(VALU_DEP_2)
	v_cmpx_ne_u32_e32 0x7f, v9
	s_cbranch_execz .LBB4_3432
; %bb.3431:                             ;   in Loop: Header=BB4_2678 Depth=3
	v_dual_lshrrev_b32 v12, 3, v9 :: v_dual_bitop2_b32 v2, 7, v10 bitop3:0x40
	v_cmp_gt_u32_e32 vcc_lo, 8, v9
	s_delay_alu instid0(VALU_DEP_2) | instskip(NEXT) | instid1(VALU_DEP_1)
	v_clz_i32_u32_e32 v2, v2
	v_min_u32_e32 v2, 32, v2
	s_delay_alu instid0(VALU_DEP_1) | instskip(NEXT) | instid1(VALU_DEP_1)
	v_subrev_nc_u32_e32 v13, 28, v2
	v_dual_cndmask_b32 v9, 0, v13 :: v_dual_sub_nc_u32 v2, 29, v2
	s_delay_alu instid0(VALU_DEP_1) | instskip(NEXT) | instid1(VALU_DEP_2)
	v_cndmask_b32_e32 v2, v12, v2, vcc_lo
	v_lshlrev_b64_e32 v[12:13], v9, v[10:11]
	v_lshlrev_b32_e32 v9, 24, v10
	s_delay_alu instid0(VALU_DEP_1) | instskip(NEXT) | instid1(VALU_DEP_3)
	v_and_b32_e32 v9, 0x80000000, v9
	v_lshlrev_b32_e32 v12, 20, v12
	v_lshl_add_u32 v2, v2, 23, 0x3c000000
	s_delay_alu instid0(VALU_DEP_2) | instskip(NEXT) | instid1(VALU_DEP_1)
	v_and_b32_e32 v12, 0x700000, v12
	v_or3_b32 v2, v12, v9, v2
.LBB4_3432:                             ;   in Loop: Header=BB4_2678 Depth=3
	s_or_b32 exec_lo, exec_lo, s45
.LBB4_3433:                             ;   in Loop: Header=BB4_2678 Depth=3
	s_delay_alu instid0(SALU_CYCLE_1)
	s_or_b32 exec_lo, exec_lo, s44
.LBB4_3434:                             ;   in Loop: Header=BB4_2678 Depth=3
	s_delay_alu instid0(SALU_CYCLE_1) | instskip(NEXT) | instid1(VALU_DEP_1)
	s_or_b32 exec_lo, exec_lo, s13
	v_add_f32_e32 v8, v8, v2
                                        ; implicit-def: $vgpr18
	s_mov_b32 s13, exec_lo
	s_delay_alu instid0(VALU_DEP_1) | instskip(SKIP_1) | instid1(VALU_DEP_2)
	v_and_b32_e32 v2, 0x7f800000, v8
	v_lshrrev_b32_e32 v9, 24, v8
	v_cmpx_ne_u64_e32 0x7f800000, v[2:3]
	s_xor_b32 s44, exec_lo, s13
	s_cbranch_execz .LBB4_3448
; %bb.3435:                             ;   in Loop: Header=BB4_2678 Depth=3
	v_and_b32_e32 v2, 0x7fffffff, v8
	v_and_b32_e32 v19, 0x80, v9
                                        ; implicit-def: $vgpr18
	s_mov_b32 s13, exec_lo
	s_delay_alu instid0(VALU_DEP_2)
	v_cmpx_gt_u64_e32 0x43e00001, v[2:3]
	s_xor_b32 s45, exec_lo, s13
	s_cbranch_execz .LBB4_3445
; %bb.3436:                             ;   in Loop: Header=BB4_2678 Depth=3
	v_mov_b32_e32 v18, 0
	s_mov_b32 s74, exec_lo
	v_cmpx_ne_u32_e32 0, v8
	s_cbranch_execz .LBB4_3444
; %bb.3437:                             ;   in Loop: Header=BB4_2678 Depth=3
	v_bfe_u32 v18, v8, 23, 8
	v_and_b32_e32 v2, 0x7fffff, v8
	s_delay_alu instid0(VALU_DEP_2) | instskip(SKIP_2) | instid1(VALU_DEP_4)
	v_cmp_gt_u32_e64 s13, 0x7a, v18
	v_sub_nc_u32_e32 v8, 0x79, v18
	v_cmp_eq_u32_e32 vcc_lo, 0, v18
	v_or_b32_e32 v9, 0x800000, v2
	s_delay_alu instid0(VALU_DEP_1) | instskip(NEXT) | instid1(VALU_DEP_1)
	v_dual_cndmask_b32 v8, 0, v8, s13 :: v_dual_cndmask_b32 v2, v9, v2, vcc_lo
	v_cndmask_b32_e64 v24, v8, 0x78, vcc_lo
	s_delay_alu instid0(VALU_DEP_1) | instskip(NEXT) | instid1(VALU_DEP_1)
	v_dual_add_nc_u32 v8, 20, v24 :: v_dual_add_nc_u32 v12, 19, v24
	v_lshlrev_b64_e64 v[8:9], v8, -1
	s_delay_alu instid0(VALU_DEP_2) | instskip(NEXT) | instid1(VALU_DEP_2)
	v_lshlrev_b64_e64 v[12:13], v12, 1
	v_bfi_b32 v9, v9, 0, 0
	s_delay_alu instid0(VALU_DEP_3) | instskip(NEXT) | instid1(VALU_DEP_1)
	v_bfi_b32 v8, v8, 0, v2
	v_cmp_eq_u64_e64 s13, v[8:9], v[12:13]
	v_lshrrev_b64 v[8:9], v24, v[2:3]
	s_delay_alu instid0(VALU_DEP_1)
	v_mov_b64_e32 v[12:13], v[8:9]
	s_and_saveexec_b32 s75, s13
; %bb.3438:                             ;   in Loop: Header=BB4_2678 Depth=3
	v_bfe_u32 v2, v8, 20, 1
	s_delay_alu instid0(VALU_DEP_1) | instskip(NEXT) | instid1(VALU_DEP_1)
	v_add_nc_u64_e32 v[12:13], v[8:9], v[2:3]
	v_add_nc_u64_e32 v[12:13], -1, v[12:13]
; %bb.3439:                             ;   in Loop: Header=BB4_2678 Depth=3
	s_or_b32 exec_lo, exec_lo, s75
	v_add_nc_u32_e32 v2, 0xffffff81, v18
	v_lshrrev_b32_e32 v9, 23, v8
	s_mov_b32 s13, exec_lo
	s_delay_alu instid0(VALU_DEP_2) | instskip(NEXT) | instid1(VALU_DEP_1)
	v_cndmask_b32_e64 v2, v2, 0xffffff82, vcc_lo
	v_add3_u32 v13, v24, v2, v9
	v_and_b32_e32 v2, 0xfffff, v12
                                        ; implicit-def: $vgpr12
	s_delay_alu instid0(VALU_DEP_1) | instskip(NEXT) | instid1(VALU_DEP_1)
	v_dual_add_nc_u32 v18, 6, v13 :: v_dual_add_nc_u32 v2, v2, v8
                                        ; implicit-def: $vgpr8_vgpr9
	v_cmpx_ne_u32_e32 0, v18
	s_xor_b32 s13, exec_lo, s13
; %bb.3440:                             ;   in Loop: Header=BB4_2678 Depth=3
	s_delay_alu instid0(VALU_DEP_2) | instskip(SKIP_1) | instid1(VALU_DEP_1)
	v_cmp_lt_u64_e32 vcc_lo, 0xffffff, v[2:3]
	v_add_nc_u32_e32 v8, 7, v13
	v_cndmask_b32_e32 v12, v18, v8, vcc_lo
	v_cndmask_b32_e64 v8, 0, 1, vcc_lo
	s_delay_alu instid0(VALU_DEP_1)
	v_lshrrev_b64 v[8:9], v8, v[2:3]
; %bb.3441:                             ;   in Loop: Header=BB4_2678 Depth=3
	s_and_not1_saveexec_b32 s13, s13
; %bb.3442:                             ;   in Loop: Header=BB4_2678 Depth=3
	v_mov_b64_e32 v[8:9], v[2:3]
	v_bfe_u32 v12, v2, 23, 1
; %bb.3443:                             ;   in Loop: Header=BB4_2678 Depth=3
	s_or_b32 exec_lo, exec_lo, s13
	s_delay_alu instid0(VALU_DEP_2) | instskip(NEXT) | instid1(VALU_DEP_2)
	v_lshrrev_b64 v[8:9], 20, v[8:9]
	v_cmp_gt_i32_e32 vcc_lo, 16, v12
	v_min_i32_e32 v2, 15, v12
	v_cmp_eq_u32_e64 s13, 0, v12
	s_delay_alu instid0(VALU_DEP_2) | instskip(SKIP_1) | instid1(VALU_DEP_2)
	v_dual_cndmask_b32 v9, 0, v9 :: v_dual_lshlrev_b32 v2, 3, v2
	v_cndmask_b32_e32 v8, 7, v8, vcc_lo
	v_and_b32_e32 v2, 0xf8, v2
	s_delay_alu instid0(VALU_DEP_2) | instskip(NEXT) | instid1(VALU_DEP_2)
	v_cmp_eq_u64_e32 vcc_lo, 0, v[8:9]
	v_and_or_b32 v2, v8, 7, v2
	s_and_b32 s13, s13, vcc_lo
	s_delay_alu instid0(VALU_DEP_1) | instid1(SALU_CYCLE_1)
	v_cndmask_b32_e64 v2, v2, 0, s13
	s_delay_alu instid0(VALU_DEP_1)
	v_or_b32_e32 v18, v2, v19
.LBB4_3444:                             ;   in Loop: Header=BB4_2678 Depth=3
	s_or_b32 exec_lo, exec_lo, s74
                                        ; implicit-def: $vgpr19
.LBB4_3445:                             ;   in Loop: Header=BB4_2678 Depth=3
	s_and_not1_saveexec_b32 s13, s45
; %bb.3446:                             ;   in Loop: Header=BB4_2678 Depth=3
	v_or_b32_e32 v18, 0x7e, v19
; %bb.3447:                             ;   in Loop: Header=BB4_2678 Depth=3
	s_or_b32 exec_lo, exec_lo, s13
                                        ; implicit-def: $vgpr9
.LBB4_3448:                             ;   in Loop: Header=BB4_2678 Depth=3
	s_and_not1_saveexec_b32 s13, s44
; %bb.3449:                             ;   in Loop: Header=BB4_2678 Depth=3
	v_or_b32_e32 v18, 0x7f, v9
; %bb.3450:                             ;   in Loop: Header=BB4_2678 Depth=3
	s_or_b32 exec_lo, exec_lo, s13
	v_lshrrev_b16 v2, 8, v14
	v_dual_mov_b32 v12, 0 :: v_dual_mov_b32 v13, 0
	s_mov_b32 s13, exec_lo
	s_delay_alu instid0(VALU_DEP_2)
	v_cmpx_ne_u16_e32 0, v2
	s_cbranch_execz .LBB4_3458
; %bb.3451:                             ;   in Loop: Header=BB4_2678 Depth=3
	v_bfrev_b32_e32 v13, 1
	s_mov_b32 s44, exec_lo
	v_cmpx_ne_u16_e32 0x80, v2
	s_cbranch_execz .LBB4_3457
; %bb.3452:                             ;   in Loop: Header=BB4_2678 Depth=3
	v_and_b32_e32 v2, 0xffff, v2
	v_mov_b32_e32 v13, 0x7f800001
	s_mov_b32 s45, exec_lo
	s_delay_alu instid0(VALU_DEP_2) | instskip(NEXT) | instid1(VALU_DEP_1)
	v_and_b32_e32 v8, 0x7f, v2
	v_cmpx_ne_u32_e32 0x7f, v8
	s_cbranch_execz .LBB4_3456
; %bb.3453:                             ;   in Loop: Header=BB4_2678 Depth=3
	v_dual_lshrrev_b32 v13, 3, v8 :: v_dual_bitop2_b32 v2, 7, v2 bitop3:0x40
	v_cmp_gt_u32_e32 vcc_lo, 8, v8
	s_delay_alu instid0(VALU_DEP_2)
	v_mov_b64_e32 v[8:9], v[2:3]
	s_and_saveexec_b32 s74, vcc_lo
; %bb.3454:                             ;   in Loop: Header=BB4_2678 Depth=3
	v_clz_i32_u32_e32 v8, v2
	s_delay_alu instid0(VALU_DEP_1) | instskip(NEXT) | instid1(VALU_DEP_1)
	v_min_u32_e32 v13, 32, v8
	v_subrev_nc_u32_e32 v8, 28, v13
	s_delay_alu instid0(VALU_DEP_1) | instskip(NEXT) | instid1(VALU_DEP_1)
	v_lshlrev_b64_e32 v[8:9], v8, v[2:3]
	v_dual_sub_nc_u32 v13, 29, v13 :: v_dual_bitop2_b32 v8, 7, v8 bitop3:0x40
; %bb.3455:                             ;   in Loop: Header=BB4_2678 Depth=3
	s_or_b32 exec_lo, exec_lo, s74
	s_delay_alu instid0(VALU_DEP_1) | instskip(NEXT) | instid1(VALU_DEP_2)
	v_dual_lshlrev_b32 v2, 16, v14 :: v_dual_lshlrev_b32 v8, 20, v8
	v_lshl_add_u32 v9, v13, 23, 0x3c000000
	s_delay_alu instid0(VALU_DEP_2) | instskip(NEXT) | instid1(VALU_DEP_1)
	v_and_b32_e32 v2, 0x80000000, v2
	v_or3_b32 v13, v8, v2, v9
.LBB4_3456:                             ;   in Loop: Header=BB4_2678 Depth=3
	s_or_b32 exec_lo, exec_lo, s45
.LBB4_3457:                             ;   in Loop: Header=BB4_2678 Depth=3
	s_delay_alu instid0(SALU_CYCLE_1)
	s_or_b32 exec_lo, exec_lo, s44
.LBB4_3458:                             ;   in Loop: Header=BB4_2678 Depth=3
	s_delay_alu instid0(SALU_CYCLE_1) | instskip(SKIP_2) | instid1(VALU_DEP_1)
	s_or_b32 exec_lo, exec_lo, s13
	v_lshrrev_b16 v2, 8, v10
	s_mov_b32 s13, exec_lo
	v_cmpx_ne_u16_e32 0, v2
	s_cbranch_execz .LBB4_3466
; %bb.3459:                             ;   in Loop: Header=BB4_2678 Depth=3
	v_bfrev_b32_e32 v12, 1
	s_mov_b32 s44, exec_lo
	v_cmpx_ne_u16_e32 0x80, v2
	s_cbranch_execz .LBB4_3465
; %bb.3460:                             ;   in Loop: Header=BB4_2678 Depth=3
	v_and_b32_e32 v2, 0xffff, v2
	v_mov_b32_e32 v12, 0x7f800001
	s_mov_b32 s45, exec_lo
	s_delay_alu instid0(VALU_DEP_2) | instskip(NEXT) | instid1(VALU_DEP_1)
	v_and_b32_e32 v8, 0x7f, v2
	v_cmpx_ne_u32_e32 0x7f, v8
	s_cbranch_execz .LBB4_3464
; %bb.3461:                             ;   in Loop: Header=BB4_2678 Depth=3
	v_dual_lshrrev_b32 v12, 3, v8 :: v_dual_bitop2_b32 v2, 7, v2 bitop3:0x40
	v_cmp_gt_u32_e32 vcc_lo, 8, v8
	s_delay_alu instid0(VALU_DEP_2)
	v_mov_b64_e32 v[8:9], v[2:3]
	s_and_saveexec_b32 s74, vcc_lo
; %bb.3462:                             ;   in Loop: Header=BB4_2678 Depth=3
	v_clz_i32_u32_e32 v8, v2
	s_delay_alu instid0(VALU_DEP_1) | instskip(NEXT) | instid1(VALU_DEP_1)
	v_min_u32_e32 v12, 32, v8
	v_subrev_nc_u32_e32 v8, 28, v12
	v_sub_nc_u32_e32 v12, 29, v12
	s_delay_alu instid0(VALU_DEP_2) | instskip(NEXT) | instid1(VALU_DEP_1)
	v_lshlrev_b64_e32 v[8:9], v8, v[2:3]
	v_and_b32_e32 v8, 7, v8
; %bb.3463:                             ;   in Loop: Header=BB4_2678 Depth=3
	s_or_b32 exec_lo, exec_lo, s74
	s_delay_alu instid0(VALU_DEP_1) | instskip(SKIP_1) | instid1(VALU_DEP_2)
	v_dual_lshlrev_b32 v2, 16, v10 :: v_dual_lshlrev_b32 v8, 20, v8
	v_lshl_add_u32 v9, v12, 23, 0x3c000000
	v_and_b32_e32 v2, 0x80000000, v2
	s_delay_alu instid0(VALU_DEP_1)
	v_or3_b32 v12, v8, v2, v9
.LBB4_3464:                             ;   in Loop: Header=BB4_2678 Depth=3
	s_or_b32 exec_lo, exec_lo, s45
.LBB4_3465:                             ;   in Loop: Header=BB4_2678 Depth=3
	s_delay_alu instid0(SALU_CYCLE_1)
	s_or_b32 exec_lo, exec_lo, s44
.LBB4_3466:                             ;   in Loop: Header=BB4_2678 Depth=3
	s_delay_alu instid0(SALU_CYCLE_1) | instskip(NEXT) | instid1(VALU_DEP_1)
	s_or_b32 exec_lo, exec_lo, s13
	v_add_f32_e32 v8, v13, v12
                                        ; implicit-def: $vgpr19
	s_mov_b32 s13, exec_lo
	s_delay_alu instid0(VALU_DEP_1) | instskip(SKIP_1) | instid1(VALU_DEP_2)
	v_and_b32_e32 v2, 0x7f800000, v8
	v_lshrrev_b32_e32 v9, 24, v8
	v_cmpx_ne_u64_e32 0x7f800000, v[2:3]
	s_xor_b32 s44, exec_lo, s13
	s_cbranch_execz .LBB4_3480
; %bb.3467:                             ;   in Loop: Header=BB4_2678 Depth=3
	v_and_b32_e32 v2, 0x7fffffff, v8
	v_and_b32_e32 v26, 0x80, v9
                                        ; implicit-def: $vgpr19
	s_mov_b32 s13, exec_lo
	s_delay_alu instid0(VALU_DEP_2)
	v_cmpx_gt_u64_e32 0x43e00001, v[2:3]
	s_xor_b32 s45, exec_lo, s13
	s_cbranch_execz .LBB4_3477
; %bb.3468:                             ;   in Loop: Header=BB4_2678 Depth=3
	v_mov_b32_e32 v19, 0
	s_mov_b32 s74, exec_lo
	v_cmpx_ne_u32_e32 0, v8
	s_cbranch_execz .LBB4_3476
; %bb.3469:                             ;   in Loop: Header=BB4_2678 Depth=3
	v_bfe_u32 v19, v8, 23, 8
	v_and_b32_e32 v2, 0x7fffff, v8
	s_delay_alu instid0(VALU_DEP_2) | instskip(SKIP_2) | instid1(VALU_DEP_4)
	v_cmp_gt_u32_e64 s13, 0x7a, v19
	v_sub_nc_u32_e32 v8, 0x79, v19
	v_cmp_eq_u32_e32 vcc_lo, 0, v19
	v_or_b32_e32 v9, 0x800000, v2
	s_delay_alu instid0(VALU_DEP_1) | instskip(NEXT) | instid1(VALU_DEP_1)
	v_dual_cndmask_b32 v8, 0, v8, s13 :: v_dual_cndmask_b32 v2, v9, v2, vcc_lo
	v_cndmask_b32_e64 v24, v8, 0x78, vcc_lo
	s_delay_alu instid0(VALU_DEP_1) | instskip(NEXT) | instid1(VALU_DEP_1)
	v_dual_add_nc_u32 v8, 20, v24 :: v_dual_add_nc_u32 v12, 19, v24
	v_lshlrev_b64_e64 v[8:9], v8, -1
	s_delay_alu instid0(VALU_DEP_2) | instskip(NEXT) | instid1(VALU_DEP_2)
	v_lshlrev_b64_e64 v[12:13], v12, 1
	v_bfi_b32 v9, v9, 0, 0
	s_delay_alu instid0(VALU_DEP_3) | instskip(NEXT) | instid1(VALU_DEP_1)
	v_bfi_b32 v8, v8, 0, v2
	v_cmp_eq_u64_e64 s13, v[8:9], v[12:13]
	v_lshrrev_b64 v[8:9], v24, v[2:3]
	s_delay_alu instid0(VALU_DEP_1)
	v_mov_b64_e32 v[12:13], v[8:9]
	s_and_saveexec_b32 s75, s13
; %bb.3470:                             ;   in Loop: Header=BB4_2678 Depth=3
	v_bfe_u32 v2, v8, 20, 1
	s_delay_alu instid0(VALU_DEP_1) | instskip(NEXT) | instid1(VALU_DEP_1)
	v_add_nc_u64_e32 v[12:13], v[8:9], v[2:3]
	v_add_nc_u64_e32 v[12:13], -1, v[12:13]
; %bb.3471:                             ;   in Loop: Header=BB4_2678 Depth=3
	s_or_b32 exec_lo, exec_lo, s75
	v_add_nc_u32_e32 v2, 0xffffff81, v19
	v_lshrrev_b32_e32 v9, 23, v8
	s_mov_b32 s13, exec_lo
	s_delay_alu instid0(VALU_DEP_2) | instskip(NEXT) | instid1(VALU_DEP_1)
	v_cndmask_b32_e64 v2, v2, 0xffffff82, vcc_lo
	v_add3_u32 v13, v24, v2, v9
	v_and_b32_e32 v2, 0xfffff, v12
                                        ; implicit-def: $vgpr12
	s_delay_alu instid0(VALU_DEP_1) | instskip(NEXT) | instid1(VALU_DEP_1)
	v_dual_add_nc_u32 v19, 6, v13 :: v_dual_add_nc_u32 v2, v2, v8
                                        ; implicit-def: $vgpr8_vgpr9
	v_cmpx_ne_u32_e32 0, v19
	s_xor_b32 s13, exec_lo, s13
; %bb.3472:                             ;   in Loop: Header=BB4_2678 Depth=3
	s_delay_alu instid0(VALU_DEP_2) | instskip(SKIP_1) | instid1(VALU_DEP_1)
	v_cmp_lt_u64_e32 vcc_lo, 0xffffff, v[2:3]
	v_add_nc_u32_e32 v8, 7, v13
	v_cndmask_b32_e32 v12, v19, v8, vcc_lo
	v_cndmask_b32_e64 v8, 0, 1, vcc_lo
	s_delay_alu instid0(VALU_DEP_1)
	v_lshrrev_b64 v[8:9], v8, v[2:3]
; %bb.3473:                             ;   in Loop: Header=BB4_2678 Depth=3
	s_and_not1_saveexec_b32 s13, s13
; %bb.3474:                             ;   in Loop: Header=BB4_2678 Depth=3
	v_mov_b64_e32 v[8:9], v[2:3]
	v_bfe_u32 v12, v2, 23, 1
; %bb.3475:                             ;   in Loop: Header=BB4_2678 Depth=3
	s_or_b32 exec_lo, exec_lo, s13
	s_delay_alu instid0(VALU_DEP_2) | instskip(NEXT) | instid1(VALU_DEP_2)
	v_lshrrev_b64 v[8:9], 20, v[8:9]
	v_cmp_gt_i32_e32 vcc_lo, 16, v12
	v_min_i32_e32 v2, 15, v12
	v_cmp_eq_u32_e64 s13, 0, v12
	s_delay_alu instid0(VALU_DEP_2) | instskip(SKIP_1) | instid1(VALU_DEP_2)
	v_dual_cndmask_b32 v9, 0, v9 :: v_dual_lshlrev_b32 v2, 3, v2
	v_cndmask_b32_e32 v8, 7, v8, vcc_lo
	v_and_b32_e32 v2, 0xf8, v2
	s_delay_alu instid0(VALU_DEP_2) | instskip(NEXT) | instid1(VALU_DEP_2)
	v_cmp_eq_u64_e32 vcc_lo, 0, v[8:9]
	v_and_or_b32 v2, v8, 7, v2
	s_and_b32 s13, s13, vcc_lo
	s_delay_alu instid0(VALU_DEP_1) | instid1(SALU_CYCLE_1)
	v_cndmask_b32_e64 v2, v2, 0, s13
	s_delay_alu instid0(VALU_DEP_1)
	v_or_b32_e32 v19, v2, v26
.LBB4_3476:                             ;   in Loop: Header=BB4_2678 Depth=3
	s_or_b32 exec_lo, exec_lo, s74
                                        ; implicit-def: $vgpr26
.LBB4_3477:                             ;   in Loop: Header=BB4_2678 Depth=3
	s_and_not1_saveexec_b32 s13, s45
; %bb.3478:                             ;   in Loop: Header=BB4_2678 Depth=3
	v_or_b32_e32 v19, 0x7e, v26
; %bb.3479:                             ;   in Loop: Header=BB4_2678 Depth=3
	s_or_b32 exec_lo, exec_lo, s13
                                        ; implicit-def: $vgpr9
.LBB4_3480:                             ;   in Loop: Header=BB4_2678 Depth=3
	s_and_not1_saveexec_b32 s13, s44
; %bb.3481:                             ;   in Loop: Header=BB4_2678 Depth=3
	v_or_b32_e32 v19, 0x7f, v9
; %bb.3482:                             ;   in Loop: Header=BB4_2678 Depth=3
	s_or_b32 exec_lo, exec_lo, s13
	v_dual_lshrrev_b32 v24, 16, v14 :: v_dual_mov_b32 v12, 0
	v_mov_b32_e32 v13, 0
	s_mov_b32 s13, exec_lo
	s_delay_alu instid0(VALU_DEP_2) | instskip(NEXT) | instid1(VALU_DEP_1)
	v_and_b32_e32 v2, 0xff, v24
	v_cmpx_ne_u16_e32 0, v2
	s_cbranch_execz .LBB4_3490
; %bb.3483:                             ;   in Loop: Header=BB4_2678 Depth=3
	v_bfrev_b32_e32 v13, 1
	s_mov_b32 s44, exec_lo
	v_cmpx_ne_u16_e32 0x80, v2
	s_cbranch_execz .LBB4_3489
; %bb.3484:                             ;   in Loop: Header=BB4_2678 Depth=3
	v_bfe_u32 v8, v14, 16, 7
	v_mov_b32_e32 v13, 0x7f800001
	s_mov_b32 s45, exec_lo
	s_delay_alu instid0(VALU_DEP_2)
	v_cmpx_ne_u32_e32 0x7f, v8
	s_cbranch_execz .LBB4_3488
; %bb.3485:                             ;   in Loop: Header=BB4_2678 Depth=3
	v_and_b32_e32 v2, 7, v24
	v_lshrrev_b32_e32 v13, 3, v8
	v_cmp_gt_u32_e32 vcc_lo, 8, v8
	s_delay_alu instid0(VALU_DEP_3)
	v_mov_b64_e32 v[8:9], v[2:3]
	s_and_saveexec_b32 s74, vcc_lo
; %bb.3486:                             ;   in Loop: Header=BB4_2678 Depth=3
	v_clz_i32_u32_e32 v8, v2
	s_delay_alu instid0(VALU_DEP_1) | instskip(NEXT) | instid1(VALU_DEP_1)
	v_min_u32_e32 v13, 32, v8
	v_subrev_nc_u32_e32 v8, 28, v13
	s_delay_alu instid0(VALU_DEP_1) | instskip(NEXT) | instid1(VALU_DEP_1)
	v_lshlrev_b64_e32 v[8:9], v8, v[2:3]
	v_dual_sub_nc_u32 v13, 29, v13 :: v_dual_bitop2_b32 v8, 7, v8 bitop3:0x40
; %bb.3487:                             ;   in Loop: Header=BB4_2678 Depth=3
	s_or_b32 exec_lo, exec_lo, s74
	v_lshlrev_b32_e32 v2, 24, v24
	s_delay_alu instid0(VALU_DEP_2) | instskip(NEXT) | instid1(VALU_DEP_3)
	v_lshlrev_b32_e32 v8, 20, v8
	v_lshl_add_u32 v9, v13, 23, 0x3c000000
	s_delay_alu instid0(VALU_DEP_3) | instskip(NEXT) | instid1(VALU_DEP_1)
	v_and_b32_e32 v2, 0x80000000, v2
	v_or3_b32 v13, v8, v2, v9
.LBB4_3488:                             ;   in Loop: Header=BB4_2678 Depth=3
	s_or_b32 exec_lo, exec_lo, s45
.LBB4_3489:                             ;   in Loop: Header=BB4_2678 Depth=3
	s_delay_alu instid0(SALU_CYCLE_1)
	s_or_b32 exec_lo, exec_lo, s44
.LBB4_3490:                             ;   in Loop: Header=BB4_2678 Depth=3
	s_delay_alu instid0(SALU_CYCLE_1) | instskip(SKIP_2) | instid1(VALU_DEP_1)
	s_or_b32 exec_lo, exec_lo, s13
	v_lshrrev_b32_e32 v2, 16, v10
	s_mov_b32 s13, exec_lo
	v_and_b32_e32 v8, 0xff, v2
	s_delay_alu instid0(VALU_DEP_1)
	v_cmpx_ne_u16_e32 0, v8
	s_cbranch_execz .LBB4_3498
; %bb.3491:                             ;   in Loop: Header=BB4_2678 Depth=3
	v_bfrev_b32_e32 v12, 1
	s_mov_b32 s44, exec_lo
	v_cmpx_ne_u16_e32 0x80, v8
	s_cbranch_execz .LBB4_3497
; %bb.3492:                             ;   in Loop: Header=BB4_2678 Depth=3
	v_bfe_u32 v8, v10, 16, 7
	v_mov_b32_e32 v12, 0x7f800001
	s_mov_b32 s45, exec_lo
	s_delay_alu instid0(VALU_DEP_2)
	v_cmpx_ne_u32_e32 0x7f, v8
	s_cbranch_execz .LBB4_3496
; %bb.3493:                             ;   in Loop: Header=BB4_2678 Depth=3
	v_dual_lshrrev_b32 v12, 3, v8 :: v_dual_bitop2_b32 v2, 7, v2 bitop3:0x40
	v_cmp_gt_u32_e32 vcc_lo, 8, v8
	s_delay_alu instid0(VALU_DEP_2)
	v_mov_b64_e32 v[8:9], v[2:3]
	s_and_saveexec_b32 s74, vcc_lo
; %bb.3494:                             ;   in Loop: Header=BB4_2678 Depth=3
	v_clz_i32_u32_e32 v8, v2
	s_delay_alu instid0(VALU_DEP_1) | instskip(NEXT) | instid1(VALU_DEP_1)
	v_min_u32_e32 v12, 32, v8
	v_subrev_nc_u32_e32 v8, 28, v12
	v_sub_nc_u32_e32 v12, 29, v12
	s_delay_alu instid0(VALU_DEP_2) | instskip(NEXT) | instid1(VALU_DEP_1)
	v_lshlrev_b64_e32 v[8:9], v8, v[2:3]
	v_and_b32_e32 v8, 7, v8
; %bb.3495:                             ;   in Loop: Header=BB4_2678 Depth=3
	s_or_b32 exec_lo, exec_lo, s74
	s_delay_alu instid0(VALU_DEP_1) | instskip(SKIP_1) | instid1(VALU_DEP_2)
	v_dual_lshlrev_b32 v2, 8, v10 :: v_dual_lshlrev_b32 v8, 20, v8
	v_lshl_add_u32 v9, v12, 23, 0x3c000000
	v_and_b32_e32 v2, 0x80000000, v2
	s_delay_alu instid0(VALU_DEP_1)
	v_or3_b32 v12, v8, v2, v9
.LBB4_3496:                             ;   in Loop: Header=BB4_2678 Depth=3
	s_or_b32 exec_lo, exec_lo, s45
.LBB4_3497:                             ;   in Loop: Header=BB4_2678 Depth=3
	s_delay_alu instid0(SALU_CYCLE_1)
	s_or_b32 exec_lo, exec_lo, s44
.LBB4_3498:                             ;   in Loop: Header=BB4_2678 Depth=3
	s_delay_alu instid0(SALU_CYCLE_1) | instskip(NEXT) | instid1(VALU_DEP_1)
	s_or_b32 exec_lo, exec_lo, s13
	v_add_f32_e32 v8, v13, v12
                                        ; implicit-def: $vgpr26
	s_mov_b32 s13, exec_lo
	s_delay_alu instid0(VALU_DEP_1) | instskip(SKIP_1) | instid1(VALU_DEP_2)
	v_and_b32_e32 v2, 0x7f800000, v8
	v_lshrrev_b32_e32 v9, 24, v8
	v_cmpx_ne_u64_e32 0x7f800000, v[2:3]
	s_xor_b32 s44, exec_lo, s13
	s_cbranch_execz .LBB4_3512
; %bb.3499:                             ;   in Loop: Header=BB4_2678 Depth=3
	v_and_b32_e32 v2, 0x7fffffff, v8
	v_and_b32_e32 v27, 0x80, v9
                                        ; implicit-def: $vgpr26
	s_mov_b32 s13, exec_lo
	s_delay_alu instid0(VALU_DEP_2)
	v_cmpx_gt_u64_e32 0x43e00001, v[2:3]
	s_xor_b32 s45, exec_lo, s13
	s_cbranch_execz .LBB4_3509
; %bb.3500:                             ;   in Loop: Header=BB4_2678 Depth=3
	v_mov_b32_e32 v26, 0
	s_mov_b32 s74, exec_lo
	v_cmpx_ne_u32_e32 0, v8
	s_cbranch_execz .LBB4_3508
; %bb.3501:                             ;   in Loop: Header=BB4_2678 Depth=3
	v_bfe_u32 v26, v8, 23, 8
	v_and_b32_e32 v2, 0x7fffff, v8
	s_delay_alu instid0(VALU_DEP_2) | instskip(SKIP_2) | instid1(VALU_DEP_4)
	v_cmp_gt_u32_e64 s13, 0x7a, v26
	v_sub_nc_u32_e32 v8, 0x79, v26
	v_cmp_eq_u32_e32 vcc_lo, 0, v26
	v_or_b32_e32 v9, 0x800000, v2
	s_delay_alu instid0(VALU_DEP_1) | instskip(NEXT) | instid1(VALU_DEP_1)
	v_dual_cndmask_b32 v8, 0, v8, s13 :: v_dual_cndmask_b32 v2, v9, v2, vcc_lo
	v_cndmask_b32_e64 v24, v8, 0x78, vcc_lo
	s_delay_alu instid0(VALU_DEP_1) | instskip(NEXT) | instid1(VALU_DEP_1)
	v_dual_add_nc_u32 v8, 20, v24 :: v_dual_add_nc_u32 v12, 19, v24
	v_lshlrev_b64_e64 v[8:9], v8, -1
	s_delay_alu instid0(VALU_DEP_2) | instskip(NEXT) | instid1(VALU_DEP_2)
	v_lshlrev_b64_e64 v[12:13], v12, 1
	v_bfi_b32 v9, v9, 0, 0
	s_delay_alu instid0(VALU_DEP_3) | instskip(NEXT) | instid1(VALU_DEP_1)
	v_bfi_b32 v8, v8, 0, v2
	v_cmp_eq_u64_e64 s13, v[8:9], v[12:13]
	v_lshrrev_b64 v[8:9], v24, v[2:3]
	s_delay_alu instid0(VALU_DEP_1)
	v_mov_b64_e32 v[12:13], v[8:9]
	s_and_saveexec_b32 s75, s13
; %bb.3502:                             ;   in Loop: Header=BB4_2678 Depth=3
	v_bfe_u32 v2, v8, 20, 1
	s_delay_alu instid0(VALU_DEP_1) | instskip(NEXT) | instid1(VALU_DEP_1)
	v_add_nc_u64_e32 v[12:13], v[8:9], v[2:3]
	v_add_nc_u64_e32 v[12:13], -1, v[12:13]
; %bb.3503:                             ;   in Loop: Header=BB4_2678 Depth=3
	s_or_b32 exec_lo, exec_lo, s75
	v_add_nc_u32_e32 v2, 0xffffff81, v26
	v_lshrrev_b32_e32 v9, 23, v8
	s_mov_b32 s13, exec_lo
	s_delay_alu instid0(VALU_DEP_2) | instskip(NEXT) | instid1(VALU_DEP_1)
	v_cndmask_b32_e64 v2, v2, 0xffffff82, vcc_lo
	v_add3_u32 v24, v24, v2, v9
	v_and_b32_e32 v2, 0xfffff, v12
                                        ; implicit-def: $vgpr12
	s_delay_alu instid0(VALU_DEP_2) | instskip(NEXT) | instid1(VALU_DEP_2)
	v_add_nc_u32_e32 v13, 6, v24
	v_add_nc_u32_e32 v2, v2, v8
                                        ; implicit-def: $vgpr8_vgpr9
	s_delay_alu instid0(VALU_DEP_2)
	v_cmpx_ne_u32_e32 0, v13
	s_xor_b32 s13, exec_lo, s13
; %bb.3504:                             ;   in Loop: Header=BB4_2678 Depth=3
	s_delay_alu instid0(VALU_DEP_2) | instskip(SKIP_1) | instid1(VALU_DEP_1)
	v_cmp_lt_u64_e32 vcc_lo, 0xffffff, v[2:3]
	v_add_nc_u32_e32 v8, 7, v24
	v_cndmask_b32_e32 v12, v13, v8, vcc_lo
	v_cndmask_b32_e64 v8, 0, 1, vcc_lo
	s_delay_alu instid0(VALU_DEP_1)
	v_lshrrev_b64 v[8:9], v8, v[2:3]
; %bb.3505:                             ;   in Loop: Header=BB4_2678 Depth=3
	s_and_not1_saveexec_b32 s13, s13
; %bb.3506:                             ;   in Loop: Header=BB4_2678 Depth=3
	v_mov_b64_e32 v[8:9], v[2:3]
	v_bfe_u32 v12, v2, 23, 1
; %bb.3507:                             ;   in Loop: Header=BB4_2678 Depth=3
	s_or_b32 exec_lo, exec_lo, s13
	s_delay_alu instid0(VALU_DEP_2) | instskip(NEXT) | instid1(VALU_DEP_2)
	v_lshrrev_b64 v[8:9], 20, v[8:9]
	v_cmp_gt_i32_e32 vcc_lo, 16, v12
	v_min_i32_e32 v2, 15, v12
	v_cmp_eq_u32_e64 s13, 0, v12
	s_delay_alu instid0(VALU_DEP_2) | instskip(SKIP_1) | instid1(VALU_DEP_2)
	v_dual_cndmask_b32 v9, 0, v9 :: v_dual_lshlrev_b32 v2, 3, v2
	v_cndmask_b32_e32 v8, 7, v8, vcc_lo
	v_and_b32_e32 v2, 0xf8, v2
	s_delay_alu instid0(VALU_DEP_2) | instskip(NEXT) | instid1(VALU_DEP_2)
	v_cmp_eq_u64_e32 vcc_lo, 0, v[8:9]
	v_and_or_b32 v2, v8, 7, v2
	s_and_b32 s13, s13, vcc_lo
	s_delay_alu instid0(VALU_DEP_1) | instid1(SALU_CYCLE_1)
	v_cndmask_b32_e64 v2, v2, 0, s13
	s_delay_alu instid0(VALU_DEP_1)
	v_or_b32_e32 v26, v2, v27
.LBB4_3508:                             ;   in Loop: Header=BB4_2678 Depth=3
	s_or_b32 exec_lo, exec_lo, s74
                                        ; implicit-def: $vgpr27
.LBB4_3509:                             ;   in Loop: Header=BB4_2678 Depth=3
	s_and_not1_saveexec_b32 s13, s45
; %bb.3510:                             ;   in Loop: Header=BB4_2678 Depth=3
	v_or_b32_e32 v26, 0x7e, v27
; %bb.3511:                             ;   in Loop: Header=BB4_2678 Depth=3
	s_or_b32 exec_lo, exec_lo, s13
                                        ; implicit-def: $vgpr9
.LBB4_3512:                             ;   in Loop: Header=BB4_2678 Depth=3
	s_and_not1_saveexec_b32 s13, s44
; %bb.3513:                             ;   in Loop: Header=BB4_2678 Depth=3
	v_or_b32_e32 v26, 0x7f, v9
; %bb.3514:                             ;   in Loop: Header=BB4_2678 Depth=3
	s_or_b32 exec_lo, exec_lo, s13
	v_dual_mov_b32 v12, 0 :: v_dual_mov_b32 v13, 0
	s_mov_b32 s13, exec_lo
	v_cmpx_lt_u32_e32 0xffffff, v14
	s_cbranch_execz .LBB4_3522
; %bb.3515:                             ;   in Loop: Header=BB4_2678 Depth=3
	v_lshrrev_b32_e32 v24, 24, v14
	v_bfrev_b32_e32 v13, 1
	s_mov_b32 s44, exec_lo
	s_delay_alu instid0(VALU_DEP_2)
	v_cmpx_ne_u32_e32 0x80, v24
	s_cbranch_execz .LBB4_3521
; %bb.3516:                             ;   in Loop: Header=BB4_2678 Depth=3
	v_bfe_u32 v8, v14, 24, 7
	v_mov_b32_e32 v13, 0x7f800001
	s_mov_b32 s45, exec_lo
	s_delay_alu instid0(VALU_DEP_2)
	v_cmpx_ne_u32_e32 0x7f, v8
	s_cbranch_execz .LBB4_3520
; %bb.3517:                             ;   in Loop: Header=BB4_2678 Depth=3
	v_and_b32_e32 v2, 7, v24
	v_lshrrev_b32_e32 v13, 3, v8
	v_cmp_gt_u32_e32 vcc_lo, 8, v8
	s_delay_alu instid0(VALU_DEP_3)
	v_mov_b64_e32 v[8:9], v[2:3]
	s_and_saveexec_b32 s74, vcc_lo
; %bb.3518:                             ;   in Loop: Header=BB4_2678 Depth=3
	v_clz_i32_u32_e32 v8, v2
	s_delay_alu instid0(VALU_DEP_1) | instskip(NEXT) | instid1(VALU_DEP_1)
	v_min_u32_e32 v13, 32, v8
	v_subrev_nc_u32_e32 v8, 28, v13
	s_delay_alu instid0(VALU_DEP_1) | instskip(NEXT) | instid1(VALU_DEP_1)
	v_lshlrev_b64_e32 v[8:9], v8, v[2:3]
	v_dual_sub_nc_u32 v13, 29, v13 :: v_dual_bitop2_b32 v8, 7, v8 bitop3:0x40
; %bb.3519:                             ;   in Loop: Header=BB4_2678 Depth=3
	s_or_b32 exec_lo, exec_lo, s74
	v_lshlrev_b32_e32 v2, 24, v24
	s_delay_alu instid0(VALU_DEP_2) | instskip(NEXT) | instid1(VALU_DEP_3)
	v_lshlrev_b32_e32 v8, 20, v8
	v_lshl_add_u32 v9, v13, 23, 0x3c000000
	s_delay_alu instid0(VALU_DEP_3) | instskip(NEXT) | instid1(VALU_DEP_1)
	v_and_b32_e32 v2, 0x80000000, v2
	v_or3_b32 v13, v8, v2, v9
.LBB4_3520:                             ;   in Loop: Header=BB4_2678 Depth=3
	s_or_b32 exec_lo, exec_lo, s45
.LBB4_3521:                             ;   in Loop: Header=BB4_2678 Depth=3
	s_delay_alu instid0(SALU_CYCLE_1)
	s_or_b32 exec_lo, exec_lo, s44
.LBB4_3522:                             ;   in Loop: Header=BB4_2678 Depth=3
	s_delay_alu instid0(SALU_CYCLE_1) | instskip(NEXT) | instid1(SALU_CYCLE_1)
	s_or_b32 exec_lo, exec_lo, s13
	s_mov_b32 s13, exec_lo
	v_cmpx_lt_u32_e32 0xffffff, v10
	s_cbranch_execz .LBB4_3530
; %bb.3523:                             ;   in Loop: Header=BB4_2678 Depth=3
	v_lshrrev_b32_e32 v24, 24, v10
	v_bfrev_b32_e32 v12, 1
	s_mov_b32 s44, exec_lo
	s_delay_alu instid0(VALU_DEP_2)
	v_cmpx_ne_u32_e32 0x80, v24
	s_cbranch_execz .LBB4_3529
; %bb.3524:                             ;   in Loop: Header=BB4_2678 Depth=3
	v_bfe_u32 v8, v10, 24, 7
	v_mov_b32_e32 v12, 0x7f800001
	s_mov_b32 s45, exec_lo
	s_delay_alu instid0(VALU_DEP_2)
	v_cmpx_ne_u32_e32 0x7f, v8
	s_cbranch_execz .LBB4_3528
; %bb.3525:                             ;   in Loop: Header=BB4_2678 Depth=3
	v_and_b32_e32 v2, 7, v24
	v_lshrrev_b32_e32 v12, 3, v8
	v_cmp_gt_u32_e32 vcc_lo, 8, v8
	s_delay_alu instid0(VALU_DEP_3)
	v_mov_b64_e32 v[8:9], v[2:3]
	s_and_saveexec_b32 s74, vcc_lo
; %bb.3526:                             ;   in Loop: Header=BB4_2678 Depth=3
	v_clz_i32_u32_e32 v8, v2
	s_delay_alu instid0(VALU_DEP_1) | instskip(NEXT) | instid1(VALU_DEP_1)
	v_min_u32_e32 v12, 32, v8
	v_subrev_nc_u32_e32 v8, 28, v12
	v_sub_nc_u32_e32 v12, 29, v12
	s_delay_alu instid0(VALU_DEP_2) | instskip(NEXT) | instid1(VALU_DEP_1)
	v_lshlrev_b64_e32 v[8:9], v8, v[2:3]
	v_and_b32_e32 v8, 7, v8
; %bb.3527:                             ;   in Loop: Header=BB4_2678 Depth=3
	s_or_b32 exec_lo, exec_lo, s74
	v_lshlrev_b32_e32 v2, 24, v24
	s_delay_alu instid0(VALU_DEP_2) | instskip(SKIP_1) | instid1(VALU_DEP_3)
	v_lshlrev_b32_e32 v8, 20, v8
	v_lshl_add_u32 v9, v12, 23, 0x3c000000
	v_and_b32_e32 v2, 0x80000000, v2
	s_delay_alu instid0(VALU_DEP_1)
	v_or3_b32 v12, v8, v2, v9
.LBB4_3528:                             ;   in Loop: Header=BB4_2678 Depth=3
	s_or_b32 exec_lo, exec_lo, s45
.LBB4_3529:                             ;   in Loop: Header=BB4_2678 Depth=3
	s_delay_alu instid0(SALU_CYCLE_1)
	s_or_b32 exec_lo, exec_lo, s44
.LBB4_3530:                             ;   in Loop: Header=BB4_2678 Depth=3
	s_delay_alu instid0(SALU_CYCLE_1) | instskip(NEXT) | instid1(VALU_DEP_1)
	s_or_b32 exec_lo, exec_lo, s13
	v_add_f32_e32 v8, v13, v12
                                        ; implicit-def: $vgpr27
	s_mov_b32 s13, exec_lo
	s_delay_alu instid0(VALU_DEP_1) | instskip(SKIP_1) | instid1(VALU_DEP_2)
	v_and_b32_e32 v2, 0x7f800000, v8
	v_lshrrev_b32_e32 v9, 24, v8
	v_cmpx_ne_u64_e32 0x7f800000, v[2:3]
	s_xor_b32 s44, exec_lo, s13
	s_cbranch_execz .LBB4_3544
; %bb.3531:                             ;   in Loop: Header=BB4_2678 Depth=3
	v_and_b32_e32 v2, 0x7fffffff, v8
	v_and_b32_e32 v28, 0x80, v9
                                        ; implicit-def: $vgpr27
	s_mov_b32 s13, exec_lo
	s_delay_alu instid0(VALU_DEP_2)
	v_cmpx_gt_u64_e32 0x43e00001, v[2:3]
	s_xor_b32 s45, exec_lo, s13
	s_cbranch_execz .LBB4_3541
; %bb.3532:                             ;   in Loop: Header=BB4_2678 Depth=3
	v_mov_b32_e32 v27, 0
	s_mov_b32 s74, exec_lo
	v_cmpx_ne_u32_e32 0, v8
	s_cbranch_execz .LBB4_3540
; %bb.3533:                             ;   in Loop: Header=BB4_2678 Depth=3
	v_bfe_u32 v27, v8, 23, 8
	v_and_b32_e32 v2, 0x7fffff, v8
	s_delay_alu instid0(VALU_DEP_2) | instskip(SKIP_2) | instid1(VALU_DEP_4)
	v_cmp_gt_u32_e64 s13, 0x7a, v27
	v_sub_nc_u32_e32 v8, 0x79, v27
	v_cmp_eq_u32_e32 vcc_lo, 0, v27
	v_or_b32_e32 v9, 0x800000, v2
	s_delay_alu instid0(VALU_DEP_1) | instskip(NEXT) | instid1(VALU_DEP_1)
	v_dual_cndmask_b32 v8, 0, v8, s13 :: v_dual_cndmask_b32 v2, v9, v2, vcc_lo
	v_cndmask_b32_e64 v24, v8, 0x78, vcc_lo
	s_delay_alu instid0(VALU_DEP_1) | instskip(NEXT) | instid1(VALU_DEP_1)
	v_dual_add_nc_u32 v8, 20, v24 :: v_dual_add_nc_u32 v12, 19, v24
	v_lshlrev_b64_e64 v[8:9], v8, -1
	s_delay_alu instid0(VALU_DEP_2) | instskip(NEXT) | instid1(VALU_DEP_2)
	v_lshlrev_b64_e64 v[12:13], v12, 1
	v_bfi_b32 v9, v9, 0, 0
	s_delay_alu instid0(VALU_DEP_3) | instskip(NEXT) | instid1(VALU_DEP_1)
	v_bfi_b32 v8, v8, 0, v2
	v_cmp_eq_u64_e64 s13, v[8:9], v[12:13]
	v_lshrrev_b64 v[8:9], v24, v[2:3]
	s_delay_alu instid0(VALU_DEP_1)
	v_mov_b64_e32 v[12:13], v[8:9]
	s_and_saveexec_b32 s75, s13
; %bb.3534:                             ;   in Loop: Header=BB4_2678 Depth=3
	v_bfe_u32 v2, v8, 20, 1
	s_delay_alu instid0(VALU_DEP_1) | instskip(NEXT) | instid1(VALU_DEP_1)
	v_add_nc_u64_e32 v[12:13], v[8:9], v[2:3]
	v_add_nc_u64_e32 v[12:13], -1, v[12:13]
; %bb.3535:                             ;   in Loop: Header=BB4_2678 Depth=3
	s_or_b32 exec_lo, exec_lo, s75
	v_add_nc_u32_e32 v2, 0xffffff81, v27
	v_lshrrev_b32_e32 v9, 23, v8
	s_mov_b32 s13, exec_lo
	s_delay_alu instid0(VALU_DEP_2) | instskip(NEXT) | instid1(VALU_DEP_1)
	v_cndmask_b32_e64 v2, v2, 0xffffff82, vcc_lo
	v_add3_u32 v24, v24, v2, v9
	v_and_b32_e32 v2, 0xfffff, v12
                                        ; implicit-def: $vgpr12
	s_delay_alu instid0(VALU_DEP_2) | instskip(NEXT) | instid1(VALU_DEP_2)
	v_add_nc_u32_e32 v13, 6, v24
	v_add_nc_u32_e32 v2, v2, v8
                                        ; implicit-def: $vgpr8_vgpr9
	s_delay_alu instid0(VALU_DEP_2)
	v_cmpx_ne_u32_e32 0, v13
	s_xor_b32 s13, exec_lo, s13
; %bb.3536:                             ;   in Loop: Header=BB4_2678 Depth=3
	s_delay_alu instid0(VALU_DEP_2) | instskip(SKIP_1) | instid1(VALU_DEP_1)
	v_cmp_lt_u64_e32 vcc_lo, 0xffffff, v[2:3]
	v_add_nc_u32_e32 v8, 7, v24
	v_cndmask_b32_e32 v12, v13, v8, vcc_lo
	v_cndmask_b32_e64 v8, 0, 1, vcc_lo
	s_delay_alu instid0(VALU_DEP_1)
	v_lshrrev_b64 v[8:9], v8, v[2:3]
; %bb.3537:                             ;   in Loop: Header=BB4_2678 Depth=3
	s_and_not1_saveexec_b32 s13, s13
; %bb.3538:                             ;   in Loop: Header=BB4_2678 Depth=3
	v_mov_b64_e32 v[8:9], v[2:3]
	v_bfe_u32 v12, v2, 23, 1
; %bb.3539:                             ;   in Loop: Header=BB4_2678 Depth=3
	s_or_b32 exec_lo, exec_lo, s13
	s_delay_alu instid0(VALU_DEP_2) | instskip(NEXT) | instid1(VALU_DEP_2)
	v_lshrrev_b64 v[8:9], 20, v[8:9]
	v_cmp_gt_i32_e32 vcc_lo, 16, v12
	v_min_i32_e32 v2, 15, v12
	v_cmp_eq_u32_e64 s13, 0, v12
	s_delay_alu instid0(VALU_DEP_2) | instskip(SKIP_1) | instid1(VALU_DEP_2)
	v_dual_cndmask_b32 v9, 0, v9 :: v_dual_lshlrev_b32 v2, 3, v2
	v_cndmask_b32_e32 v8, 7, v8, vcc_lo
	v_and_b32_e32 v2, 0xf8, v2
	s_delay_alu instid0(VALU_DEP_2) | instskip(NEXT) | instid1(VALU_DEP_2)
	v_cmp_eq_u64_e32 vcc_lo, 0, v[8:9]
	v_and_or_b32 v2, v8, 7, v2
	s_and_b32 s13, s13, vcc_lo
	s_delay_alu instid0(VALU_DEP_1) | instid1(SALU_CYCLE_1)
	v_cndmask_b32_e64 v2, v2, 0, s13
	s_delay_alu instid0(VALU_DEP_1)
	v_or_b32_e32 v27, v2, v28
.LBB4_3540:                             ;   in Loop: Header=BB4_2678 Depth=3
	s_or_b32 exec_lo, exec_lo, s74
                                        ; implicit-def: $vgpr28
.LBB4_3541:                             ;   in Loop: Header=BB4_2678 Depth=3
	s_and_not1_saveexec_b32 s13, s45
; %bb.3542:                             ;   in Loop: Header=BB4_2678 Depth=3
	v_or_b32_e32 v27, 0x7e, v28
; %bb.3543:                             ;   in Loop: Header=BB4_2678 Depth=3
	s_or_b32 exec_lo, exec_lo, s13
                                        ; implicit-def: $vgpr9
.LBB4_3544:                             ;   in Loop: Header=BB4_2678 Depth=3
	s_and_not1_saveexec_b32 s13, s44
; %bb.3545:                             ;   in Loop: Header=BB4_2678 Depth=3
	v_or_b32_e32 v27, 0x7f, v9
; %bb.3546:                             ;   in Loop: Header=BB4_2678 Depth=3
	s_or_b32 exec_lo, exec_lo, s13
	v_and_b32_e32 v12, 0xff, v15
	v_dual_mov_b32 v2, v15 :: v_dual_mov_b32 v8, 0
	v_mov_b32_e32 v9, 0
	s_mov_b32 s13, exec_lo
	s_delay_alu instid0(VALU_DEP_3)
	v_cmpx_ne_u16_e32 0, v12
	s_cbranch_execz .LBB4_3552
; %bb.3547:                             ;   in Loop: Header=BB4_2678 Depth=3
	v_bfrev_b32_e32 v9, 1
	s_mov_b32 s44, exec_lo
	v_cmpx_ne_u16_e32 0x80, v12
	s_cbranch_execz .LBB4_3551
; %bb.3548:                             ;   in Loop: Header=BB4_2678 Depth=3
	v_and_b32_e32 v12, 0x7f, v15
	v_mov_b32_e32 v9, 0x7f800001
	s_mov_b32 s45, exec_lo
	s_delay_alu instid0(VALU_DEP_2)
	v_cmpx_ne_u32_e32 0x7f, v12
	s_cbranch_execz .LBB4_3550
; %bb.3549:                             ;   in Loop: Header=BB4_2678 Depth=3
	v_dual_lshrrev_b32 v13, 3, v12 :: v_dual_bitop2_b32 v9, 7, v15 bitop3:0x40
	v_cmp_gt_u32_e32 vcc_lo, 8, v12
	s_delay_alu instid0(VALU_DEP_2) | instskip(NEXT) | instid1(VALU_DEP_1)
	v_clz_i32_u32_e32 v9, v9
	v_min_u32_e32 v9, 32, v9
	s_delay_alu instid0(VALU_DEP_1) | instskip(NEXT) | instid1(VALU_DEP_1)
	v_subrev_nc_u32_e32 v12, 28, v9
	v_dual_cndmask_b32 v12, 0, v12 :: v_dual_sub_nc_u32 v9, 29, v9
	s_delay_alu instid0(VALU_DEP_1) | instskip(NEXT) | instid1(VALU_DEP_2)
	v_cndmask_b32_e32 v9, v13, v9, vcc_lo
	v_lshlrev_b64_e32 v[12:13], v12, v[2:3]
	v_lshlrev_b32_e32 v13, 24, v2
	s_delay_alu instid0(VALU_DEP_1) | instskip(NEXT) | instid1(VALU_DEP_3)
	v_and_b32_e32 v13, 0x80000000, v13
	v_lshlrev_b32_e32 v12, 20, v12
	v_lshl_add_u32 v9, v9, 23, 0x3c000000
	s_delay_alu instid0(VALU_DEP_2) | instskip(NEXT) | instid1(VALU_DEP_1)
	v_and_b32_e32 v12, 0x700000, v12
	v_or3_b32 v9, v12, v13, v9
.LBB4_3550:                             ;   in Loop: Header=BB4_2678 Depth=3
	s_or_b32 exec_lo, exec_lo, s45
.LBB4_3551:                             ;   in Loop: Header=BB4_2678 Depth=3
	s_delay_alu instid0(SALU_CYCLE_1)
	s_or_b32 exec_lo, exec_lo, s44
.LBB4_3552:                             ;   in Loop: Header=BB4_2678 Depth=3
	s_delay_alu instid0(SALU_CYCLE_1) | instskip(SKIP_2) | instid1(VALU_DEP_1)
	s_or_b32 exec_lo, exec_lo, s13
	v_and_b32_e32 v12, 0xff, v11
	s_mov_b32 s13, exec_lo
	v_cmpx_ne_u16_e32 0, v12
	s_cbranch_execz .LBB4_3558
; %bb.3553:                             ;   in Loop: Header=BB4_2678 Depth=3
	v_bfrev_b32_e32 v8, 1
	s_mov_b32 s44, exec_lo
	v_cmpx_ne_u16_e32 0x80, v12
	s_cbranch_execz .LBB4_3557
; %bb.3554:                             ;   in Loop: Header=BB4_2678 Depth=3
	v_and_b32_e32 v12, 0x7f, v11
	v_mov_b32_e32 v8, 0x7f800001
	s_mov_b32 s45, exec_lo
	s_delay_alu instid0(VALU_DEP_2)
	v_cmpx_ne_u32_e32 0x7f, v12
	s_cbranch_execz .LBB4_3556
; %bb.3555:                             ;   in Loop: Header=BB4_2678 Depth=3
	v_dual_lshrrev_b32 v24, 3, v12 :: v_dual_bitop2_b32 v8, 7, v11 bitop3:0x40
	v_cmp_gt_u32_e32 vcc_lo, 8, v12
	v_mov_b32_e32 v12, v11
	s_delay_alu instid0(VALU_DEP_3) | instskip(NEXT) | instid1(VALU_DEP_1)
	v_clz_i32_u32_e32 v8, v8
	v_min_u32_e32 v8, 32, v8
	s_delay_alu instid0(VALU_DEP_1) | instskip(SKIP_1) | instid1(VALU_DEP_2)
	v_sub_nc_u32_e32 v25, 29, v8
	v_subrev_nc_u32_e32 v8, 28, v8
	v_dual_mov_b32 v13, v3 :: v_dual_cndmask_b32 v28, v24, v25
	s_delay_alu instid0(VALU_DEP_2) | instskip(NEXT) | instid1(VALU_DEP_1)
	v_cndmask_b32_e32 v8, 0, v8, vcc_lo
	v_lshlrev_b64_e32 v[24:25], v8, v[12:13]
	v_lshlrev_b32_e32 v8, 24, v12
	s_delay_alu instid0(VALU_DEP_4) | instskip(NEXT) | instid1(VALU_DEP_2)
	v_lshl_add_u32 v13, v28, 23, 0x3c000000
	v_and_b32_e32 v8, 0x80000000, v8
	s_delay_alu instid0(VALU_DEP_4) | instskip(NEXT) | instid1(VALU_DEP_1)
	v_lshlrev_b32_e32 v12, 20, v24
	v_and_b32_e32 v12, 0x700000, v12
	s_delay_alu instid0(VALU_DEP_1)
	v_or3_b32 v8, v12, v8, v13
.LBB4_3556:                             ;   in Loop: Header=BB4_2678 Depth=3
	s_or_b32 exec_lo, exec_lo, s45
.LBB4_3557:                             ;   in Loop: Header=BB4_2678 Depth=3
	s_delay_alu instid0(SALU_CYCLE_1)
	s_or_b32 exec_lo, exec_lo, s44
.LBB4_3558:                             ;   in Loop: Header=BB4_2678 Depth=3
	s_delay_alu instid0(SALU_CYCLE_1) | instskip(NEXT) | instid1(VALU_DEP_1)
	s_or_b32 exec_lo, exec_lo, s13
	v_dual_add_f32 v8, v9, v8 :: v_dual_mov_b32 v13, v3
                                        ; implicit-def: $vgpr88
	s_mov_b32 s13, exec_lo
	s_delay_alu instid0(VALU_DEP_1) | instskip(SKIP_1) | instid1(VALU_DEP_2)
	v_and_b32_e32 v12, 0x7f800000, v8
	v_lshrrev_b32_e32 v9, 24, v8
	v_cmpx_ne_u64_e32 0x7f800000, v[12:13]
	s_xor_b32 s44, exec_lo, s13
	s_cbranch_execz .LBB4_3572
; %bb.3559:                             ;   in Loop: Header=BB4_2678 Depth=3
	v_and_b32_e32 v12, 0x7fffffff, v8
	v_mov_b32_e32 v13, v3
	v_and_b32_e32 v28, 0x80, v9
                                        ; implicit-def: $vgpr88
	s_mov_b32 s13, exec_lo
	s_delay_alu instid0(VALU_DEP_2)
	v_cmpx_gt_u64_e32 0x43e00001, v[12:13]
	s_xor_b32 s45, exec_lo, s13
	s_cbranch_execz .LBB4_3569
; %bb.3560:                             ;   in Loop: Header=BB4_2678 Depth=3
	v_mov_b32_e32 v88, 0
	s_mov_b32 s74, exec_lo
	v_cmpx_ne_u32_e32 0, v8
	s_cbranch_execz .LBB4_3568
; %bb.3561:                             ;   in Loop: Header=BB4_2678 Depth=3
	v_bfe_u32 v29, v8, 23, 8
	v_and_b32_e32 v9, 0x7fffff, v8
	s_delay_alu instid0(VALU_DEP_2) | instskip(SKIP_2) | instid1(VALU_DEP_4)
	v_cmp_gt_u32_e64 s13, 0x7a, v29
	v_sub_nc_u32_e32 v8, 0x79, v29
	v_cmp_eq_u32_e32 vcc_lo, 0, v29
	v_or_b32_e32 v12, 0x800000, v9
	s_delay_alu instid0(VALU_DEP_3) | instskip(NEXT) | instid1(VALU_DEP_1)
	v_cndmask_b32_e64 v8, 0, v8, s13
	v_cndmask_b32_e64 v24, v8, 0x78, vcc_lo
	s_delay_alu instid0(VALU_DEP_3) | instskip(NEXT) | instid1(VALU_DEP_2)
	v_dual_cndmask_b32 v8, v12, v9 :: v_dual_mov_b32 v9, v3
	v_dual_add_nc_u32 v12, 20, v24 :: v_dual_add_nc_u32 v25, 19, v24
	s_delay_alu instid0(VALU_DEP_1) | instskip(NEXT) | instid1(VALU_DEP_2)
	v_lshlrev_b64_e64 v[12:13], v12, -1
	v_lshlrev_b64_e64 v[68:69], v25, 1
	s_delay_alu instid0(VALU_DEP_2) | instskip(SKIP_1) | instid1(VALU_DEP_4)
	v_bfi_b32 v12, v12, 0, v8
	v_lshrrev_b64 v[8:9], v24, v[8:9]
	v_bfi_b32 v13, v13, 0, 0
	s_delay_alu instid0(VALU_DEP_1) | instskip(NEXT) | instid1(VALU_DEP_3)
	v_cmp_eq_u64_e64 s13, v[12:13], v[68:69]
	v_mov_b64_e32 v[12:13], v[8:9]
	s_and_saveexec_b32 s75, s13
; %bb.3562:                             ;   in Loop: Header=BB4_2678 Depth=3
	v_bfe_u32 v12, v8, 20, 1
	v_mov_b32_e32 v13, v3
	s_delay_alu instid0(VALU_DEP_1) | instskip(NEXT) | instid1(VALU_DEP_1)
	v_add_nc_u64_e32 v[12:13], v[8:9], v[12:13]
	v_add_nc_u64_e32 v[12:13], -1, v[12:13]
; %bb.3563:                             ;   in Loop: Header=BB4_2678 Depth=3
	s_or_b32 exec_lo, exec_lo, s75
	v_add_nc_u32_e32 v9, 0xffffff81, v29
	v_lshrrev_b32_e32 v13, 23, v8
	s_mov_b32 s13, exec_lo
	s_delay_alu instid0(VALU_DEP_2) | instskip(NEXT) | instid1(VALU_DEP_1)
	v_cndmask_b32_e64 v9, v9, 0xffffff82, vcc_lo
	v_add3_u32 v24, v24, v9, v13
	v_and_b32_e32 v9, 0xfffff, v12
                                        ; implicit-def: $vgpr12
	s_delay_alu instid0(VALU_DEP_2) | instskip(NEXT) | instid1(VALU_DEP_2)
	v_add_nc_u32_e32 v13, 6, v24
	v_dual_mov_b32 v9, v3 :: v_dual_add_nc_u32 v8, v9, v8
	s_delay_alu instid0(VALU_DEP_2)
	v_cmpx_ne_u32_e32 0, v13
	s_xor_b32 s13, exec_lo, s13
; %bb.3564:                             ;   in Loop: Header=BB4_2678 Depth=3
	s_delay_alu instid0(VALU_DEP_2) | instskip(SKIP_1) | instid1(VALU_DEP_1)
	v_cmp_lt_u64_e32 vcc_lo, 0xffffff, v[8:9]
	v_add_nc_u32_e32 v12, 7, v24
	v_cndmask_b32_e32 v12, v13, v12, vcc_lo
	v_cndmask_b32_e64 v13, 0, 1, vcc_lo
	s_delay_alu instid0(VALU_DEP_1)
	v_lshrrev_b64 v[8:9], v13, v[8:9]
; %bb.3565:                             ;   in Loop: Header=BB4_2678 Depth=3
	s_and_not1_saveexec_b32 s13, s13
; %bb.3566:                             ;   in Loop: Header=BB4_2678 Depth=3
	s_delay_alu instid0(VALU_DEP_1)
	v_bfe_u32 v12, v8, 23, 1
; %bb.3567:                             ;   in Loop: Header=BB4_2678 Depth=3
	s_or_b32 exec_lo, exec_lo, s13
	s_delay_alu instid0(VALU_DEP_2) | instskip(NEXT) | instid1(VALU_DEP_2)
	v_lshrrev_b64 v[8:9], 20, v[8:9]
	v_cmp_gt_i32_e32 vcc_lo, 16, v12
	v_min_i32_e32 v13, 15, v12
	v_cmp_eq_u32_e64 s13, 0, v12
	s_delay_alu instid0(VALU_DEP_4) | instskip(NEXT) | instid1(VALU_DEP_3)
	v_cndmask_b32_e32 v9, 0, v9, vcc_lo
	v_dual_cndmask_b32 v8, 7, v8 :: v_dual_lshlrev_b32 v13, 3, v13
	s_delay_alu instid0(VALU_DEP_1) | instskip(NEXT) | instid1(VALU_DEP_2)
	v_and_b32_e32 v13, 0xf8, v13
	v_cmp_eq_u64_e32 vcc_lo, 0, v[8:9]
	s_delay_alu instid0(VALU_DEP_2)
	v_and_or_b32 v8, v8, 7, v13
	s_and_b32 s13, s13, vcc_lo
	s_delay_alu instid0(VALU_DEP_1) | instid1(SALU_CYCLE_1)
	v_cndmask_b32_e64 v8, v8, 0, s13
	s_delay_alu instid0(VALU_DEP_1)
	v_or_b32_e32 v88, v8, v28
.LBB4_3568:                             ;   in Loop: Header=BB4_2678 Depth=3
	s_or_b32 exec_lo, exec_lo, s74
                                        ; implicit-def: $vgpr28
.LBB4_3569:                             ;   in Loop: Header=BB4_2678 Depth=3
	s_and_not1_saveexec_b32 s13, s45
; %bb.3570:                             ;   in Loop: Header=BB4_2678 Depth=3
	v_or_b32_e32 v88, 0x7e, v28
; %bb.3571:                             ;   in Loop: Header=BB4_2678 Depth=3
	s_or_b32 exec_lo, exec_lo, s13
                                        ; implicit-def: $vgpr9
.LBB4_3572:                             ;   in Loop: Header=BB4_2678 Depth=3
	s_and_not1_saveexec_b32 s13, s44
; %bb.3573:                             ;   in Loop: Header=BB4_2678 Depth=3
	v_or_b32_e32 v88, 0x7f, v9
; %bb.3574:                             ;   in Loop: Header=BB4_2678 Depth=3
	s_or_b32 exec_lo, exec_lo, s13
	v_lshrrev_b16 v8, 8, v2
	v_dual_mov_b32 v12, 0 :: v_dual_mov_b32 v13, 0
	s_mov_b32 s13, exec_lo
	s_delay_alu instid0(VALU_DEP_2)
	v_cmpx_ne_u16_e32 0, v8
	s_cbranch_execz .LBB4_3582
; %bb.3575:                             ;   in Loop: Header=BB4_2678 Depth=3
	v_bfrev_b32_e32 v13, 1
	s_mov_b32 s44, exec_lo
	v_cmpx_ne_u16_e32 0x80, v8
	s_cbranch_execz .LBB4_3581
; %bb.3576:                             ;   in Loop: Header=BB4_2678 Depth=3
	v_and_b32_e32 v8, 0xffff, v8
	v_mov_b32_e32 v13, 0x7f800001
	s_mov_b32 s45, exec_lo
	s_delay_alu instid0(VALU_DEP_2) | instskip(NEXT) | instid1(VALU_DEP_1)
	v_and_b32_e32 v24, 0x7f, v8
	v_cmpx_ne_u32_e32 0x7f, v24
	s_cbranch_execz .LBB4_3580
; %bb.3577:                             ;   in Loop: Header=BB4_2678 Depth=3
	v_dual_mov_b32 v9, v3 :: v_dual_bitop2_b32 v8, 7, v8 bitop3:0x40
	v_lshrrev_b32_e32 v13, 3, v24
	s_mov_b32 s74, exec_lo
	v_cmpx_gt_u32_e32 8, v24
; %bb.3578:                             ;   in Loop: Header=BB4_2678 Depth=3
	s_delay_alu instid0(VALU_DEP_3) | instskip(NEXT) | instid1(VALU_DEP_1)
	v_clz_i32_u32_e32 v13, v8
	v_min_u32_e32 v13, 32, v13
	s_delay_alu instid0(VALU_DEP_1) | instskip(NEXT) | instid1(VALU_DEP_1)
	v_subrev_nc_u32_e32 v24, 28, v13
	v_lshlrev_b64_e32 v[8:9], v24, v[8:9]
	s_delay_alu instid0(VALU_DEP_1)
	v_dual_sub_nc_u32 v13, 29, v13 :: v_dual_bitop2_b32 v8, 7, v8 bitop3:0x40
; %bb.3579:                             ;   in Loop: Header=BB4_2678 Depth=3
	s_or_b32 exec_lo, exec_lo, s74
	s_delay_alu instid0(VALU_DEP_1) | instskip(NEXT) | instid1(VALU_DEP_2)
	v_dual_lshlrev_b32 v2, 16, v2 :: v_dual_lshlrev_b32 v8, 20, v8
	v_lshl_add_u32 v9, v13, 23, 0x3c000000
	s_delay_alu instid0(VALU_DEP_2) | instskip(NEXT) | instid1(VALU_DEP_1)
	v_and_b32_e32 v2, 0x80000000, v2
	v_or3_b32 v13, v8, v2, v9
.LBB4_3580:                             ;   in Loop: Header=BB4_2678 Depth=3
	s_or_b32 exec_lo, exec_lo, s45
.LBB4_3581:                             ;   in Loop: Header=BB4_2678 Depth=3
	s_delay_alu instid0(SALU_CYCLE_1)
	s_or_b32 exec_lo, exec_lo, s44
.LBB4_3582:                             ;   in Loop: Header=BB4_2678 Depth=3
	s_delay_alu instid0(SALU_CYCLE_1) | instskip(SKIP_2) | instid1(VALU_DEP_1)
	s_or_b32 exec_lo, exec_lo, s13
	v_lshrrev_b16 v2, 8, v11
	s_mov_b32 s13, exec_lo
	v_cmpx_ne_u16_e32 0, v2
	s_cbranch_execz .LBB4_3590
; %bb.3583:                             ;   in Loop: Header=BB4_2678 Depth=3
	v_bfrev_b32_e32 v12, 1
	s_mov_b32 s44, exec_lo
	v_cmpx_ne_u16_e32 0x80, v2
	s_cbranch_execz .LBB4_3589
; %bb.3584:                             ;   in Loop: Header=BB4_2678 Depth=3
	v_and_b32_e32 v2, 0xffff, v2
	v_mov_b32_e32 v12, 0x7f800001
	s_mov_b32 s45, exec_lo
	s_delay_alu instid0(VALU_DEP_2) | instskip(NEXT) | instid1(VALU_DEP_1)
	v_and_b32_e32 v8, 0x7f, v2
	v_cmpx_ne_u32_e32 0x7f, v8
	s_cbranch_execz .LBB4_3588
; %bb.3585:                             ;   in Loop: Header=BB4_2678 Depth=3
	v_dual_lshrrev_b32 v12, 3, v8 :: v_dual_bitop2_b32 v2, 7, v2 bitop3:0x40
	v_cmp_gt_u32_e32 vcc_lo, 8, v8
	s_delay_alu instid0(VALU_DEP_2)
	v_mov_b64_e32 v[8:9], v[2:3]
	s_and_saveexec_b32 s74, vcc_lo
; %bb.3586:                             ;   in Loop: Header=BB4_2678 Depth=3
	v_clz_i32_u32_e32 v8, v2
	s_delay_alu instid0(VALU_DEP_1) | instskip(NEXT) | instid1(VALU_DEP_1)
	v_min_u32_e32 v12, 32, v8
	v_subrev_nc_u32_e32 v8, 28, v12
	v_sub_nc_u32_e32 v12, 29, v12
	s_delay_alu instid0(VALU_DEP_2) | instskip(NEXT) | instid1(VALU_DEP_1)
	v_lshlrev_b64_e32 v[8:9], v8, v[2:3]
	v_and_b32_e32 v8, 7, v8
; %bb.3587:                             ;   in Loop: Header=BB4_2678 Depth=3
	s_or_b32 exec_lo, exec_lo, s74
	s_delay_alu instid0(VALU_DEP_1) | instskip(SKIP_1) | instid1(VALU_DEP_2)
	v_dual_lshlrev_b32 v2, 16, v11 :: v_dual_lshlrev_b32 v8, 20, v8
	v_lshl_add_u32 v9, v12, 23, 0x3c000000
	v_and_b32_e32 v2, 0x80000000, v2
	s_delay_alu instid0(VALU_DEP_1)
	v_or3_b32 v12, v8, v2, v9
.LBB4_3588:                             ;   in Loop: Header=BB4_2678 Depth=3
	s_or_b32 exec_lo, exec_lo, s45
.LBB4_3589:                             ;   in Loop: Header=BB4_2678 Depth=3
	s_delay_alu instid0(SALU_CYCLE_1)
	s_or_b32 exec_lo, exec_lo, s44
.LBB4_3590:                             ;   in Loop: Header=BB4_2678 Depth=3
	s_delay_alu instid0(SALU_CYCLE_1) | instskip(NEXT) | instid1(VALU_DEP_1)
	s_or_b32 exec_lo, exec_lo, s13
	v_add_f32_e32 v8, v13, v12
                                        ; implicit-def: $vgpr28
	s_mov_b32 s13, exec_lo
	s_delay_alu instid0(VALU_DEP_1) | instskip(SKIP_1) | instid1(VALU_DEP_2)
	v_and_b32_e32 v2, 0x7f800000, v8
	v_lshrrev_b32_e32 v9, 24, v8
	v_cmpx_ne_u64_e32 0x7f800000, v[2:3]
	s_xor_b32 s44, exec_lo, s13
	s_cbranch_execz .LBB4_3604
; %bb.3591:                             ;   in Loop: Header=BB4_2678 Depth=3
	v_and_b32_e32 v2, 0x7fffffff, v8
	v_and_b32_e32 v29, 0x80, v9
                                        ; implicit-def: $vgpr28
	s_mov_b32 s13, exec_lo
	s_delay_alu instid0(VALU_DEP_2)
	v_cmpx_gt_u64_e32 0x43e00001, v[2:3]
	s_xor_b32 s45, exec_lo, s13
	s_cbranch_execz .LBB4_3601
; %bb.3592:                             ;   in Loop: Header=BB4_2678 Depth=3
	v_mov_b32_e32 v28, 0
	s_mov_b32 s74, exec_lo
	v_cmpx_ne_u32_e32 0, v8
	s_cbranch_execz .LBB4_3600
; %bb.3593:                             ;   in Loop: Header=BB4_2678 Depth=3
	v_bfe_u32 v28, v8, 23, 8
	v_and_b32_e32 v2, 0x7fffff, v8
	s_delay_alu instid0(VALU_DEP_2) | instskip(SKIP_2) | instid1(VALU_DEP_4)
	v_cmp_gt_u32_e64 s13, 0x7a, v28
	v_sub_nc_u32_e32 v8, 0x79, v28
	v_cmp_eq_u32_e32 vcc_lo, 0, v28
	v_or_b32_e32 v9, 0x800000, v2
	s_delay_alu instid0(VALU_DEP_1) | instskip(NEXT) | instid1(VALU_DEP_1)
	v_dual_cndmask_b32 v8, 0, v8, s13 :: v_dual_cndmask_b32 v2, v9, v2, vcc_lo
	v_cndmask_b32_e64 v24, v8, 0x78, vcc_lo
	s_delay_alu instid0(VALU_DEP_1) | instskip(NEXT) | instid1(VALU_DEP_1)
	v_dual_add_nc_u32 v8, 20, v24 :: v_dual_add_nc_u32 v12, 19, v24
	v_lshlrev_b64_e64 v[8:9], v8, -1
	s_delay_alu instid0(VALU_DEP_2) | instskip(NEXT) | instid1(VALU_DEP_2)
	v_lshlrev_b64_e64 v[12:13], v12, 1
	v_bfi_b32 v9, v9, 0, 0
	s_delay_alu instid0(VALU_DEP_3) | instskip(NEXT) | instid1(VALU_DEP_1)
	v_bfi_b32 v8, v8, 0, v2
	v_cmp_eq_u64_e64 s13, v[8:9], v[12:13]
	v_lshrrev_b64 v[8:9], v24, v[2:3]
	s_delay_alu instid0(VALU_DEP_1)
	v_mov_b64_e32 v[12:13], v[8:9]
	s_and_saveexec_b32 s75, s13
; %bb.3594:                             ;   in Loop: Header=BB4_2678 Depth=3
	v_bfe_u32 v2, v8, 20, 1
	s_delay_alu instid0(VALU_DEP_1) | instskip(NEXT) | instid1(VALU_DEP_1)
	v_add_nc_u64_e32 v[12:13], v[8:9], v[2:3]
	v_add_nc_u64_e32 v[12:13], -1, v[12:13]
; %bb.3595:                             ;   in Loop: Header=BB4_2678 Depth=3
	s_or_b32 exec_lo, exec_lo, s75
	v_add_nc_u32_e32 v2, 0xffffff81, v28
	v_lshrrev_b32_e32 v9, 23, v8
	s_mov_b32 s13, exec_lo
	s_delay_alu instid0(VALU_DEP_2) | instskip(NEXT) | instid1(VALU_DEP_1)
	v_cndmask_b32_e64 v2, v2, 0xffffff82, vcc_lo
	v_add3_u32 v24, v24, v2, v9
	v_and_b32_e32 v2, 0xfffff, v12
                                        ; implicit-def: $vgpr12
	s_delay_alu instid0(VALU_DEP_2) | instskip(NEXT) | instid1(VALU_DEP_2)
	v_add_nc_u32_e32 v13, 6, v24
	v_add_nc_u32_e32 v2, v2, v8
                                        ; implicit-def: $vgpr8_vgpr9
	s_delay_alu instid0(VALU_DEP_2)
	v_cmpx_ne_u32_e32 0, v13
	s_xor_b32 s13, exec_lo, s13
; %bb.3596:                             ;   in Loop: Header=BB4_2678 Depth=3
	s_delay_alu instid0(VALU_DEP_2) | instskip(SKIP_1) | instid1(VALU_DEP_1)
	v_cmp_lt_u64_e32 vcc_lo, 0xffffff, v[2:3]
	v_add_nc_u32_e32 v8, 7, v24
	v_cndmask_b32_e32 v12, v13, v8, vcc_lo
	v_cndmask_b32_e64 v8, 0, 1, vcc_lo
	s_delay_alu instid0(VALU_DEP_1)
	v_lshrrev_b64 v[8:9], v8, v[2:3]
; %bb.3597:                             ;   in Loop: Header=BB4_2678 Depth=3
	s_and_not1_saveexec_b32 s13, s13
; %bb.3598:                             ;   in Loop: Header=BB4_2678 Depth=3
	v_mov_b64_e32 v[8:9], v[2:3]
	v_bfe_u32 v12, v2, 23, 1
; %bb.3599:                             ;   in Loop: Header=BB4_2678 Depth=3
	s_or_b32 exec_lo, exec_lo, s13
	s_delay_alu instid0(VALU_DEP_2) | instskip(NEXT) | instid1(VALU_DEP_2)
	v_lshrrev_b64 v[8:9], 20, v[8:9]
	v_cmp_gt_i32_e32 vcc_lo, 16, v12
	v_min_i32_e32 v2, 15, v12
	v_cmp_eq_u32_e64 s13, 0, v12
	s_delay_alu instid0(VALU_DEP_2) | instskip(SKIP_1) | instid1(VALU_DEP_2)
	v_dual_cndmask_b32 v9, 0, v9 :: v_dual_lshlrev_b32 v2, 3, v2
	v_cndmask_b32_e32 v8, 7, v8, vcc_lo
	v_and_b32_e32 v2, 0xf8, v2
	s_delay_alu instid0(VALU_DEP_2) | instskip(NEXT) | instid1(VALU_DEP_2)
	v_cmp_eq_u64_e32 vcc_lo, 0, v[8:9]
	v_and_or_b32 v2, v8, 7, v2
	s_and_b32 s13, s13, vcc_lo
	s_delay_alu instid0(VALU_DEP_1) | instid1(SALU_CYCLE_1)
	v_cndmask_b32_e64 v2, v2, 0, s13
	s_delay_alu instid0(VALU_DEP_1)
	v_or_b32_e32 v28, v2, v29
.LBB4_3600:                             ;   in Loop: Header=BB4_2678 Depth=3
	s_or_b32 exec_lo, exec_lo, s74
                                        ; implicit-def: $vgpr29
.LBB4_3601:                             ;   in Loop: Header=BB4_2678 Depth=3
	s_and_not1_saveexec_b32 s13, s45
; %bb.3602:                             ;   in Loop: Header=BB4_2678 Depth=3
	v_or_b32_e32 v28, 0x7e, v29
; %bb.3603:                             ;   in Loop: Header=BB4_2678 Depth=3
	s_or_b32 exec_lo, exec_lo, s13
                                        ; implicit-def: $vgpr9
.LBB4_3604:                             ;   in Loop: Header=BB4_2678 Depth=3
	s_and_not1_saveexec_b32 s13, s44
; %bb.3605:                             ;   in Loop: Header=BB4_2678 Depth=3
	v_or_b32_e32 v28, 0x7f, v9
; %bb.3606:                             ;   in Loop: Header=BB4_2678 Depth=3
	s_or_b32 exec_lo, exec_lo, s13
	v_dual_lshrrev_b32 v24, 16, v15 :: v_dual_mov_b32 v12, 0
	v_mov_b32_e32 v13, 0
	s_mov_b32 s13, exec_lo
	s_delay_alu instid0(VALU_DEP_2) | instskip(NEXT) | instid1(VALU_DEP_1)
	v_and_b32_e32 v2, 0xff, v24
	v_cmpx_ne_u16_e32 0, v2
	s_cbranch_execz .LBB4_3614
; %bb.3607:                             ;   in Loop: Header=BB4_2678 Depth=3
	v_bfrev_b32_e32 v13, 1
	s_mov_b32 s44, exec_lo
	v_cmpx_ne_u16_e32 0x80, v2
	s_cbranch_execz .LBB4_3613
; %bb.3608:                             ;   in Loop: Header=BB4_2678 Depth=3
	v_bfe_u32 v8, v15, 16, 7
	v_mov_b32_e32 v13, 0x7f800001
	s_mov_b32 s45, exec_lo
	s_delay_alu instid0(VALU_DEP_2)
	v_cmpx_ne_u32_e32 0x7f, v8
	s_cbranch_execz .LBB4_3612
; %bb.3609:                             ;   in Loop: Header=BB4_2678 Depth=3
	v_and_b32_e32 v2, 7, v24
	v_lshrrev_b32_e32 v13, 3, v8
	v_cmp_gt_u32_e32 vcc_lo, 8, v8
	s_delay_alu instid0(VALU_DEP_3)
	v_mov_b64_e32 v[8:9], v[2:3]
	s_and_saveexec_b32 s74, vcc_lo
; %bb.3610:                             ;   in Loop: Header=BB4_2678 Depth=3
	v_clz_i32_u32_e32 v8, v2
	s_delay_alu instid0(VALU_DEP_1) | instskip(NEXT) | instid1(VALU_DEP_1)
	v_min_u32_e32 v13, 32, v8
	v_subrev_nc_u32_e32 v8, 28, v13
	s_delay_alu instid0(VALU_DEP_1) | instskip(NEXT) | instid1(VALU_DEP_1)
	v_lshlrev_b64_e32 v[8:9], v8, v[2:3]
	v_dual_sub_nc_u32 v13, 29, v13 :: v_dual_bitop2_b32 v8, 7, v8 bitop3:0x40
; %bb.3611:                             ;   in Loop: Header=BB4_2678 Depth=3
	s_or_b32 exec_lo, exec_lo, s74
	v_lshlrev_b32_e32 v2, 24, v24
	s_delay_alu instid0(VALU_DEP_2) | instskip(NEXT) | instid1(VALU_DEP_3)
	v_lshlrev_b32_e32 v8, 20, v8
	v_lshl_add_u32 v9, v13, 23, 0x3c000000
	s_delay_alu instid0(VALU_DEP_3) | instskip(NEXT) | instid1(VALU_DEP_1)
	v_and_b32_e32 v2, 0x80000000, v2
	v_or3_b32 v13, v8, v2, v9
.LBB4_3612:                             ;   in Loop: Header=BB4_2678 Depth=3
	s_or_b32 exec_lo, exec_lo, s45
.LBB4_3613:                             ;   in Loop: Header=BB4_2678 Depth=3
	s_delay_alu instid0(SALU_CYCLE_1)
	s_or_b32 exec_lo, exec_lo, s44
.LBB4_3614:                             ;   in Loop: Header=BB4_2678 Depth=3
	s_delay_alu instid0(SALU_CYCLE_1) | instskip(SKIP_2) | instid1(VALU_DEP_1)
	s_or_b32 exec_lo, exec_lo, s13
	v_lshrrev_b32_e32 v2, 16, v11
	s_mov_b32 s13, exec_lo
	v_and_b32_e32 v8, 0xff, v2
	s_delay_alu instid0(VALU_DEP_1)
	v_cmpx_ne_u16_e32 0, v8
	s_cbranch_execz .LBB4_3622
; %bb.3615:                             ;   in Loop: Header=BB4_2678 Depth=3
	v_bfrev_b32_e32 v12, 1
	s_mov_b32 s44, exec_lo
	v_cmpx_ne_u16_e32 0x80, v8
	s_cbranch_execz .LBB4_3621
; %bb.3616:                             ;   in Loop: Header=BB4_2678 Depth=3
	v_bfe_u32 v8, v11, 16, 7
	v_mov_b32_e32 v12, 0x7f800001
	s_mov_b32 s45, exec_lo
	s_delay_alu instid0(VALU_DEP_2)
	v_cmpx_ne_u32_e32 0x7f, v8
	s_cbranch_execz .LBB4_3620
; %bb.3617:                             ;   in Loop: Header=BB4_2678 Depth=3
	v_dual_lshrrev_b32 v12, 3, v8 :: v_dual_bitop2_b32 v2, 7, v2 bitop3:0x40
	v_cmp_gt_u32_e32 vcc_lo, 8, v8
	s_delay_alu instid0(VALU_DEP_2)
	v_mov_b64_e32 v[8:9], v[2:3]
	s_and_saveexec_b32 s74, vcc_lo
; %bb.3618:                             ;   in Loop: Header=BB4_2678 Depth=3
	v_clz_i32_u32_e32 v8, v2
	s_delay_alu instid0(VALU_DEP_1) | instskip(NEXT) | instid1(VALU_DEP_1)
	v_min_u32_e32 v12, 32, v8
	v_subrev_nc_u32_e32 v8, 28, v12
	v_sub_nc_u32_e32 v12, 29, v12
	s_delay_alu instid0(VALU_DEP_2) | instskip(NEXT) | instid1(VALU_DEP_1)
	v_lshlrev_b64_e32 v[8:9], v8, v[2:3]
	v_and_b32_e32 v8, 7, v8
; %bb.3619:                             ;   in Loop: Header=BB4_2678 Depth=3
	s_or_b32 exec_lo, exec_lo, s74
	s_delay_alu instid0(VALU_DEP_1) | instskip(SKIP_1) | instid1(VALU_DEP_2)
	v_dual_lshlrev_b32 v2, 8, v11 :: v_dual_lshlrev_b32 v8, 20, v8
	v_lshl_add_u32 v9, v12, 23, 0x3c000000
	v_and_b32_e32 v2, 0x80000000, v2
	s_delay_alu instid0(VALU_DEP_1)
	v_or3_b32 v12, v8, v2, v9
.LBB4_3620:                             ;   in Loop: Header=BB4_2678 Depth=3
	s_or_b32 exec_lo, exec_lo, s45
.LBB4_3621:                             ;   in Loop: Header=BB4_2678 Depth=3
	s_delay_alu instid0(SALU_CYCLE_1)
	s_or_b32 exec_lo, exec_lo, s44
.LBB4_3622:                             ;   in Loop: Header=BB4_2678 Depth=3
	s_delay_alu instid0(SALU_CYCLE_1) | instskip(NEXT) | instid1(VALU_DEP_1)
	s_or_b32 exec_lo, exec_lo, s13
	v_add_f32_e32 v8, v13, v12
                                        ; implicit-def: $vgpr12
	s_mov_b32 s13, exec_lo
	s_delay_alu instid0(VALU_DEP_1) | instskip(SKIP_1) | instid1(VALU_DEP_2)
	v_and_b32_e32 v2, 0x7f800000, v8
	v_lshrrev_b32_e32 v9, 24, v8
	v_cmpx_ne_u64_e32 0x7f800000, v[2:3]
	s_xor_b32 s44, exec_lo, s13
	s_cbranch_execz .LBB4_3636
; %bb.3623:                             ;   in Loop: Header=BB4_2678 Depth=3
	v_and_b32_e32 v2, 0x7fffffff, v8
	v_and_b32_e32 v29, 0x80, v9
                                        ; implicit-def: $vgpr12
	s_mov_b32 s13, exec_lo
	s_delay_alu instid0(VALU_DEP_2)
	v_cmpx_gt_u64_e32 0x43e00001, v[2:3]
	s_xor_b32 s45, exec_lo, s13
	s_cbranch_execz .LBB4_3633
; %bb.3624:                             ;   in Loop: Header=BB4_2678 Depth=3
	v_mov_b32_e32 v12, 0
	s_mov_b32 s74, exec_lo
	v_cmpx_ne_u32_e32 0, v8
	s_cbranch_execz .LBB4_3632
; %bb.3625:                             ;   in Loop: Header=BB4_2678 Depth=3
	v_bfe_u32 v24, v8, 23, 8
	v_and_b32_e32 v2, 0x7fffff, v8
	s_delay_alu instid0(VALU_DEP_2) | instskip(SKIP_2) | instid1(VALU_DEP_4)
	v_cmp_gt_u32_e64 s13, 0x7a, v24
	v_sub_nc_u32_e32 v8, 0x79, v24
	v_cmp_eq_u32_e32 vcc_lo, 0, v24
	v_or_b32_e32 v9, 0x800000, v2
	s_delay_alu instid0(VALU_DEP_1) | instskip(NEXT) | instid1(VALU_DEP_1)
	v_dual_cndmask_b32 v8, 0, v8, s13 :: v_dual_cndmask_b32 v2, v9, v2, vcc_lo
	v_cndmask_b32_e64 v25, v8, 0x78, vcc_lo
	s_delay_alu instid0(VALU_DEP_1) | instskip(NEXT) | instid1(VALU_DEP_1)
	v_dual_add_nc_u32 v8, 20, v25 :: v_dual_add_nc_u32 v12, 19, v25
	v_lshlrev_b64_e64 v[8:9], v8, -1
	s_delay_alu instid0(VALU_DEP_2) | instskip(NEXT) | instid1(VALU_DEP_2)
	v_lshlrev_b64_e64 v[12:13], v12, 1
	v_bfi_b32 v9, v9, 0, 0
	s_delay_alu instid0(VALU_DEP_3) | instskip(NEXT) | instid1(VALU_DEP_1)
	v_bfi_b32 v8, v8, 0, v2
	v_cmp_eq_u64_e64 s13, v[8:9], v[12:13]
	v_lshrrev_b64 v[8:9], v25, v[2:3]
	s_delay_alu instid0(VALU_DEP_1)
	v_mov_b64_e32 v[12:13], v[8:9]
	s_and_saveexec_b32 s75, s13
; %bb.3626:                             ;   in Loop: Header=BB4_2678 Depth=3
	v_bfe_u32 v2, v8, 20, 1
	s_delay_alu instid0(VALU_DEP_1) | instskip(NEXT) | instid1(VALU_DEP_1)
	v_add_nc_u64_e32 v[12:13], v[8:9], v[2:3]
	v_add_nc_u64_e32 v[12:13], -1, v[12:13]
; %bb.3627:                             ;   in Loop: Header=BB4_2678 Depth=3
	s_or_b32 exec_lo, exec_lo, s75
	v_add_nc_u32_e32 v2, 0xffffff81, v24
	v_lshrrev_b32_e32 v9, 23, v8
	s_mov_b32 s13, exec_lo
	s_delay_alu instid0(VALU_DEP_2) | instskip(NEXT) | instid1(VALU_DEP_1)
	v_cndmask_b32_e64 v2, v2, 0xffffff82, vcc_lo
	v_add3_u32 v24, v25, v2, v9
	v_and_b32_e32 v2, 0xfffff, v12
                                        ; implicit-def: $vgpr12
	s_delay_alu instid0(VALU_DEP_2) | instskip(NEXT) | instid1(VALU_DEP_2)
	v_add_nc_u32_e32 v13, 6, v24
	v_add_nc_u32_e32 v2, v2, v8
                                        ; implicit-def: $vgpr8_vgpr9
	s_delay_alu instid0(VALU_DEP_2)
	v_cmpx_ne_u32_e32 0, v13
	s_xor_b32 s13, exec_lo, s13
; %bb.3628:                             ;   in Loop: Header=BB4_2678 Depth=3
	s_delay_alu instid0(VALU_DEP_2) | instskip(SKIP_1) | instid1(VALU_DEP_1)
	v_cmp_lt_u64_e32 vcc_lo, 0xffffff, v[2:3]
	v_add_nc_u32_e32 v8, 7, v24
	v_cndmask_b32_e32 v12, v13, v8, vcc_lo
	v_cndmask_b32_e64 v8, 0, 1, vcc_lo
	s_delay_alu instid0(VALU_DEP_1)
	v_lshrrev_b64 v[8:9], v8, v[2:3]
; %bb.3629:                             ;   in Loop: Header=BB4_2678 Depth=3
	s_and_not1_saveexec_b32 s13, s13
; %bb.3630:                             ;   in Loop: Header=BB4_2678 Depth=3
	v_mov_b64_e32 v[8:9], v[2:3]
	v_bfe_u32 v12, v2, 23, 1
; %bb.3631:                             ;   in Loop: Header=BB4_2678 Depth=3
	s_or_b32 exec_lo, exec_lo, s13
	s_delay_alu instid0(VALU_DEP_2) | instskip(NEXT) | instid1(VALU_DEP_2)
	v_lshrrev_b64 v[8:9], 20, v[8:9]
	v_cmp_gt_i32_e32 vcc_lo, 16, v12
	v_min_i32_e32 v2, 15, v12
	v_cmp_eq_u32_e64 s13, 0, v12
	s_delay_alu instid0(VALU_DEP_2) | instskip(SKIP_1) | instid1(VALU_DEP_2)
	v_dual_cndmask_b32 v9, 0, v9 :: v_dual_lshlrev_b32 v2, 3, v2
	v_cndmask_b32_e32 v8, 7, v8, vcc_lo
	v_and_b32_e32 v2, 0xf8, v2
	s_delay_alu instid0(VALU_DEP_2) | instskip(NEXT) | instid1(VALU_DEP_2)
	v_cmp_eq_u64_e32 vcc_lo, 0, v[8:9]
	v_and_or_b32 v2, v8, 7, v2
	s_and_b32 s13, s13, vcc_lo
	s_delay_alu instid0(VALU_DEP_1) | instid1(SALU_CYCLE_1)
	v_cndmask_b32_e64 v2, v2, 0, s13
	s_delay_alu instid0(VALU_DEP_1)
	v_or_b32_e32 v12, v2, v29
.LBB4_3632:                             ;   in Loop: Header=BB4_2678 Depth=3
	s_or_b32 exec_lo, exec_lo, s74
                                        ; implicit-def: $vgpr29
.LBB4_3633:                             ;   in Loop: Header=BB4_2678 Depth=3
	s_and_not1_saveexec_b32 s13, s45
; %bb.3634:                             ;   in Loop: Header=BB4_2678 Depth=3
	v_or_b32_e32 v12, 0x7e, v29
; %bb.3635:                             ;   in Loop: Header=BB4_2678 Depth=3
	s_or_b32 exec_lo, exec_lo, s13
                                        ; implicit-def: $vgpr9
.LBB4_3636:                             ;   in Loop: Header=BB4_2678 Depth=3
	s_and_not1_saveexec_b32 s13, s44
; %bb.3637:                             ;   in Loop: Header=BB4_2678 Depth=3
	v_or_b32_e32 v12, 0x7f, v9
; %bb.3638:                             ;   in Loop: Header=BB4_2678 Depth=3
	s_or_b32 exec_lo, exec_lo, s13
	v_cmp_lt_u64_e32 vcc_lo, s[22:23], v[14:15]
	v_dual_mov_b32 v13, 0 :: v_dual_mov_b32 v14, 0
	s_and_saveexec_b32 s13, vcc_lo
	s_cbranch_execz .LBB4_3646
; %bb.3639:                             ;   in Loop: Header=BB4_2678 Depth=3
	v_lshrrev_b32_e32 v24, 24, v15
	v_bfrev_b32_e32 v14, 1
	s_mov_b32 s44, exec_lo
	s_delay_alu instid0(VALU_DEP_2)
	v_cmpx_ne_u32_e32 0x80, v24
	s_cbranch_execz .LBB4_3645
; %bb.3640:                             ;   in Loop: Header=BB4_2678 Depth=3
	v_bfe_u32 v8, v15, 24, 7
	v_mov_b32_e32 v14, 0x7f800001
	s_mov_b32 s45, exec_lo
	s_delay_alu instid0(VALU_DEP_2)
	v_cmpx_ne_u32_e32 0x7f, v8
	s_cbranch_execz .LBB4_3644
; %bb.3641:                             ;   in Loop: Header=BB4_2678 Depth=3
	v_and_b32_e32 v2, 7, v24
	v_lshrrev_b32_e32 v14, 3, v8
	v_cmp_gt_u32_e32 vcc_lo, 8, v8
	s_delay_alu instid0(VALU_DEP_3)
	v_mov_b64_e32 v[8:9], v[2:3]
	s_and_saveexec_b32 s74, vcc_lo
; %bb.3642:                             ;   in Loop: Header=BB4_2678 Depth=3
	v_clz_i32_u32_e32 v8, v2
	s_delay_alu instid0(VALU_DEP_1) | instskip(NEXT) | instid1(VALU_DEP_1)
	v_min_u32_e32 v14, 32, v8
	v_subrev_nc_u32_e32 v8, 28, v14
	s_delay_alu instid0(VALU_DEP_1) | instskip(NEXT) | instid1(VALU_DEP_1)
	v_lshlrev_b64_e32 v[8:9], v8, v[2:3]
	v_dual_sub_nc_u32 v14, 29, v14 :: v_dual_bitop2_b32 v8, 7, v8 bitop3:0x40
; %bb.3643:                             ;   in Loop: Header=BB4_2678 Depth=3
	s_or_b32 exec_lo, exec_lo, s74
	v_lshlrev_b32_e32 v2, 24, v24
	s_delay_alu instid0(VALU_DEP_2) | instskip(NEXT) | instid1(VALU_DEP_3)
	v_lshlrev_b32_e32 v8, 20, v8
	v_lshl_add_u32 v9, v14, 23, 0x3c000000
	s_delay_alu instid0(VALU_DEP_3) | instskip(NEXT) | instid1(VALU_DEP_1)
	v_and_b32_e32 v2, 0x80000000, v2
	v_or3_b32 v14, v8, v2, v9
.LBB4_3644:                             ;   in Loop: Header=BB4_2678 Depth=3
	s_or_b32 exec_lo, exec_lo, s45
.LBB4_3645:                             ;   in Loop: Header=BB4_2678 Depth=3
	s_delay_alu instid0(SALU_CYCLE_1)
	s_or_b32 exec_lo, exec_lo, s44
.LBB4_3646:                             ;   in Loop: Header=BB4_2678 Depth=3
	s_delay_alu instid0(SALU_CYCLE_1) | instskip(NEXT) | instid1(SALU_CYCLE_1)
	s_or_b32 exec_lo, exec_lo, s13
	s_mov_b32 s13, exec_lo
	v_cmpx_lt_u64_e64 s[22:23], v[10:11]
	s_cbranch_execz .LBB4_3654
; %bb.3647:                             ;   in Loop: Header=BB4_2678 Depth=3
	v_lshrrev_b32_e32 v10, 24, v11
	v_bfrev_b32_e32 v13, 1
	s_mov_b32 s44, exec_lo
	s_delay_alu instid0(VALU_DEP_2)
	v_cmpx_ne_u32_e32 0x80, v10
	s_cbranch_execz .LBB4_3653
; %bb.3648:                             ;   in Loop: Header=BB4_2678 Depth=3
	v_bfe_u32 v8, v11, 24, 7
	v_mov_b32_e32 v13, 0x7f800001
	s_mov_b32 s45, exec_lo
	s_delay_alu instid0(VALU_DEP_2)
	v_cmpx_ne_u32_e32 0x7f, v8
	s_cbranch_execz .LBB4_3652
; %bb.3649:                             ;   in Loop: Header=BB4_2678 Depth=3
	v_dual_lshrrev_b32 v11, 3, v8 :: v_dual_bitop2_b32 v2, 7, v10 bitop3:0x40
	v_cmp_gt_u32_e32 vcc_lo, 8, v8
	s_delay_alu instid0(VALU_DEP_2)
	v_mov_b64_e32 v[8:9], v[2:3]
	s_and_saveexec_b32 s74, vcc_lo
; %bb.3650:                             ;   in Loop: Header=BB4_2678 Depth=3
	v_clz_i32_u32_e32 v8, v2
	s_delay_alu instid0(VALU_DEP_1) | instskip(NEXT) | instid1(VALU_DEP_1)
	v_min_u32_e32 v11, 32, v8
	v_subrev_nc_u32_e32 v8, 28, v11
	s_delay_alu instid0(VALU_DEP_1) | instskip(NEXT) | instid1(VALU_DEP_1)
	v_lshlrev_b64_e32 v[8:9], v8, v[2:3]
	v_dual_sub_nc_u32 v11, 29, v11 :: v_dual_bitop2_b32 v8, 7, v8 bitop3:0x40
; %bb.3651:                             ;   in Loop: Header=BB4_2678 Depth=3
	s_or_b32 exec_lo, exec_lo, s74
	s_delay_alu instid0(VALU_DEP_1) | instskip(NEXT) | instid1(VALU_DEP_2)
	v_dual_lshlrev_b32 v2, 24, v10 :: v_dual_lshlrev_b32 v8, 20, v8
	v_lshl_add_u32 v9, v11, 23, 0x3c000000
	s_delay_alu instid0(VALU_DEP_2) | instskip(NEXT) | instid1(VALU_DEP_1)
	v_and_b32_e32 v2, 0x80000000, v2
	v_or3_b32 v13, v8, v2, v9
.LBB4_3652:                             ;   in Loop: Header=BB4_2678 Depth=3
	s_or_b32 exec_lo, exec_lo, s45
.LBB4_3653:                             ;   in Loop: Header=BB4_2678 Depth=3
	s_delay_alu instid0(SALU_CYCLE_1)
	s_or_b32 exec_lo, exec_lo, s44
.LBB4_3654:                             ;   in Loop: Header=BB4_2678 Depth=3
	s_delay_alu instid0(SALU_CYCLE_1) | instskip(NEXT) | instid1(VALU_DEP_1)
	s_or_b32 exec_lo, exec_lo, s13
	v_add_f32_e32 v8, v14, v13
	s_delay_alu instid0(VALU_DEP_1) | instskip(SKIP_1) | instid1(VALU_DEP_2)
	v_and_b32_e32 v2, 0x7f800000, v8
	v_lshrrev_b32_e32 v9, 24, v8
	v_cmp_ne_u64_e32 vcc_lo, 0x7f800000, v[2:3]
                                        ; implicit-def: $vgpr2
	s_and_saveexec_b32 s13, vcc_lo
	s_delay_alu instid0(SALU_CYCLE_1)
	s_xor_b32 s44, exec_lo, s13
	s_cbranch_execz .LBB4_3668
; %bb.3655:                             ;   in Loop: Header=BB4_2678 Depth=3
	v_and_b32_e32 v2, 0x7fffffff, v8
	v_and_b32_e32 v13, 0x80, v9
	s_delay_alu instid0(VALU_DEP_2) | instskip(SKIP_1) | instid1(SALU_CYCLE_1)
	v_cmp_gt_u64_e32 vcc_lo, 0x43e00001, v[2:3]
                                        ; implicit-def: $vgpr2
	s_and_saveexec_b32 s13, vcc_lo
	s_xor_b32 s45, exec_lo, s13
	s_cbranch_execz .LBB4_3665
; %bb.3656:                             ;   in Loop: Header=BB4_2678 Depth=3
	v_mov_b32_e32 v2, 0
	s_mov_b32 s74, exec_lo
	v_cmpx_ne_u32_e32 0, v8
	s_cbranch_execz .LBB4_3664
; %bb.3657:                             ;   in Loop: Header=BB4_2678 Depth=3
	v_bfe_u32 v14, v8, 23, 8
	v_and_b32_e32 v2, 0x7fffff, v8
	s_delay_alu instid0(VALU_DEP_2) | instskip(SKIP_2) | instid1(VALU_DEP_4)
	v_cmp_gt_u32_e64 s13, 0x7a, v14
	v_sub_nc_u32_e32 v8, 0x79, v14
	v_cmp_eq_u32_e32 vcc_lo, 0, v14
	v_or_b32_e32 v9, 0x800000, v2
	s_delay_alu instid0(VALU_DEP_1) | instskip(NEXT) | instid1(VALU_DEP_1)
	v_dual_cndmask_b32 v8, 0, v8, s13 :: v_dual_cndmask_b32 v2, v9, v2, vcc_lo
	v_cndmask_b32_e64 v15, v8, 0x78, vcc_lo
	s_delay_alu instid0(VALU_DEP_1) | instskip(NEXT) | instid1(VALU_DEP_1)
	v_dual_add_nc_u32 v8, 20, v15 :: v_dual_add_nc_u32 v10, 19, v15
	v_lshlrev_b64_e64 v[8:9], v8, -1
	s_delay_alu instid0(VALU_DEP_2) | instskip(NEXT) | instid1(VALU_DEP_2)
	v_lshlrev_b64_e64 v[10:11], v10, 1
	v_bfi_b32 v9, v9, 0, 0
	s_delay_alu instid0(VALU_DEP_3) | instskip(NEXT) | instid1(VALU_DEP_1)
	v_bfi_b32 v8, v8, 0, v2
	v_cmp_eq_u64_e64 s13, v[8:9], v[10:11]
	v_lshrrev_b64 v[8:9], v15, v[2:3]
	s_delay_alu instid0(VALU_DEP_1)
	v_mov_b64_e32 v[10:11], v[8:9]
	s_and_saveexec_b32 s75, s13
; %bb.3658:                             ;   in Loop: Header=BB4_2678 Depth=3
	v_bfe_u32 v2, v8, 20, 1
	s_delay_alu instid0(VALU_DEP_1) | instskip(NEXT) | instid1(VALU_DEP_1)
	v_add_nc_u64_e32 v[10:11], v[8:9], v[2:3]
	v_add_nc_u64_e32 v[10:11], -1, v[10:11]
; %bb.3659:                             ;   in Loop: Header=BB4_2678 Depth=3
	s_or_b32 exec_lo, exec_lo, s75
	v_add_nc_u32_e32 v2, 0xffffff81, v14
	v_lshrrev_b32_e32 v9, 23, v8
	s_mov_b32 s13, exec_lo
	s_delay_alu instid0(VALU_DEP_2) | instskip(NEXT) | instid1(VALU_DEP_1)
	v_cndmask_b32_e64 v2, v2, 0xffffff82, vcc_lo
	v_add3_u32 v14, v15, v2, v9
	v_and_b32_e32 v2, 0xfffff, v10
                                        ; implicit-def: $vgpr10
	s_delay_alu instid0(VALU_DEP_1) | instskip(NEXT) | instid1(VALU_DEP_1)
	v_dual_add_nc_u32 v11, 6, v14 :: v_dual_add_nc_u32 v2, v2, v8
                                        ; implicit-def: $vgpr8_vgpr9
	v_cmpx_ne_u32_e32 0, v11
	s_xor_b32 s13, exec_lo, s13
; %bb.3660:                             ;   in Loop: Header=BB4_2678 Depth=3
	s_delay_alu instid0(VALU_DEP_2) | instskip(SKIP_1) | instid1(VALU_DEP_1)
	v_cmp_lt_u64_e32 vcc_lo, 0xffffff, v[2:3]
	v_add_nc_u32_e32 v8, 7, v14
	v_cndmask_b32_e32 v10, v11, v8, vcc_lo
	v_cndmask_b32_e64 v8, 0, 1, vcc_lo
	s_delay_alu instid0(VALU_DEP_1)
	v_lshrrev_b64 v[8:9], v8, v[2:3]
; %bb.3661:                             ;   in Loop: Header=BB4_2678 Depth=3
	s_and_not1_saveexec_b32 s13, s13
; %bb.3662:                             ;   in Loop: Header=BB4_2678 Depth=3
	v_mov_b64_e32 v[8:9], v[2:3]
	v_bfe_u32 v10, v2, 23, 1
; %bb.3663:                             ;   in Loop: Header=BB4_2678 Depth=3
	s_or_b32 exec_lo, exec_lo, s13
	s_delay_alu instid0(VALU_DEP_2) | instskip(NEXT) | instid1(VALU_DEP_2)
	v_lshrrev_b64 v[8:9], 20, v[8:9]
	v_cmp_gt_i32_e32 vcc_lo, 16, v10
	v_min_i32_e32 v2, 15, v10
	v_cmp_eq_u32_e64 s13, 0, v10
	s_delay_alu instid0(VALU_DEP_2) | instskip(SKIP_1) | instid1(VALU_DEP_2)
	v_dual_cndmask_b32 v9, 0, v9 :: v_dual_lshlrev_b32 v2, 3, v2
	v_cndmask_b32_e32 v8, 7, v8, vcc_lo
	v_and_b32_e32 v2, 0xf8, v2
	s_delay_alu instid0(VALU_DEP_2) | instskip(NEXT) | instid1(VALU_DEP_2)
	v_cmp_eq_u64_e32 vcc_lo, 0, v[8:9]
	v_and_or_b32 v2, v8, 7, v2
	s_and_b32 s13, s13, vcc_lo
	s_delay_alu instid0(VALU_DEP_1) | instid1(SALU_CYCLE_1)
	v_cndmask_b32_e64 v2, v2, 0, s13
	s_delay_alu instid0(VALU_DEP_1)
	v_or_b32_e32 v2, v2, v13
.LBB4_3664:                             ;   in Loop: Header=BB4_2678 Depth=3
	s_or_b32 exec_lo, exec_lo, s74
                                        ; implicit-def: $vgpr13
.LBB4_3665:                             ;   in Loop: Header=BB4_2678 Depth=3
	s_and_not1_saveexec_b32 s13, s45
; %bb.3666:                             ;   in Loop: Header=BB4_2678 Depth=3
	v_or_b32_e32 v2, 0x7e, v13
; %bb.3667:                             ;   in Loop: Header=BB4_2678 Depth=3
	s_or_b32 exec_lo, exec_lo, s13
                                        ; implicit-def: $vgpr9
.LBB4_3668:                             ;   in Loop: Header=BB4_2678 Depth=3
	s_and_not1_saveexec_b32 s13, s44
	s_cbranch_execz .LBB4_2677
; %bb.3669:                             ;   in Loop: Header=BB4_2678 Depth=3
	v_or_b32_e32 v2, 0x7f, v9
	s_branch .LBB4_2677
.LBB4_3670:                             ;   in Loop: Header=BB4_2595 Depth=2
	s_or_b32 exec_lo, exec_lo, s15
.LBB4_3671:                             ;   in Loop: Header=BB4_2595 Depth=2
	s_delay_alu instid0(SALU_CYCLE_1) | instskip(SKIP_3) | instid1(VALU_DEP_1)
	s_or_b32 exec_lo, exec_lo, s14
	v_dual_lshlrev_b32 v74, 10, v104 :: v_dual_mov_b32 v20, 0
	s_mov_b32 s13, 0
	s_mov_b32 s74, exec_lo
                                        ; implicit-def: $vgpr21
                                        ; implicit-def: $vgpr22
                                        ; implicit-def: $vgpr2
	v_cmpx_ne_u32_e64 v41, v74
	s_cbranch_execz .LBB4_4177
; %bb.3672:                             ;   in Loop: Header=BB4_2595 Depth=2
	v_dual_lshlrev_b32 v2, 5, v43 :: v_dual_sub_nc_u32 v9, v41, v74
	s_mov_b32 s75, exec_lo
	s_delay_alu instid0(VALU_DEP_1) | instskip(NEXT) | instid1(VALU_DEP_1)
	v_dual_sub_nc_u32 v2, v94, v2 :: v_dual_ashrrev_i32 v10, 31, v9
	v_ashrrev_i32_e32 v8, 31, v2
	s_delay_alu instid0(VALU_DEP_1) | instskip(NEXT) | instid1(VALU_DEP_1)
	v_dual_lshrrev_b32 v10, 23, v10 :: v_dual_lshrrev_b32 v8, 27, v8
	v_add_nc_u32_e32 v8, v2, v8
	s_delay_alu instid0(VALU_DEP_1) | instskip(NEXT) | instid1(VALU_DEP_1)
	v_and_b32_e32 v11, 0xffffffe0, v8
	v_dual_add_nc_u32 v10, v9, v10 :: v_dual_sub_nc_u32 v75, v2, v11
	s_delay_alu instid0(VALU_DEP_1) | instskip(SKIP_1) | instid1(VALU_DEP_3)
	v_and_b32_e32 v43, 0xfffffe00, v10
	v_dual_ashrrev_i32 v8, 5, v8 :: v_dual_ashrrev_i32 v10, 9, v10
	v_lshlrev_b32_e32 v2, 4, v75
	s_delay_alu instid0(VALU_DEP_3) | instskip(NEXT) | instid1(VALU_DEP_2)
	v_sub_nc_u32_e32 v76, v9, v43
	v_lshl_add_u32 v2, v8, 9, v2
	s_delay_alu instid0(VALU_DEP_2) | instskip(NEXT) | instid1(VALU_DEP_1)
	v_cmp_lt_i32_e64 s13, 15, v76
	v_add_co_ci_u32_e64 v10, null, 0, v10, s13
	s_delay_alu instid0(VALU_DEP_1) | instskip(NEXT) | instid1(VALU_DEP_1)
	v_dual_sub_nc_u32 v78, v9, v2 :: v_dual_sub_nc_u32 v77, v10, v8
	v_cmpx_lt_i32_e32 15, v78
	s_cbranch_execz .LBB4_4174
; %bb.3673:                             ;   in Loop: Header=BB4_2595 Depth=2
	s_trap 2
	ds_load_b64 v[8:9], v0
	v_add_nc_u32_e32 v10, v2, v74
	s_mov_b32 s76, 0
	s_delay_alu instid0(VALU_DEP_1) | instskip(NEXT) | instid1(VALU_DEP_1)
	v_ashrrev_i32_e32 v11, 31, v10
	v_add_nc_u64_e32 v[16:17], v[10:11], v[56:57]
	v_add_nc_u64_e32 v[18:19], v[10:11], v[58:59]
	;; [unrolled: 1-line block ×3, first 2 shown]
	s_wait_dscnt 0x0
	v_add_nc_u64_e32 v[22:23], v[8:9], v[10:11]
.LBB4_3674:                             ;   Parent Loop BB4_47 Depth=1
                                        ;     Parent Loop BB4_2595 Depth=2
                                        ; =>    This Loop Header: Depth=3
                                        ;         Child Loop BB4_4171 Depth 4
	global_load_b128 v[12:15], v[20:21], off th:TH_LOAD_NT
	global_load_b128 v[8:11], v[22:23], off th:TH_LOAD_NT
	v_mov_b32_e32 v2, 0
	s_mov_b32 s14, exec_lo
	s_wait_loadcnt 0x1
	v_and_b32_e32 v24, 0xff, v12
	s_wait_xcnt 0x0
	s_delay_alu instid0(VALU_DEP_1)
	v_cmpx_ne_u16_e32 0, v24
	s_cbranch_execz .LBB4_3680
; %bb.3675:                             ;   in Loop: Header=BB4_3674 Depth=3
	v_bfrev_b32_e32 v2, 1
	s_mov_b32 s15, exec_lo
	v_cmpx_ne_u16_e32 0x80, v24
	s_cbranch_execz .LBB4_3679
; %bb.3676:                             ;   in Loop: Header=BB4_3674 Depth=3
	v_and_b32_e32 v24, 0x7f, v12
	v_mov_b32_e32 v2, 0x7f800001
	s_mov_b32 s44, exec_lo
	s_delay_alu instid0(VALU_DEP_2)
	v_cmpx_ne_u32_e32 0x7f, v24
	s_cbranch_execz .LBB4_3678
; %bb.3677:                             ;   in Loop: Header=BB4_3674 Depth=3
	v_cmp_gt_u32_e32 vcc_lo, 8, v24
	v_and_b32_e32 v2, 7, v12
	s_delay_alu instid0(VALU_DEP_1) | instskip(NEXT) | instid1(VALU_DEP_1)
	v_clz_i32_u32_e32 v2, v2
	v_min_u32_e32 v2, 32, v2
	v_lshrrev_b32_e32 v25, 3, v24
	s_delay_alu instid0(VALU_DEP_2) | instskip(SKIP_1) | instid1(VALU_DEP_2)
	v_subrev_nc_u32_e32 v26, 28, v2
	v_sub_nc_u32_e32 v2, 29, v2
	v_cndmask_b32_e32 v24, 0, v26, vcc_lo
	s_delay_alu instid0(VALU_DEP_2) | instskip(NEXT) | instid1(VALU_DEP_2)
	v_cndmask_b32_e32 v2, v25, v2, vcc_lo
	v_lshlrev_b64_e32 v[24:25], v24, v[12:13]
	v_lshlrev_b32_e32 v25, 24, v12
	s_delay_alu instid0(VALU_DEP_3) | instskip(NEXT) | instid1(VALU_DEP_2)
	v_lshl_add_u32 v2, v2, 23, 0x3c000000
	v_and_b32_e32 v25, 0x80000000, v25
	s_delay_alu instid0(VALU_DEP_4) | instskip(NEXT) | instid1(VALU_DEP_1)
	v_lshlrev_b32_e32 v24, 20, v24
	v_and_b32_e32 v24, 0x700000, v24
	s_delay_alu instid0(VALU_DEP_1)
	v_or3_b32 v2, v24, v25, v2
.LBB4_3678:                             ;   in Loop: Header=BB4_3674 Depth=3
	s_or_b32 exec_lo, exec_lo, s44
.LBB4_3679:                             ;   in Loop: Header=BB4_3674 Depth=3
	s_delay_alu instid0(SALU_CYCLE_1)
	s_or_b32 exec_lo, exec_lo, s15
.LBB4_3680:                             ;   in Loop: Header=BB4_3674 Depth=3
	s_delay_alu instid0(SALU_CYCLE_1) | instskip(SKIP_4) | instid1(VALU_DEP_1)
	s_or_b32 exec_lo, exec_lo, s14
	s_wait_loadcnt 0x0
	v_and_b32_e32 v25, 0xff, v8
	s_mov_b32 s14, 0
	s_mov_b32 s15, exec_lo
	v_cmpx_lt_i16_e32 0x7f, v25
	s_xor_b32 s15, exec_lo, s15
	s_cbranch_execz .LBB4_3715
; %bb.3681:                             ;   in Loop: Header=BB4_3674 Depth=3
	s_mov_b32 s14, -1
	s_mov_b32 s44, exec_lo
	v_cmpx_eq_u16_e32 0x80, v25
; %bb.3682:                             ;   in Loop: Header=BB4_3674 Depth=3
	s_xor_b32 s14, exec_lo, -1
; %bb.3683:                             ;   in Loop: Header=BB4_3674 Depth=3
	s_or_b32 exec_lo, exec_lo, s44
	s_delay_alu instid0(SALU_CYCLE_1)
	s_and_b32 s14, s14, exec_lo
                                        ; implicit-def: $vgpr25
	s_or_saveexec_b32 s15, s15
	v_bfrev_b32_e32 v24, 1
	s_xor_b32 exec_lo, exec_lo, s15
	s_cbranch_execnz .LBB4_3716
.LBB4_3684:                             ;   in Loop: Header=BB4_3674 Depth=3
	s_or_b32 exec_lo, exec_lo, s15
	s_and_saveexec_b32 s15, s14
	s_cbranch_execz .LBB4_3686
.LBB4_3685:                             ;   in Loop: Header=BB4_3674 Depth=3
	v_and_b32_e32 v24, 7, v8
	v_and_b32_e32 v26, 0x7f, v8
	v_bfe_u32 v25, v8, 3, 4
	s_delay_alu instid0(VALU_DEP_3) | instskip(NEXT) | instid1(VALU_DEP_3)
	v_clz_i32_u32_e32 v24, v24
	v_cmp_gt_u32_e32 vcc_lo, 8, v26
	s_delay_alu instid0(VALU_DEP_2) | instskip(NEXT) | instid1(VALU_DEP_1)
	v_min_u32_e32 v24, 32, v24
	v_subrev_nc_u32_e32 v27, 28, v24
	v_sub_nc_u32_e32 v24, 29, v24
	s_delay_alu instid0(VALU_DEP_1) | instskip(SKIP_1) | instid1(VALU_DEP_2)
	v_dual_cndmask_b32 v28, v25, v24, vcc_lo :: v_dual_cndmask_b32 v24, 0, v27, vcc_lo
	v_cmp_ne_u32_e32 vcc_lo, 0x7f, v26
	v_lshl_add_u32 v27, v28, 23, 0x3c000000
	s_delay_alu instid0(VALU_DEP_3) | instskip(SKIP_1) | instid1(VALU_DEP_1)
	v_lshlrev_b64_e32 v[24:25], v24, v[8:9]
	v_lshlrev_b32_e32 v25, 24, v8
	v_and_b32_e32 v25, 0x80000000, v25
	s_delay_alu instid0(VALU_DEP_3) | instskip(NEXT) | instid1(VALU_DEP_1)
	v_lshlrev_b32_e32 v24, 20, v24
	v_and_b32_e32 v24, 0x700000, v24
	s_delay_alu instid0(VALU_DEP_1) | instskip(NEXT) | instid1(VALU_DEP_1)
	v_or3_b32 v24, v24, v25, v27
	v_cndmask_b32_e32 v24, 0x7f800001, v24, vcc_lo
.LBB4_3686:                             ;   in Loop: Header=BB4_3674 Depth=3
	s_or_b32 exec_lo, exec_lo, s15
	s_delay_alu instid0(VALU_DEP_1) | instskip(SKIP_1) | instid1(VALU_DEP_1)
	v_add_f32_e32 v24, v2, v24
                                        ; implicit-def: $vgpr79
	s_mov_b32 s14, exec_lo
	v_and_b32_e32 v2, 0x7f800000, v24
	v_lshrrev_b32_e32 v25, 24, v24
	s_delay_alu instid0(VALU_DEP_2)
	v_cmpx_ne_u64_e32 0x7f800000, v[2:3]
	s_xor_b32 s15, exec_lo, s14
	s_cbranch_execz .LBB4_3700
; %bb.3687:                             ;   in Loop: Header=BB4_3674 Depth=3
	v_and_b32_e32 v2, 0x7fffffff, v24
	v_and_b32_e32 v26, 0x80, v25
                                        ; implicit-def: $vgpr79
	s_mov_b32 s14, exec_lo
	s_delay_alu instid0(VALU_DEP_2)
	v_cmpx_gt_u64_e32 0x43e00001, v[2:3]
	s_xor_b32 s44, exec_lo, s14
	s_cbranch_execz .LBB4_3697
; %bb.3688:                             ;   in Loop: Header=BB4_3674 Depth=3
	v_mov_b32_e32 v79, 0
	s_mov_b32 s45, exec_lo
	v_cmpx_ne_u32_e32 0, v24
	s_cbranch_execz .LBB4_3696
; %bb.3689:                             ;   in Loop: Header=BB4_3674 Depth=3
	v_bfe_u32 v25, v24, 23, 8
	s_mov_b32 s77, exec_lo
	s_delay_alu instid0(VALU_DEP_1) | instskip(SKIP_1) | instid1(VALU_DEP_2)
	v_sub_nc_u32_e32 v2, 0x79, v25
	v_cmp_gt_u32_e32 vcc_lo, 0x7a, v25
	v_cndmask_b32_e32 v2, 0, v2, vcc_lo
	v_cmp_eq_u32_e32 vcc_lo, 0, v25
	s_delay_alu instid0(VALU_DEP_2) | instskip(SKIP_1) | instid1(VALU_DEP_2)
	v_cndmask_b32_e64 v27, v2, 0x78, vcc_lo
	v_and_b32_e32 v2, 0x7fffff, v24
	v_add_nc_u32_e32 v24, 20, v27
	s_delay_alu instid0(VALU_DEP_2) | instskip(NEXT) | instid1(VALU_DEP_2)
	v_or_b32_e32 v68, 0x800000, v2
	v_lshlrev_b64_e64 v[28:29], v24, -1
	s_delay_alu instid0(VALU_DEP_2) | instskip(NEXT) | instid1(VALU_DEP_1)
	v_dual_add_nc_u32 v24, 19, v27 :: v_dual_cndmask_b32 v2, v68, v2, vcc_lo
	v_lshlrev_b64_e64 v[68:69], v24, 1
	s_delay_alu instid0(VALU_DEP_2) | instskip(NEXT) | instid1(VALU_DEP_4)
	v_lshrrev_b64 v[60:61], v27, v[2:3]
	v_bfi_b32 v29, v29, 0, 0
	v_bfi_b32 v28, v28, 0, v2
	s_delay_alu instid0(VALU_DEP_3) | instskip(NEXT) | instid1(VALU_DEP_2)
	v_mov_b64_e32 v[62:63], v[60:61]
	v_cmpx_eq_u64_e64 v[28:29], v[68:69]
; %bb.3690:                             ;   in Loop: Header=BB4_3674 Depth=3
	v_bfe_u32 v2, v60, 20, 1
	s_delay_alu instid0(VALU_DEP_1) | instskip(NEXT) | instid1(VALU_DEP_1)
	v_add_nc_u64_e32 v[28:29], v[60:61], v[2:3]
	v_add_nc_u64_e32 v[62:63], -1, v[28:29]
; %bb.3691:                             ;   in Loop: Header=BB4_3674 Depth=3
	s_or_b32 exec_lo, exec_lo, s77
	v_add_nc_u32_e32 v2, 0xffffff81, v25
	v_lshrrev_b32_e32 v24, 23, v60
	s_mov_b32 s14, exec_lo
	s_delay_alu instid0(VALU_DEP_2) | instskip(NEXT) | instid1(VALU_DEP_1)
	v_cndmask_b32_e64 v2, v2, 0xffffff82, vcc_lo
	v_add3_u32 v25, v27, v2, v24
	v_and_b32_e32 v2, 0xfffff, v62
                                        ; implicit-def: $vgpr24
	s_delay_alu instid0(VALU_DEP_1) | instskip(NEXT) | instid1(VALU_DEP_1)
	v_dual_add_nc_u32 v27, 6, v25 :: v_dual_add_nc_u32 v2, v2, v60
                                        ; implicit-def: $vgpr60_vgpr61
	v_cmpx_ne_u32_e32 0, v27
	s_xor_b32 s14, exec_lo, s14
; %bb.3692:                             ;   in Loop: Header=BB4_3674 Depth=3
	s_delay_alu instid0(VALU_DEP_2) | instskip(SKIP_2) | instid1(VALU_DEP_2)
	v_cmp_lt_u64_e32 vcc_lo, 0xffffff, v[2:3]
	v_add_nc_u32_e32 v24, 7, v25
	v_cndmask_b32_e64 v25, 0, 1, vcc_lo
	v_cndmask_b32_e32 v24, v27, v24, vcc_lo
	s_delay_alu instid0(VALU_DEP_2)
	v_lshrrev_b64 v[60:61], v25, v[2:3]
; %bb.3693:                             ;   in Loop: Header=BB4_3674 Depth=3
	s_and_not1_saveexec_b32 s14, s14
; %bb.3694:                             ;   in Loop: Header=BB4_3674 Depth=3
	v_mov_b64_e32 v[60:61], v[2:3]
	v_bfe_u32 v24, v2, 23, 1
; %bb.3695:                             ;   in Loop: Header=BB4_3674 Depth=3
	s_or_b32 exec_lo, exec_lo, s14
	s_delay_alu instid0(VALU_DEP_2) | instskip(NEXT) | instid1(VALU_DEP_2)
	v_lshrrev_b64 v[28:29], 20, v[60:61]
	v_cmp_gt_i32_e32 vcc_lo, 16, v24
	v_min_i32_e32 v2, 15, v24
	v_cmp_eq_u32_e64 s14, 0, v24
	s_delay_alu instid0(VALU_DEP_2) | instskip(SKIP_1) | instid1(VALU_DEP_2)
	v_dual_cndmask_b32 v29, 0, v29 :: v_dual_lshlrev_b32 v2, 3, v2
	v_cndmask_b32_e32 v28, 7, v28, vcc_lo
	v_and_b32_e32 v2, 0xf8, v2
	s_delay_alu instid0(VALU_DEP_2) | instskip(NEXT) | instid1(VALU_DEP_2)
	v_cmp_eq_u64_e32 vcc_lo, 0, v[28:29]
	v_and_or_b32 v2, v28, 7, v2
	s_and_b32 s14, s14, vcc_lo
	s_delay_alu instid0(VALU_DEP_1) | instid1(SALU_CYCLE_1)
	v_cndmask_b32_e64 v2, v2, 0, s14
	s_delay_alu instid0(VALU_DEP_1)
	v_or_b32_e32 v79, v2, v26
.LBB4_3696:                             ;   in Loop: Header=BB4_3674 Depth=3
	s_or_b32 exec_lo, exec_lo, s45
                                        ; implicit-def: $vgpr26
.LBB4_3697:                             ;   in Loop: Header=BB4_3674 Depth=3
	s_and_not1_saveexec_b32 s14, s44
; %bb.3698:                             ;   in Loop: Header=BB4_3674 Depth=3
	v_or_b32_e32 v79, 0x7e, v26
; %bb.3699:                             ;   in Loop: Header=BB4_3674 Depth=3
	s_or_b32 exec_lo, exec_lo, s14
                                        ; implicit-def: $vgpr25
.LBB4_3700:                             ;   in Loop: Header=BB4_3674 Depth=3
	s_and_not1_saveexec_b32 s14, s15
; %bb.3701:                             ;   in Loop: Header=BB4_3674 Depth=3
	v_or_b32_e32 v79, 0x7f, v25
; %bb.3702:                             ;   in Loop: Header=BB4_3674 Depth=3
	s_or_b32 exec_lo, exec_lo, s14
	v_lshrrev_b16 v2, 8, v12
	v_mov_b32_e32 v26, 0
	s_mov_b32 s14, exec_lo
	s_delay_alu instid0(VALU_DEP_2)
	v_cmpx_ne_u16_e32 0, v2
	s_cbranch_execz .LBB4_3710
; %bb.3703:                             ;   in Loop: Header=BB4_3674 Depth=3
	v_bfrev_b32_e32 v26, 1
	s_mov_b32 s15, exec_lo
	v_cmpx_ne_u16_e32 0x80, v2
	s_cbranch_execz .LBB4_3709
; %bb.3704:                             ;   in Loop: Header=BB4_3674 Depth=3
	v_and_b32_e32 v2, 0xffff, v2
	v_mov_b32_e32 v26, 0x7f800001
	s_mov_b32 s44, exec_lo
	s_delay_alu instid0(VALU_DEP_2) | instskip(NEXT) | instid1(VALU_DEP_1)
	v_and_b32_e32 v25, 0x7f, v2
	v_cmpx_ne_u32_e32 0x7f, v25
	s_cbranch_execz .LBB4_3708
; %bb.3705:                             ;   in Loop: Header=BB4_3674 Depth=3
	v_dual_lshrrev_b32 v24, 3, v25 :: v_dual_bitop2_b32 v2, 7, v2 bitop3:0x40
	s_mov_b32 s45, exec_lo
	s_delay_alu instid0(VALU_DEP_1)
	v_mov_b64_e32 v[60:61], v[2:3]
	v_cmpx_gt_u32_e32 8, v25
; %bb.3706:                             ;   in Loop: Header=BB4_3674 Depth=3
	v_clz_i32_u32_e32 v24, v2
	s_delay_alu instid0(VALU_DEP_1) | instskip(NEXT) | instid1(VALU_DEP_1)
	v_min_u32_e32 v24, 32, v24
	v_subrev_nc_u32_e32 v25, 28, v24
	s_delay_alu instid0(VALU_DEP_1) | instskip(NEXT) | instid1(VALU_DEP_1)
	v_lshlrev_b64_e32 v[26:27], v25, v[2:3]
	v_dual_sub_nc_u32 v24, 29, v24 :: v_dual_bitop2_b32 v60, 7, v26 bitop3:0x40
; %bb.3707:                             ;   in Loop: Header=BB4_3674 Depth=3
	s_or_b32 exec_lo, exec_lo, s45
	v_lshlrev_b32_e32 v2, 16, v12
	s_delay_alu instid0(VALU_DEP_2) | instskip(NEXT) | instid1(VALU_DEP_3)
	v_lshlrev_b32_e32 v25, 20, v60
	v_lshl_add_u32 v24, v24, 23, 0x3c000000
	s_delay_alu instid0(VALU_DEP_3) | instskip(NEXT) | instid1(VALU_DEP_1)
	v_and_b32_e32 v2, 0x80000000, v2
	v_or3_b32 v26, v25, v2, v24
.LBB4_3708:                             ;   in Loop: Header=BB4_3674 Depth=3
	s_or_b32 exec_lo, exec_lo, s44
.LBB4_3709:                             ;   in Loop: Header=BB4_3674 Depth=3
	s_delay_alu instid0(SALU_CYCLE_1)
	s_or_b32 exec_lo, exec_lo, s15
.LBB4_3710:                             ;   in Loop: Header=BB4_3674 Depth=3
	s_delay_alu instid0(SALU_CYCLE_1) | instskip(SKIP_3) | instid1(VALU_DEP_1)
	s_or_b32 exec_lo, exec_lo, s14
	v_lshrrev_b16 v27, 8, v8
	s_mov_b32 s15, 0
	s_mov_b32 s14, exec_lo
	v_cmpx_lt_i16_e32 0x7f, v27
	s_xor_b32 s14, exec_lo, s14
	s_cbranch_execz .LBB4_3717
; %bb.3711:                             ;   in Loop: Header=BB4_3674 Depth=3
	s_mov_b32 s15, -1
	s_mov_b32 s44, exec_lo
	v_cmpx_eq_u16_e32 0x80, v27
; %bb.3712:                             ;   in Loop: Header=BB4_3674 Depth=3
	s_xor_b32 s15, exec_lo, -1
; %bb.3713:                             ;   in Loop: Header=BB4_3674 Depth=3
	s_or_b32 exec_lo, exec_lo, s44
	s_delay_alu instid0(SALU_CYCLE_1)
	s_and_b32 s15, s15, exec_lo
	s_or_saveexec_b32 s14, s14
	v_bfrev_b32_e32 v24, 1
	s_xor_b32 exec_lo, exec_lo, s14
	s_cbranch_execnz .LBB4_3718
.LBB4_3714:                             ;   in Loop: Header=BB4_3674 Depth=3
	s_or_b32 exec_lo, exec_lo, s14
	s_and_saveexec_b32 s14, s15
	s_cbranch_execnz .LBB4_3719
	s_branch .LBB4_3722
.LBB4_3715:                             ;   in Loop: Header=BB4_3674 Depth=3
	s_or_saveexec_b32 s15, s15
	v_bfrev_b32_e32 v24, 1
	s_xor_b32 exec_lo, exec_lo, s15
	s_cbranch_execz .LBB4_3684
.LBB4_3716:                             ;   in Loop: Header=BB4_3674 Depth=3
	v_cmp_ne_u16_e32 vcc_lo, 0, v25
	v_mov_b32_e32 v24, 0
	s_and_not1_b32 s14, s14, exec_lo
	s_and_b32 s44, vcc_lo, exec_lo
	s_delay_alu instid0(SALU_CYCLE_1)
	s_or_b32 s14, s14, s44
	s_or_b32 exec_lo, exec_lo, s15
	s_and_saveexec_b32 s15, s14
	s_cbranch_execnz .LBB4_3685
	s_branch .LBB4_3686
.LBB4_3717:                             ;   in Loop: Header=BB4_3674 Depth=3
	s_or_saveexec_b32 s14, s14
	v_bfrev_b32_e32 v24, 1
	s_xor_b32 exec_lo, exec_lo, s14
	s_cbranch_execz .LBB4_3714
.LBB4_3718:                             ;   in Loop: Header=BB4_3674 Depth=3
	v_cmp_ne_u16_e32 vcc_lo, 0, v27
	v_mov_b32_e32 v24, 0
	s_and_not1_b32 s15, s15, exec_lo
	s_and_b32 s44, vcc_lo, exec_lo
	s_delay_alu instid0(SALU_CYCLE_1)
	s_or_b32 s15, s15, s44
	s_or_b32 exec_lo, exec_lo, s14
	s_and_saveexec_b32 s14, s15
	s_cbranch_execz .LBB4_3722
.LBB4_3719:                             ;   in Loop: Header=BB4_3674 Depth=3
	v_and_b32_e32 v2, 0xffff, v27
	v_mov_b32_e32 v24, 0x7f800001
	s_mov_b32 s15, exec_lo
	s_delay_alu instid0(VALU_DEP_2) | instskip(NEXT) | instid1(VALU_DEP_1)
	v_and_b32_e32 v25, 0x7f, v2
	v_cmpx_ne_u32_e32 0x7f, v25
	s_cbranch_execz .LBB4_3721
; %bb.3720:                             ;   in Loop: Header=BB4_3674 Depth=3
	v_and_b32_e32 v24, 7, v2
	v_cmp_gt_u32_e32 vcc_lo, 8, v25
	v_lshlrev_b32_e32 v27, 24, v27
	s_delay_alu instid0(VALU_DEP_3) | instskip(NEXT) | instid1(VALU_DEP_1)
	v_clz_i32_u32_e32 v28, v24
	v_min_u32_e32 v68, 32, v28
	s_delay_alu instid0(VALU_DEP_1) | instskip(NEXT) | instid1(VALU_DEP_1)
	v_subrev_nc_u32_e32 v28, 28, v68
	v_lshlrev_b64_e32 v[28:29], v28, v[2:3]
	v_dual_lshrrev_b32 v2, 3, v25 :: v_dual_sub_nc_u32 v29, 29, v68
	s_delay_alu instid0(VALU_DEP_1) | instskip(NEXT) | instid1(VALU_DEP_1)
	v_dual_cndmask_b32 v2, v2, v29, vcc_lo :: v_dual_bitop2_b32 v25, 7, v28 bitop3:0x40
	v_cndmask_b32_e32 v24, v24, v25, vcc_lo
	v_and_b32_e32 v25, 0x80000000, v27
	s_delay_alu instid0(VALU_DEP_3) | instskip(NEXT) | instid1(VALU_DEP_3)
	v_lshl_add_u32 v2, v2, 23, 0x3c000000
	v_lshlrev_b32_e32 v24, 20, v24
	s_delay_alu instid0(VALU_DEP_1)
	v_or3_b32 v24, v24, v25, v2
.LBB4_3721:                             ;   in Loop: Header=BB4_3674 Depth=3
	s_or_b32 exec_lo, exec_lo, s15
.LBB4_3722:                             ;   in Loop: Header=BB4_3674 Depth=3
	s_delay_alu instid0(SALU_CYCLE_1) | instskip(NEXT) | instid1(VALU_DEP_1)
	s_or_b32 exec_lo, exec_lo, s14
	v_add_f32_e32 v24, v26, v24
                                        ; implicit-def: $vgpr104
	s_mov_b32 s14, exec_lo
	s_delay_alu instid0(VALU_DEP_1) | instskip(SKIP_1) | instid1(VALU_DEP_2)
	v_and_b32_e32 v2, 0x7f800000, v24
	v_lshrrev_b32_e32 v25, 24, v24
	v_cmpx_ne_u64_e32 0x7f800000, v[2:3]
	s_xor_b32 s15, exec_lo, s14
	s_cbranch_execz .LBB4_3736
; %bb.3723:                             ;   in Loop: Header=BB4_3674 Depth=3
	v_and_b32_e32 v2, 0x7fffffff, v24
	v_and_b32_e32 v26, 0x80, v25
                                        ; implicit-def: $vgpr104
	s_mov_b32 s14, exec_lo
	s_delay_alu instid0(VALU_DEP_2)
	v_cmpx_gt_u64_e32 0x43e00001, v[2:3]
	s_xor_b32 s44, exec_lo, s14
	s_cbranch_execz .LBB4_3733
; %bb.3724:                             ;   in Loop: Header=BB4_3674 Depth=3
	v_mov_b32_e32 v104, 0
	s_mov_b32 s45, exec_lo
	v_cmpx_ne_u32_e32 0, v24
	s_cbranch_execz .LBB4_3732
; %bb.3725:                             ;   in Loop: Header=BB4_3674 Depth=3
	v_bfe_u32 v25, v24, 23, 8
	s_mov_b32 s77, exec_lo
	s_delay_alu instid0(VALU_DEP_1) | instskip(SKIP_1) | instid1(VALU_DEP_2)
	v_sub_nc_u32_e32 v2, 0x79, v25
	v_cmp_gt_u32_e32 vcc_lo, 0x7a, v25
	v_cndmask_b32_e32 v2, 0, v2, vcc_lo
	v_cmp_eq_u32_e32 vcc_lo, 0, v25
	s_delay_alu instid0(VALU_DEP_2) | instskip(SKIP_1) | instid1(VALU_DEP_2)
	v_cndmask_b32_e64 v27, v2, 0x78, vcc_lo
	v_and_b32_e32 v2, 0x7fffff, v24
	v_add_nc_u32_e32 v24, 20, v27
	s_delay_alu instid0(VALU_DEP_2) | instskip(NEXT) | instid1(VALU_DEP_2)
	v_or_b32_e32 v68, 0x800000, v2
	v_lshlrev_b64_e64 v[28:29], v24, -1
	s_delay_alu instid0(VALU_DEP_2) | instskip(NEXT) | instid1(VALU_DEP_1)
	v_dual_add_nc_u32 v24, 19, v27 :: v_dual_cndmask_b32 v2, v68, v2, vcc_lo
	v_lshlrev_b64_e64 v[68:69], v24, 1
	s_delay_alu instid0(VALU_DEP_2) | instskip(NEXT) | instid1(VALU_DEP_4)
	v_lshrrev_b64 v[60:61], v27, v[2:3]
	v_bfi_b32 v29, v29, 0, 0
	v_bfi_b32 v28, v28, 0, v2
	s_delay_alu instid0(VALU_DEP_3) | instskip(NEXT) | instid1(VALU_DEP_2)
	v_mov_b64_e32 v[62:63], v[60:61]
	v_cmpx_eq_u64_e64 v[28:29], v[68:69]
; %bb.3726:                             ;   in Loop: Header=BB4_3674 Depth=3
	v_bfe_u32 v2, v60, 20, 1
	s_delay_alu instid0(VALU_DEP_1) | instskip(NEXT) | instid1(VALU_DEP_1)
	v_add_nc_u64_e32 v[28:29], v[60:61], v[2:3]
	v_add_nc_u64_e32 v[62:63], -1, v[28:29]
; %bb.3727:                             ;   in Loop: Header=BB4_3674 Depth=3
	s_or_b32 exec_lo, exec_lo, s77
	v_add_nc_u32_e32 v2, 0xffffff81, v25
	v_lshrrev_b32_e32 v24, 23, v60
	s_mov_b32 s14, exec_lo
	s_delay_alu instid0(VALU_DEP_2) | instskip(NEXT) | instid1(VALU_DEP_1)
	v_cndmask_b32_e64 v2, v2, 0xffffff82, vcc_lo
	v_add3_u32 v25, v27, v2, v24
	v_and_b32_e32 v2, 0xfffff, v62
                                        ; implicit-def: $vgpr24
	s_delay_alu instid0(VALU_DEP_1) | instskip(NEXT) | instid1(VALU_DEP_1)
	v_dual_add_nc_u32 v27, 6, v25 :: v_dual_add_nc_u32 v2, v2, v60
                                        ; implicit-def: $vgpr60_vgpr61
	v_cmpx_ne_u32_e32 0, v27
	s_xor_b32 s14, exec_lo, s14
; %bb.3728:                             ;   in Loop: Header=BB4_3674 Depth=3
	s_delay_alu instid0(VALU_DEP_2) | instskip(SKIP_2) | instid1(VALU_DEP_2)
	v_cmp_lt_u64_e32 vcc_lo, 0xffffff, v[2:3]
	v_add_nc_u32_e32 v24, 7, v25
	v_cndmask_b32_e64 v25, 0, 1, vcc_lo
	v_cndmask_b32_e32 v24, v27, v24, vcc_lo
	s_delay_alu instid0(VALU_DEP_2)
	v_lshrrev_b64 v[60:61], v25, v[2:3]
; %bb.3729:                             ;   in Loop: Header=BB4_3674 Depth=3
	s_and_not1_saveexec_b32 s14, s14
; %bb.3730:                             ;   in Loop: Header=BB4_3674 Depth=3
	v_mov_b64_e32 v[60:61], v[2:3]
	v_bfe_u32 v24, v2, 23, 1
; %bb.3731:                             ;   in Loop: Header=BB4_3674 Depth=3
	s_or_b32 exec_lo, exec_lo, s14
	s_delay_alu instid0(VALU_DEP_2) | instskip(NEXT) | instid1(VALU_DEP_2)
	v_lshrrev_b64 v[28:29], 20, v[60:61]
	v_cmp_gt_i32_e32 vcc_lo, 16, v24
	v_min_i32_e32 v2, 15, v24
	v_cmp_eq_u32_e64 s14, 0, v24
	s_delay_alu instid0(VALU_DEP_2) | instskip(SKIP_1) | instid1(VALU_DEP_2)
	v_dual_cndmask_b32 v29, 0, v29 :: v_dual_lshlrev_b32 v2, 3, v2
	v_cndmask_b32_e32 v28, 7, v28, vcc_lo
	v_and_b32_e32 v2, 0xf8, v2
	s_delay_alu instid0(VALU_DEP_2) | instskip(NEXT) | instid1(VALU_DEP_2)
	v_cmp_eq_u64_e32 vcc_lo, 0, v[28:29]
	v_and_or_b32 v2, v28, 7, v2
	s_and_b32 s14, s14, vcc_lo
	s_delay_alu instid0(VALU_DEP_1) | instid1(SALU_CYCLE_1)
	v_cndmask_b32_e64 v2, v2, 0, s14
	s_delay_alu instid0(VALU_DEP_1)
	v_or_b32_e32 v104, v2, v26
.LBB4_3732:                             ;   in Loop: Header=BB4_3674 Depth=3
	s_or_b32 exec_lo, exec_lo, s45
                                        ; implicit-def: $vgpr26
.LBB4_3733:                             ;   in Loop: Header=BB4_3674 Depth=3
	s_and_not1_saveexec_b32 s14, s44
; %bb.3734:                             ;   in Loop: Header=BB4_3674 Depth=3
	v_or_b32_e32 v104, 0x7e, v26
; %bb.3735:                             ;   in Loop: Header=BB4_3674 Depth=3
	s_or_b32 exec_lo, exec_lo, s14
                                        ; implicit-def: $vgpr25
.LBB4_3736:                             ;   in Loop: Header=BB4_3674 Depth=3
	s_and_not1_saveexec_b32 s14, s15
; %bb.3737:                             ;   in Loop: Header=BB4_3674 Depth=3
	v_or_b32_e32 v104, 0x7f, v25
; %bb.3738:                             ;   in Loop: Header=BB4_3674 Depth=3
	s_or_b32 exec_lo, exec_lo, s14
	v_dual_lshrrev_b32 v24, 16, v12 :: v_dual_mov_b32 v26, 0
	s_mov_b32 s14, exec_lo
	s_delay_alu instid0(VALU_DEP_1) | instskip(NEXT) | instid1(VALU_DEP_1)
	v_and_b32_e32 v2, 0xff, v24
	v_cmpx_ne_u16_e32 0, v2
	s_cbranch_execz .LBB4_3746
; %bb.3739:                             ;   in Loop: Header=BB4_3674 Depth=3
	v_bfrev_b32_e32 v26, 1
	s_mov_b32 s15, exec_lo
	v_cmpx_ne_u16_e32 0x80, v2
	s_cbranch_execz .LBB4_3745
; %bb.3740:                             ;   in Loop: Header=BB4_3674 Depth=3
	v_bfe_u32 v27, v12, 16, 7
	v_mov_b32_e32 v26, 0x7f800001
	s_mov_b32 s44, exec_lo
	s_delay_alu instid0(VALU_DEP_2)
	v_cmpx_ne_u32_e32 0x7f, v27
	s_cbranch_execz .LBB4_3744
; %bb.3741:                             ;   in Loop: Header=BB4_3674 Depth=3
	v_dual_lshrrev_b32 v25, 3, v27 :: v_dual_bitop2_b32 v2, 7, v24 bitop3:0x40
	s_mov_b32 s45, exec_lo
	s_delay_alu instid0(VALU_DEP_1)
	v_mov_b64_e32 v[60:61], v[2:3]
	v_cmpx_gt_u32_e32 8, v27
; %bb.3742:                             ;   in Loop: Header=BB4_3674 Depth=3
	v_clz_i32_u32_e32 v25, v2
	s_delay_alu instid0(VALU_DEP_1) | instskip(NEXT) | instid1(VALU_DEP_1)
	v_min_u32_e32 v25, 32, v25
	v_subrev_nc_u32_e32 v26, 28, v25
	s_delay_alu instid0(VALU_DEP_1) | instskip(NEXT) | instid1(VALU_DEP_1)
	v_lshlrev_b64_e32 v[26:27], v26, v[2:3]
	v_dual_sub_nc_u32 v25, 29, v25 :: v_dual_bitop2_b32 v60, 7, v26 bitop3:0x40
; %bb.3743:                             ;   in Loop: Header=BB4_3674 Depth=3
	s_or_b32 exec_lo, exec_lo, s45
	v_lshlrev_b32_e32 v2, 24, v24
	s_delay_alu instid0(VALU_DEP_2) | instskip(NEXT) | instid1(VALU_DEP_3)
	v_lshlrev_b32_e32 v24, 20, v60
	v_lshl_add_u32 v25, v25, 23, 0x3c000000
	s_delay_alu instid0(VALU_DEP_3) | instskip(NEXT) | instid1(VALU_DEP_1)
	v_and_b32_e32 v2, 0x80000000, v2
	v_or3_b32 v26, v24, v2, v25
.LBB4_3744:                             ;   in Loop: Header=BB4_3674 Depth=3
	s_or_b32 exec_lo, exec_lo, s44
.LBB4_3745:                             ;   in Loop: Header=BB4_3674 Depth=3
	s_delay_alu instid0(SALU_CYCLE_1)
	s_or_b32 exec_lo, exec_lo, s15
.LBB4_3746:                             ;   in Loop: Header=BB4_3674 Depth=3
	s_delay_alu instid0(SALU_CYCLE_1) | instskip(SKIP_3) | instid1(VALU_DEP_1)
	s_or_b32 exec_lo, exec_lo, s14
	v_lshrrev_b32_e32 v2, 16, v8
	s_mov_b32 s15, 0
	s_mov_b32 s14, exec_lo
	v_and_b32_e32 v25, 0xff, v2
	s_delay_alu instid0(VALU_DEP_1)
	v_cmpx_lt_i16_e32 0x7f, v25
	s_xor_b32 s14, exec_lo, s14
	s_cbranch_execz .LBB4_3751
; %bb.3747:                             ;   in Loop: Header=BB4_3674 Depth=3
	s_mov_b32 s15, -1
	s_mov_b32 s44, exec_lo
	v_cmpx_eq_u16_e32 0x80, v25
; %bb.3748:                             ;   in Loop: Header=BB4_3674 Depth=3
	s_xor_b32 s15, exec_lo, -1
; %bb.3749:                             ;   in Loop: Header=BB4_3674 Depth=3
	s_or_b32 exec_lo, exec_lo, s44
	s_delay_alu instid0(SALU_CYCLE_1)
	s_and_b32 s15, s15, exec_lo
                                        ; implicit-def: $vgpr25
	s_or_saveexec_b32 s14, s14
	v_bfrev_b32_e32 v24, 1
	s_xor_b32 exec_lo, exec_lo, s14
	s_cbranch_execnz .LBB4_3752
.LBB4_3750:                             ;   in Loop: Header=BB4_3674 Depth=3
	s_or_b32 exec_lo, exec_lo, s14
	s_and_saveexec_b32 s14, s15
	s_cbranch_execnz .LBB4_3753
	s_branch .LBB4_3756
.LBB4_3751:                             ;   in Loop: Header=BB4_3674 Depth=3
	s_or_saveexec_b32 s14, s14
	v_bfrev_b32_e32 v24, 1
	s_xor_b32 exec_lo, exec_lo, s14
	s_cbranch_execz .LBB4_3750
.LBB4_3752:                             ;   in Loop: Header=BB4_3674 Depth=3
	v_cmp_ne_u16_e32 vcc_lo, 0, v25
	v_mov_b32_e32 v24, 0
	s_and_not1_b32 s15, s15, exec_lo
	s_and_b32 s44, vcc_lo, exec_lo
	s_delay_alu instid0(SALU_CYCLE_1)
	s_or_b32 s15, s15, s44
	s_or_b32 exec_lo, exec_lo, s14
	s_and_saveexec_b32 s14, s15
	s_cbranch_execz .LBB4_3756
.LBB4_3753:                             ;   in Loop: Header=BB4_3674 Depth=3
	v_and_b32_e32 v25, 0x7f, v2
	v_mov_b32_e32 v24, 0x7f800001
	s_mov_b32 s15, exec_lo
	s_delay_alu instid0(VALU_DEP_2)
	v_cmpx_ne_u32_e32 0x7f, v25
	s_cbranch_execz .LBB4_3755
; %bb.3754:                             ;   in Loop: Header=BB4_3674 Depth=3
	v_and_b32_e32 v24, 7, v2
	v_cmp_gt_u32_e32 vcc_lo, 8, v25
	s_delay_alu instid0(VALU_DEP_2) | instskip(NEXT) | instid1(VALU_DEP_1)
	v_clz_i32_u32_e32 v27, v24
	v_min_u32_e32 v27, 32, v27
	s_delay_alu instid0(VALU_DEP_1) | instskip(NEXT) | instid1(VALU_DEP_1)
	v_subrev_nc_u32_e32 v28, 28, v27
	v_lshlrev_b64_e32 v[28:29], v28, v[2:3]
	v_dual_lshrrev_b32 v29, 3, v25 :: v_dual_sub_nc_u32 v27, 29, v27
	s_delay_alu instid0(VALU_DEP_2) | instskip(NEXT) | instid1(VALU_DEP_1)
	v_dual_lshlrev_b32 v2, 24, v2 :: v_dual_bitop2_b32 v25, 7, v28 bitop3:0x40
	v_dual_cndmask_b32 v27, v29, v27 :: v_dual_cndmask_b32 v24, v24, v25
	s_delay_alu instid0(VALU_DEP_2) | instskip(NEXT) | instid1(VALU_DEP_2)
	v_and_b32_e32 v2, 0x80000000, v2
	v_lshl_add_u32 v25, v27, 23, 0x3c000000
	s_delay_alu instid0(VALU_DEP_3) | instskip(NEXT) | instid1(VALU_DEP_1)
	v_lshlrev_b32_e32 v24, 20, v24
	v_or3_b32 v24, v24, v2, v25
.LBB4_3755:                             ;   in Loop: Header=BB4_3674 Depth=3
	s_or_b32 exec_lo, exec_lo, s15
.LBB4_3756:                             ;   in Loop: Header=BB4_3674 Depth=3
	s_delay_alu instid0(SALU_CYCLE_1) | instskip(NEXT) | instid1(VALU_DEP_1)
	s_or_b32 exec_lo, exec_lo, s14
	v_add_f32_e32 v24, v26, v24
                                        ; implicit-def: $vgpr105
	s_mov_b32 s14, exec_lo
	s_delay_alu instid0(VALU_DEP_1) | instskip(SKIP_1) | instid1(VALU_DEP_2)
	v_and_b32_e32 v2, 0x7f800000, v24
	v_lshrrev_b32_e32 v25, 24, v24
	v_cmpx_ne_u64_e32 0x7f800000, v[2:3]
	s_xor_b32 s15, exec_lo, s14
	s_cbranch_execz .LBB4_3770
; %bb.3757:                             ;   in Loop: Header=BB4_3674 Depth=3
	v_and_b32_e32 v2, 0x7fffffff, v24
	v_and_b32_e32 v26, 0x80, v25
                                        ; implicit-def: $vgpr105
	s_mov_b32 s14, exec_lo
	s_delay_alu instid0(VALU_DEP_2)
	v_cmpx_gt_u64_e32 0x43e00001, v[2:3]
	s_xor_b32 s44, exec_lo, s14
	s_cbranch_execz .LBB4_3767
; %bb.3758:                             ;   in Loop: Header=BB4_3674 Depth=3
	v_mov_b32_e32 v105, 0
	s_mov_b32 s45, exec_lo
	v_cmpx_ne_u32_e32 0, v24
	s_cbranch_execz .LBB4_3766
; %bb.3759:                             ;   in Loop: Header=BB4_3674 Depth=3
	v_bfe_u32 v25, v24, 23, 8
	s_mov_b32 s77, exec_lo
	s_delay_alu instid0(VALU_DEP_1) | instskip(SKIP_1) | instid1(VALU_DEP_2)
	v_sub_nc_u32_e32 v2, 0x79, v25
	v_cmp_gt_u32_e32 vcc_lo, 0x7a, v25
	v_cndmask_b32_e32 v2, 0, v2, vcc_lo
	v_cmp_eq_u32_e32 vcc_lo, 0, v25
	s_delay_alu instid0(VALU_DEP_2) | instskip(SKIP_1) | instid1(VALU_DEP_2)
	v_cndmask_b32_e64 v27, v2, 0x78, vcc_lo
	v_and_b32_e32 v2, 0x7fffff, v24
	v_add_nc_u32_e32 v24, 20, v27
	s_delay_alu instid0(VALU_DEP_2) | instskip(NEXT) | instid1(VALU_DEP_2)
	v_or_b32_e32 v68, 0x800000, v2
	v_lshlrev_b64_e64 v[28:29], v24, -1
	s_delay_alu instid0(VALU_DEP_2) | instskip(NEXT) | instid1(VALU_DEP_1)
	v_dual_add_nc_u32 v24, 19, v27 :: v_dual_cndmask_b32 v2, v68, v2, vcc_lo
	v_lshlrev_b64_e64 v[68:69], v24, 1
	s_delay_alu instid0(VALU_DEP_2) | instskip(NEXT) | instid1(VALU_DEP_4)
	v_lshrrev_b64 v[60:61], v27, v[2:3]
	v_bfi_b32 v29, v29, 0, 0
	v_bfi_b32 v28, v28, 0, v2
	s_delay_alu instid0(VALU_DEP_3) | instskip(NEXT) | instid1(VALU_DEP_2)
	v_mov_b64_e32 v[62:63], v[60:61]
	v_cmpx_eq_u64_e64 v[28:29], v[68:69]
; %bb.3760:                             ;   in Loop: Header=BB4_3674 Depth=3
	v_bfe_u32 v2, v60, 20, 1
	s_delay_alu instid0(VALU_DEP_1) | instskip(NEXT) | instid1(VALU_DEP_1)
	v_add_nc_u64_e32 v[28:29], v[60:61], v[2:3]
	v_add_nc_u64_e32 v[62:63], -1, v[28:29]
; %bb.3761:                             ;   in Loop: Header=BB4_3674 Depth=3
	s_or_b32 exec_lo, exec_lo, s77
	v_add_nc_u32_e32 v2, 0xffffff81, v25
	v_lshrrev_b32_e32 v24, 23, v60
	s_mov_b32 s14, exec_lo
	s_delay_alu instid0(VALU_DEP_2) | instskip(NEXT) | instid1(VALU_DEP_1)
	v_cndmask_b32_e64 v2, v2, 0xffffff82, vcc_lo
	v_add3_u32 v25, v27, v2, v24
	v_and_b32_e32 v2, 0xfffff, v62
                                        ; implicit-def: $vgpr24
	s_delay_alu instid0(VALU_DEP_1) | instskip(NEXT) | instid1(VALU_DEP_1)
	v_dual_add_nc_u32 v27, 6, v25 :: v_dual_add_nc_u32 v2, v2, v60
                                        ; implicit-def: $vgpr60_vgpr61
	v_cmpx_ne_u32_e32 0, v27
	s_xor_b32 s14, exec_lo, s14
; %bb.3762:                             ;   in Loop: Header=BB4_3674 Depth=3
	s_delay_alu instid0(VALU_DEP_2) | instskip(SKIP_2) | instid1(VALU_DEP_2)
	v_cmp_lt_u64_e32 vcc_lo, 0xffffff, v[2:3]
	v_add_nc_u32_e32 v24, 7, v25
	v_cndmask_b32_e64 v25, 0, 1, vcc_lo
	v_cndmask_b32_e32 v24, v27, v24, vcc_lo
	s_delay_alu instid0(VALU_DEP_2)
	v_lshrrev_b64 v[60:61], v25, v[2:3]
; %bb.3763:                             ;   in Loop: Header=BB4_3674 Depth=3
	s_and_not1_saveexec_b32 s14, s14
; %bb.3764:                             ;   in Loop: Header=BB4_3674 Depth=3
	v_mov_b64_e32 v[60:61], v[2:3]
	v_bfe_u32 v24, v2, 23, 1
; %bb.3765:                             ;   in Loop: Header=BB4_3674 Depth=3
	s_or_b32 exec_lo, exec_lo, s14
	s_delay_alu instid0(VALU_DEP_2) | instskip(NEXT) | instid1(VALU_DEP_2)
	v_lshrrev_b64 v[28:29], 20, v[60:61]
	v_cmp_gt_i32_e32 vcc_lo, 16, v24
	v_min_i32_e32 v2, 15, v24
	v_cmp_eq_u32_e64 s14, 0, v24
	s_delay_alu instid0(VALU_DEP_2) | instskip(SKIP_1) | instid1(VALU_DEP_2)
	v_dual_cndmask_b32 v29, 0, v29 :: v_dual_lshlrev_b32 v2, 3, v2
	v_cndmask_b32_e32 v28, 7, v28, vcc_lo
	v_and_b32_e32 v2, 0xf8, v2
	s_delay_alu instid0(VALU_DEP_2) | instskip(NEXT) | instid1(VALU_DEP_2)
	v_cmp_eq_u64_e32 vcc_lo, 0, v[28:29]
	v_and_or_b32 v2, v28, 7, v2
	s_and_b32 s14, s14, vcc_lo
	s_delay_alu instid0(VALU_DEP_1) | instid1(SALU_CYCLE_1)
	v_cndmask_b32_e64 v2, v2, 0, s14
	s_delay_alu instid0(VALU_DEP_1)
	v_or_b32_e32 v105, v2, v26
.LBB4_3766:                             ;   in Loop: Header=BB4_3674 Depth=3
	s_or_b32 exec_lo, exec_lo, s45
                                        ; implicit-def: $vgpr26
.LBB4_3767:                             ;   in Loop: Header=BB4_3674 Depth=3
	s_and_not1_saveexec_b32 s14, s44
; %bb.3768:                             ;   in Loop: Header=BB4_3674 Depth=3
	v_or_b32_e32 v105, 0x7e, v26
; %bb.3769:                             ;   in Loop: Header=BB4_3674 Depth=3
	s_or_b32 exec_lo, exec_lo, s14
                                        ; implicit-def: $vgpr25
.LBB4_3770:                             ;   in Loop: Header=BB4_3674 Depth=3
	s_and_not1_saveexec_b32 s14, s15
; %bb.3771:                             ;   in Loop: Header=BB4_3674 Depth=3
	v_or_b32_e32 v105, 0x7f, v25
; %bb.3772:                             ;   in Loop: Header=BB4_3674 Depth=3
	s_or_b32 exec_lo, exec_lo, s14
	v_mov_b32_e32 v24, 0
	s_mov_b32 s14, exec_lo
	v_cmpx_lt_u32_e32 0xffffff, v12
	s_cbranch_execz .LBB4_3780
; %bb.3773:                             ;   in Loop: Header=BB4_3674 Depth=3
	v_lshrrev_b32_e32 v25, 24, v12
	v_bfrev_b32_e32 v24, 1
	s_mov_b32 s15, exec_lo
	s_delay_alu instid0(VALU_DEP_2)
	v_cmpx_ne_u32_e32 0x80, v25
	s_cbranch_execz .LBB4_3779
; %bb.3774:                             ;   in Loop: Header=BB4_3674 Depth=3
	v_bfe_u32 v26, v12, 24, 7
	v_mov_b32_e32 v24, 0x7f800001
	s_mov_b32 s44, exec_lo
	s_delay_alu instid0(VALU_DEP_2)
	v_cmpx_ne_u32_e32 0x7f, v26
	s_cbranch_execz .LBB4_3778
; %bb.3775:                             ;   in Loop: Header=BB4_3674 Depth=3
	v_dual_lshrrev_b32 v24, 3, v26 :: v_dual_bitop2_b32 v2, 7, v25 bitop3:0x40
	s_mov_b32 s45, exec_lo
	s_delay_alu instid0(VALU_DEP_1)
	v_mov_b64_e32 v[60:61], v[2:3]
	v_cmpx_gt_u32_e32 8, v26
; %bb.3776:                             ;   in Loop: Header=BB4_3674 Depth=3
	v_clz_i32_u32_e32 v24, v2
	s_delay_alu instid0(VALU_DEP_1) | instskip(NEXT) | instid1(VALU_DEP_1)
	v_min_u32_e32 v24, 32, v24
	v_subrev_nc_u32_e32 v26, 28, v24
	s_delay_alu instid0(VALU_DEP_1) | instskip(NEXT) | instid1(VALU_DEP_1)
	v_lshlrev_b64_e32 v[26:27], v26, v[2:3]
	v_dual_sub_nc_u32 v24, 29, v24 :: v_dual_bitop2_b32 v60, 7, v26 bitop3:0x40
; %bb.3777:                             ;   in Loop: Header=BB4_3674 Depth=3
	s_or_b32 exec_lo, exec_lo, s45
	s_delay_alu instid0(VALU_DEP_1) | instskip(NEXT) | instid1(VALU_DEP_2)
	v_dual_lshlrev_b32 v2, 24, v25 :: v_dual_lshlrev_b32 v25, 20, v60
	v_lshl_add_u32 v24, v24, 23, 0x3c000000
	s_delay_alu instid0(VALU_DEP_2) | instskip(NEXT) | instid1(VALU_DEP_1)
	v_and_b32_e32 v2, 0x80000000, v2
	v_or3_b32 v24, v25, v2, v24
.LBB4_3778:                             ;   in Loop: Header=BB4_3674 Depth=3
	s_or_b32 exec_lo, exec_lo, s44
.LBB4_3779:                             ;   in Loop: Header=BB4_3674 Depth=3
	s_delay_alu instid0(SALU_CYCLE_1)
	s_or_b32 exec_lo, exec_lo, s15
.LBB4_3780:                             ;   in Loop: Header=BB4_3674 Depth=3
	s_delay_alu instid0(SALU_CYCLE_1) | instskip(SKIP_3) | instid1(VALU_DEP_3)
	s_or_b32 exec_lo, exec_lo, s14
	v_lshrrev_b32_e32 v2, 24, v8
	v_bfe_u32 v25, v8, 24, 7
	v_cmp_gt_u32_e64 s15, 0x1000000, v8
	v_cmp_eq_u32_e32 vcc_lo, 0x80, v2
	s_delay_alu instid0(VALU_DEP_3) | instskip(SKIP_2) | instid1(VALU_DEP_1)
	v_cmp_eq_u32_e64 s14, 0x7f, v25
	v_cndmask_b32_e32 v26, 0x7f800001, v91, vcc_lo
	s_or_b32 s14, vcc_lo, s14
	v_cndmask_b32_e64 v26, v26, 0, s15
	s_nor_b32 s15, s15, s14
	s_delay_alu instid0(SALU_CYCLE_1)
	s_and_saveexec_b32 s14, s15
	s_cbranch_execz .LBB4_3782
; %bb.3781:                             ;   in Loop: Header=BB4_3674 Depth=3
	v_and_b32_e32 v28, 7, v2
	v_cmp_gt_u32_e32 vcc_lo, 8, v25
	s_delay_alu instid0(VALU_DEP_2) | instskip(NEXT) | instid1(VALU_DEP_1)
	v_clz_i32_u32_e32 v26, v28
	v_min_u32_e32 v29, 32, v26
	s_delay_alu instid0(VALU_DEP_1) | instskip(NEXT) | instid1(VALU_DEP_1)
	v_subrev_nc_u32_e32 v26, 28, v29
	v_lshlrev_b64_e32 v[26:27], v26, v[2:3]
	v_lshrrev_b32_e32 v27, 3, v25
	v_dual_sub_nc_u32 v29, 29, v29 :: v_dual_lshlrev_b32 v2, 24, v2
	s_delay_alu instid0(VALU_DEP_1) | instskip(NEXT) | instid1(VALU_DEP_2)
	v_dual_cndmask_b32 v26, v27, v29, vcc_lo :: v_dual_bitop2_b32 v25, 7, v26 bitop3:0x40
	v_and_b32_e32 v2, 0x80000000, v2
	s_delay_alu instid0(VALU_DEP_2) | instskip(NEXT) | instid1(VALU_DEP_3)
	v_cndmask_b32_e32 v25, v28, v25, vcc_lo
	v_lshl_add_u32 v26, v26, 23, 0x3c000000
	s_delay_alu instid0(VALU_DEP_2) | instskip(NEXT) | instid1(VALU_DEP_1)
	v_lshlrev_b32_e32 v25, 20, v25
	v_or3_b32 v26, v25, v2, v26
.LBB4_3782:                             ;   in Loop: Header=BB4_3674 Depth=3
	s_or_b32 exec_lo, exec_lo, s14
	s_delay_alu instid0(VALU_DEP_1) | instskip(SKIP_1) | instid1(VALU_DEP_1)
	v_add_f32_e32 v24, v24, v26
                                        ; implicit-def: $vgpr106
	s_mov_b32 s14, exec_lo
	v_and_b32_e32 v2, 0x7f800000, v24
	v_lshrrev_b32_e32 v25, 24, v24
	s_delay_alu instid0(VALU_DEP_2)
	v_cmpx_ne_u64_e32 0x7f800000, v[2:3]
	s_xor_b32 s15, exec_lo, s14
	s_cbranch_execz .LBB4_3796
; %bb.3783:                             ;   in Loop: Header=BB4_3674 Depth=3
	v_and_b32_e32 v2, 0x7fffffff, v24
	v_and_b32_e32 v26, 0x80, v25
                                        ; implicit-def: $vgpr106
	s_mov_b32 s14, exec_lo
	s_delay_alu instid0(VALU_DEP_2)
	v_cmpx_gt_u64_e32 0x43e00001, v[2:3]
	s_xor_b32 s44, exec_lo, s14
	s_cbranch_execz .LBB4_3793
; %bb.3784:                             ;   in Loop: Header=BB4_3674 Depth=3
	v_mov_b32_e32 v106, 0
	s_mov_b32 s45, exec_lo
	v_cmpx_ne_u32_e32 0, v24
	s_cbranch_execz .LBB4_3792
; %bb.3785:                             ;   in Loop: Header=BB4_3674 Depth=3
	v_bfe_u32 v25, v24, 23, 8
	s_mov_b32 s77, exec_lo
	s_delay_alu instid0(VALU_DEP_1) | instskip(SKIP_1) | instid1(VALU_DEP_2)
	v_sub_nc_u32_e32 v2, 0x79, v25
	v_cmp_gt_u32_e32 vcc_lo, 0x7a, v25
	v_cndmask_b32_e32 v2, 0, v2, vcc_lo
	v_cmp_eq_u32_e32 vcc_lo, 0, v25
	s_delay_alu instid0(VALU_DEP_2) | instskip(SKIP_1) | instid1(VALU_DEP_2)
	v_cndmask_b32_e64 v27, v2, 0x78, vcc_lo
	v_and_b32_e32 v2, 0x7fffff, v24
	v_add_nc_u32_e32 v24, 20, v27
	s_delay_alu instid0(VALU_DEP_2) | instskip(NEXT) | instid1(VALU_DEP_2)
	v_or_b32_e32 v68, 0x800000, v2
	v_lshlrev_b64_e64 v[28:29], v24, -1
	s_delay_alu instid0(VALU_DEP_2) | instskip(NEXT) | instid1(VALU_DEP_1)
	v_dual_add_nc_u32 v24, 19, v27 :: v_dual_cndmask_b32 v2, v68, v2, vcc_lo
	v_lshlrev_b64_e64 v[68:69], v24, 1
	s_delay_alu instid0(VALU_DEP_2) | instskip(NEXT) | instid1(VALU_DEP_4)
	v_lshrrev_b64 v[60:61], v27, v[2:3]
	v_bfi_b32 v29, v29, 0, 0
	v_bfi_b32 v28, v28, 0, v2
	s_delay_alu instid0(VALU_DEP_3) | instskip(NEXT) | instid1(VALU_DEP_2)
	v_mov_b64_e32 v[62:63], v[60:61]
	v_cmpx_eq_u64_e64 v[28:29], v[68:69]
; %bb.3786:                             ;   in Loop: Header=BB4_3674 Depth=3
	v_bfe_u32 v2, v60, 20, 1
	s_delay_alu instid0(VALU_DEP_1) | instskip(NEXT) | instid1(VALU_DEP_1)
	v_add_nc_u64_e32 v[28:29], v[60:61], v[2:3]
	v_add_nc_u64_e32 v[62:63], -1, v[28:29]
; %bb.3787:                             ;   in Loop: Header=BB4_3674 Depth=3
	s_or_b32 exec_lo, exec_lo, s77
	v_add_nc_u32_e32 v2, 0xffffff81, v25
	v_lshrrev_b32_e32 v24, 23, v60
	s_mov_b32 s14, exec_lo
	s_delay_alu instid0(VALU_DEP_2) | instskip(NEXT) | instid1(VALU_DEP_1)
	v_cndmask_b32_e64 v2, v2, 0xffffff82, vcc_lo
	v_add3_u32 v25, v27, v2, v24
	v_and_b32_e32 v2, 0xfffff, v62
                                        ; implicit-def: $vgpr24
	s_delay_alu instid0(VALU_DEP_1) | instskip(NEXT) | instid1(VALU_DEP_1)
	v_dual_add_nc_u32 v27, 6, v25 :: v_dual_add_nc_u32 v2, v2, v60
                                        ; implicit-def: $vgpr60_vgpr61
	v_cmpx_ne_u32_e32 0, v27
	s_xor_b32 s14, exec_lo, s14
; %bb.3788:                             ;   in Loop: Header=BB4_3674 Depth=3
	s_delay_alu instid0(VALU_DEP_2) | instskip(SKIP_2) | instid1(VALU_DEP_2)
	v_cmp_lt_u64_e32 vcc_lo, 0xffffff, v[2:3]
	v_add_nc_u32_e32 v24, 7, v25
	v_cndmask_b32_e64 v25, 0, 1, vcc_lo
	v_cndmask_b32_e32 v24, v27, v24, vcc_lo
	s_delay_alu instid0(VALU_DEP_2)
	v_lshrrev_b64 v[60:61], v25, v[2:3]
; %bb.3789:                             ;   in Loop: Header=BB4_3674 Depth=3
	s_and_not1_saveexec_b32 s14, s14
; %bb.3790:                             ;   in Loop: Header=BB4_3674 Depth=3
	v_mov_b64_e32 v[60:61], v[2:3]
	v_bfe_u32 v24, v2, 23, 1
; %bb.3791:                             ;   in Loop: Header=BB4_3674 Depth=3
	s_or_b32 exec_lo, exec_lo, s14
	s_delay_alu instid0(VALU_DEP_2) | instskip(NEXT) | instid1(VALU_DEP_2)
	v_lshrrev_b64 v[28:29], 20, v[60:61]
	v_cmp_gt_i32_e32 vcc_lo, 16, v24
	v_min_i32_e32 v2, 15, v24
	v_cmp_eq_u32_e64 s14, 0, v24
	s_delay_alu instid0(VALU_DEP_2) | instskip(SKIP_1) | instid1(VALU_DEP_2)
	v_dual_cndmask_b32 v29, 0, v29 :: v_dual_lshlrev_b32 v2, 3, v2
	v_cndmask_b32_e32 v28, 7, v28, vcc_lo
	v_and_b32_e32 v2, 0xf8, v2
	s_delay_alu instid0(VALU_DEP_2) | instskip(NEXT) | instid1(VALU_DEP_2)
	v_cmp_eq_u64_e32 vcc_lo, 0, v[28:29]
	v_and_or_b32 v2, v28, 7, v2
	s_and_b32 s14, s14, vcc_lo
	s_delay_alu instid0(VALU_DEP_1) | instid1(SALU_CYCLE_1)
	v_cndmask_b32_e64 v2, v2, 0, s14
	s_delay_alu instid0(VALU_DEP_1)
	v_or_b32_e32 v106, v2, v26
.LBB4_3792:                             ;   in Loop: Header=BB4_3674 Depth=3
	s_or_b32 exec_lo, exec_lo, s45
                                        ; implicit-def: $vgpr26
.LBB4_3793:                             ;   in Loop: Header=BB4_3674 Depth=3
	s_and_not1_saveexec_b32 s14, s44
; %bb.3794:                             ;   in Loop: Header=BB4_3674 Depth=3
	v_or_b32_e32 v106, 0x7e, v26
; %bb.3795:                             ;   in Loop: Header=BB4_3674 Depth=3
	s_or_b32 exec_lo, exec_lo, s14
                                        ; implicit-def: $vgpr25
.LBB4_3796:                             ;   in Loop: Header=BB4_3674 Depth=3
	s_and_not1_saveexec_b32 s14, s15
; %bb.3797:                             ;   in Loop: Header=BB4_3674 Depth=3
	v_or_b32_e32 v106, 0x7f, v25
; %bb.3798:                             ;   in Loop: Header=BB4_3674 Depth=3
	s_or_b32 exec_lo, exec_lo, s14
	v_and_b32_e32 v24, 0xff, v13
	v_dual_mov_b32 v2, v13 :: v_dual_mov_b32 v26, 0
	s_mov_b32 s14, exec_lo
	s_delay_alu instid0(VALU_DEP_2)
	v_cmpx_ne_u16_e32 0, v24
	s_cbranch_execz .LBB4_3804
; %bb.3799:                             ;   in Loop: Header=BB4_3674 Depth=3
	v_bfrev_b32_e32 v26, 1
	s_mov_b32 s15, exec_lo
	v_cmpx_ne_u16_e32 0x80, v24
	s_cbranch_execz .LBB4_3803
; %bb.3800:                             ;   in Loop: Header=BB4_3674 Depth=3
	v_and_b32_e32 v24, 0x7f, v13
	v_mov_b32_e32 v26, 0x7f800001
	s_mov_b32 s44, exec_lo
	s_delay_alu instid0(VALU_DEP_2)
	v_cmpx_ne_u32_e32 0x7f, v24
	s_cbranch_execz .LBB4_3802
; %bb.3801:                             ;   in Loop: Header=BB4_3674 Depth=3
	v_dual_lshrrev_b32 v26, 3, v24 :: v_dual_bitop2_b32 v25, 7, v13 bitop3:0x40
	v_cmp_gt_u32_e32 vcc_lo, 8, v24
	s_delay_alu instid0(VALU_DEP_2) | instskip(NEXT) | instid1(VALU_DEP_1)
	v_clz_i32_u32_e32 v25, v25
	v_min_u32_e32 v25, 32, v25
	s_delay_alu instid0(VALU_DEP_1) | instskip(NEXT) | instid1(VALU_DEP_1)
	v_subrev_nc_u32_e32 v27, 28, v25
	v_dual_cndmask_b32 v24, 0, v27 :: v_dual_sub_nc_u32 v25, 29, v25
	s_delay_alu instid0(VALU_DEP_1) | instskip(NEXT) | instid1(VALU_DEP_2)
	v_cndmask_b32_e32 v26, v26, v25, vcc_lo
	v_lshlrev_b64_e32 v[24:25], v24, v[2:3]
	v_lshlrev_b32_e32 v25, 24, v2
	s_delay_alu instid0(VALU_DEP_3) | instskip(NEXT) | instid1(VALU_DEP_2)
	v_lshl_add_u32 v26, v26, 23, 0x3c000000
	v_and_b32_e32 v25, 0x80000000, v25
	s_delay_alu instid0(VALU_DEP_4) | instskip(NEXT) | instid1(VALU_DEP_1)
	v_lshlrev_b32_e32 v24, 20, v24
	v_and_b32_e32 v24, 0x700000, v24
	s_delay_alu instid0(VALU_DEP_1)
	v_or3_b32 v26, v24, v25, v26
.LBB4_3802:                             ;   in Loop: Header=BB4_3674 Depth=3
	s_or_b32 exec_lo, exec_lo, s44
.LBB4_3803:                             ;   in Loop: Header=BB4_3674 Depth=3
	s_delay_alu instid0(SALU_CYCLE_1)
	s_or_b32 exec_lo, exec_lo, s15
.LBB4_3804:                             ;   in Loop: Header=BB4_3674 Depth=3
	s_delay_alu instid0(SALU_CYCLE_1) | instskip(SKIP_4) | instid1(VALU_DEP_2)
	s_or_b32 exec_lo, exec_lo, s14
	v_and_b32_e32 v25, 0xff, v9
	v_mov_b32_e32 v60, v9
	s_mov_b32 s14, 0
	s_mov_b32 s15, exec_lo
	v_cmpx_lt_i16_e32 0x7f, v25
	s_xor_b32 s15, exec_lo, s15
	s_cbranch_execz .LBB4_3839
; %bb.3805:                             ;   in Loop: Header=BB4_3674 Depth=3
	s_mov_b32 s14, -1
	s_mov_b32 s44, exec_lo
	v_cmpx_eq_u16_e32 0x80, v25
; %bb.3806:                             ;   in Loop: Header=BB4_3674 Depth=3
	s_xor_b32 s14, exec_lo, -1
; %bb.3807:                             ;   in Loop: Header=BB4_3674 Depth=3
	s_or_b32 exec_lo, exec_lo, s44
	s_delay_alu instid0(SALU_CYCLE_1)
	s_and_b32 s14, s14, exec_lo
                                        ; implicit-def: $vgpr25
	s_or_saveexec_b32 s15, s15
	v_bfrev_b32_e32 v24, 1
	s_xor_b32 exec_lo, exec_lo, s15
	s_cbranch_execnz .LBB4_3840
.LBB4_3808:                             ;   in Loop: Header=BB4_3674 Depth=3
	s_or_b32 exec_lo, exec_lo, s15
	v_mov_b32_e32 v61, v3
	s_and_saveexec_b32 s15, s14
	s_cbranch_execz .LBB4_3810
.LBB4_3809:                             ;   in Loop: Header=BB4_3674 Depth=3
	v_and_b32_e32 v24, 7, v9
	v_and_b32_e32 v27, 0x7f, v9
	v_bfe_u32 v25, v9, 3, 4
	s_delay_alu instid0(VALU_DEP_3) | instskip(NEXT) | instid1(VALU_DEP_3)
	v_clz_i32_u32_e32 v24, v24
	v_cmp_gt_u32_e32 vcc_lo, 8, v27
	s_delay_alu instid0(VALU_DEP_2) | instskip(NEXT) | instid1(VALU_DEP_1)
	v_min_u32_e32 v24, 32, v24
	v_subrev_nc_u32_e32 v28, 28, v24
	v_sub_nc_u32_e32 v24, 29, v24
	s_delay_alu instid0(VALU_DEP_1) | instskip(NEXT) | instid1(VALU_DEP_3)
	v_cndmask_b32_e32 v29, v25, v24, vcc_lo
	v_cndmask_b32_e32 v24, 0, v28, vcc_lo
	v_cmp_ne_u32_e32 vcc_lo, 0x7f, v27
	s_delay_alu instid0(VALU_DEP_2) | instskip(SKIP_1) | instid1(VALU_DEP_1)
	v_lshlrev_b64_e32 v[24:25], v24, v[60:61]
	v_lshlrev_b32_e32 v25, 24, v60
	v_and_b32_e32 v25, 0x80000000, v25
	s_delay_alu instid0(VALU_DEP_3) | instskip(SKIP_1) | instid1(VALU_DEP_2)
	v_lshlrev_b32_e32 v24, 20, v24
	v_lshl_add_u32 v28, v29, 23, 0x3c000000
	v_and_b32_e32 v24, 0x700000, v24
	s_delay_alu instid0(VALU_DEP_1) | instskip(NEXT) | instid1(VALU_DEP_1)
	v_or3_b32 v24, v24, v25, v28
	v_cndmask_b32_e32 v24, 0x7f800001, v24, vcc_lo
.LBB4_3810:                             ;   in Loop: Header=BB4_3674 Depth=3
	s_or_b32 exec_lo, exec_lo, s15
	s_delay_alu instid0(VALU_DEP_1) | instskip(SKIP_1) | instid1(VALU_DEP_1)
	v_dual_add_f32 v24, v26, v24 :: v_dual_mov_b32 v27, v3
                                        ; implicit-def: $vgpr72
	s_mov_b32 s14, exec_lo
	v_and_b32_e32 v26, 0x7f800000, v24
	v_lshrrev_b32_e32 v25, 24, v24
	s_delay_alu instid0(VALU_DEP_2)
	v_cmpx_ne_u64_e32 0x7f800000, v[26:27]
	s_xor_b32 s15, exec_lo, s14
	s_cbranch_execz .LBB4_3824
; %bb.3811:                             ;   in Loop: Header=BB4_3674 Depth=3
	v_and_b32_e32 v26, 0x7fffffff, v24
	v_mov_b32_e32 v27, v3
                                        ; implicit-def: $vgpr72
	s_delay_alu instid0(VALU_DEP_1) | instskip(SKIP_2) | instid1(SALU_CYCLE_1)
	v_cmp_gt_u64_e32 vcc_lo, 0x43e00001, v[26:27]
	v_and_b32_e32 v26, 0x80, v25
	s_and_saveexec_b32 s14, vcc_lo
	s_xor_b32 s44, exec_lo, s14
	s_cbranch_execz .LBB4_3821
; %bb.3812:                             ;   in Loop: Header=BB4_3674 Depth=3
	v_mov_b32_e32 v72, 0
	s_mov_b32 s45, exec_lo
	v_cmpx_ne_u32_e32 0, v24
	s_cbranch_execz .LBB4_3820
; %bb.3813:                             ;   in Loop: Header=BB4_3674 Depth=3
	v_bfe_u32 v25, v24, 23, 8
	v_and_b32_e32 v24, 0x7fffff, v24
	v_mov_b32_e32 v69, v3
	s_delay_alu instid0(VALU_DEP_3) | instskip(NEXT) | instid1(VALU_DEP_3)
	v_cmp_gt_u32_e32 vcc_lo, 0x7a, v25
	v_or_b32_e32 v68, 0x800000, v24
	v_sub_nc_u32_e32 v27, 0x79, v25
	s_delay_alu instid0(VALU_DEP_1) | instskip(SKIP_1) | instid1(VALU_DEP_2)
	v_cndmask_b32_e32 v27, 0, v27, vcc_lo
	v_cmp_eq_u32_e32 vcc_lo, 0, v25
	v_cndmask_b32_e64 v27, v27, 0x78, vcc_lo
	s_delay_alu instid0(VALU_DEP_1) | instskip(SKIP_1) | instid1(VALU_DEP_2)
	v_dual_cndmask_b32 v68, v68, v24, vcc_lo :: v_dual_add_nc_u32 v28, 20, v27
	v_add_nc_u32_e32 v61, 19, v27
	v_lshrrev_b64 v[62:63], v27, v[68:69]
	s_delay_alu instid0(VALU_DEP_3) | instskip(NEXT) | instid1(VALU_DEP_3)
	v_lshlrev_b64_e64 v[28:29], v28, -1
	v_lshlrev_b64_e64 v[72:73], v61, 1
	s_delay_alu instid0(VALU_DEP_2) | instskip(NEXT) | instid1(VALU_DEP_3)
	v_bfi_b32 v29, v29, 0, 0
	v_bfi_b32 v28, v28, 0, v68
	s_delay_alu instid0(VALU_DEP_1)
	v_cmp_eq_u64_e64 s14, v[28:29], v[72:73]
	v_mov_b64_e32 v[72:73], v[62:63]
	s_and_saveexec_b32 s77, s14
; %bb.3814:                             ;   in Loop: Header=BB4_3674 Depth=3
	v_bfe_u32 v28, v62, 20, 1
	v_mov_b32_e32 v29, v3
	s_delay_alu instid0(VALU_DEP_1) | instskip(NEXT) | instid1(VALU_DEP_1)
	v_add_nc_u64_e32 v[28:29], v[62:63], v[28:29]
	v_add_nc_u64_e32 v[72:73], -1, v[28:29]
; %bb.3815:                             ;   in Loop: Header=BB4_3674 Depth=3
	s_or_b32 exec_lo, exec_lo, s77
	v_dual_mov_b32 v63, v3 :: v_dual_add_nc_u32 v24, 0xffffff81, v25
	v_lshrrev_b32_e32 v25, 23, v62
	s_mov_b32 s14, exec_lo
	s_delay_alu instid0(VALU_DEP_2) | instskip(NEXT) | instid1(VALU_DEP_1)
	v_cndmask_b32_e64 v24, v24, 0xffffff82, vcc_lo
	v_add3_u32 v25, v27, v24, v25
	v_and_b32_e32 v24, 0xfffff, v72
	s_delay_alu instid0(VALU_DEP_1) | instskip(NEXT) | instid1(VALU_DEP_1)
	v_dual_add_nc_u32 v27, 6, v25 :: v_dual_add_nc_u32 v62, v24, v62
                                        ; implicit-def: $vgpr24
	v_cmpx_ne_u32_e32 0, v27
	s_xor_b32 s14, exec_lo, s14
; %bb.3816:                             ;   in Loop: Header=BB4_3674 Depth=3
	s_delay_alu instid0(VALU_DEP_2) | instskip(SKIP_2) | instid1(VALU_DEP_2)
	v_cmp_lt_u64_e32 vcc_lo, 0xffffff, v[62:63]
	v_add_nc_u32_e32 v24, 7, v25
	v_cndmask_b32_e64 v25, 0, 1, vcc_lo
	v_cndmask_b32_e32 v24, v27, v24, vcc_lo
	s_delay_alu instid0(VALU_DEP_2)
	v_lshrrev_b64 v[62:63], v25, v[62:63]
; %bb.3817:                             ;   in Loop: Header=BB4_3674 Depth=3
	s_and_not1_saveexec_b32 s14, s14
; %bb.3818:                             ;   in Loop: Header=BB4_3674 Depth=3
	s_delay_alu instid0(VALU_DEP_1)
	v_bfe_u32 v24, v62, 23, 1
; %bb.3819:                             ;   in Loop: Header=BB4_3674 Depth=3
	s_or_b32 exec_lo, exec_lo, s14
	s_delay_alu instid0(VALU_DEP_2) | instskip(NEXT) | instid1(VALU_DEP_2)
	v_lshrrev_b64 v[28:29], 20, v[62:63]
	v_cmp_gt_i32_e32 vcc_lo, 16, v24
	v_min_i32_e32 v25, 15, v24
	v_cmp_eq_u32_e64 s14, 0, v24
	s_delay_alu instid0(VALU_DEP_4) | instskip(NEXT) | instid1(VALU_DEP_3)
	v_cndmask_b32_e32 v29, 0, v29, vcc_lo
	v_dual_cndmask_b32 v28, 7, v28 :: v_dual_lshlrev_b32 v25, 3, v25
	s_delay_alu instid0(VALU_DEP_1) | instskip(NEXT) | instid1(VALU_DEP_2)
	v_and_b32_e32 v25, 0xf8, v25
	v_cmp_eq_u64_e32 vcc_lo, 0, v[28:29]
	s_delay_alu instid0(VALU_DEP_2)
	v_and_or_b32 v24, v28, 7, v25
	s_and_b32 s14, s14, vcc_lo
	s_delay_alu instid0(VALU_DEP_1) | instid1(SALU_CYCLE_1)
	v_cndmask_b32_e64 v24, v24, 0, s14
	s_delay_alu instid0(VALU_DEP_1)
	v_or_b32_e32 v72, v24, v26
.LBB4_3820:                             ;   in Loop: Header=BB4_3674 Depth=3
	s_or_b32 exec_lo, exec_lo, s45
                                        ; implicit-def: $vgpr26
.LBB4_3821:                             ;   in Loop: Header=BB4_3674 Depth=3
	s_and_not1_saveexec_b32 s14, s44
; %bb.3822:                             ;   in Loop: Header=BB4_3674 Depth=3
	v_or_b32_e32 v72, 0x7e, v26
; %bb.3823:                             ;   in Loop: Header=BB4_3674 Depth=3
	s_or_b32 exec_lo, exec_lo, s14
                                        ; implicit-def: $vgpr25
.LBB4_3824:                             ;   in Loop: Header=BB4_3674 Depth=3
	s_and_not1_saveexec_b32 s14, s15
; %bb.3825:                             ;   in Loop: Header=BB4_3674 Depth=3
	v_or_b32_e32 v72, 0x7f, v25
; %bb.3826:                             ;   in Loop: Header=BB4_3674 Depth=3
	s_or_b32 exec_lo, exec_lo, s14
	v_lshrrev_b16 v24, 8, v2
	v_mov_b32_e32 v26, 0
	s_mov_b32 s14, exec_lo
	s_delay_alu instid0(VALU_DEP_2)
	v_cmpx_ne_u16_e32 0, v24
	s_cbranch_execz .LBB4_3834
; %bb.3827:                             ;   in Loop: Header=BB4_3674 Depth=3
	v_bfrev_b32_e32 v26, 1
	s_mov_b32 s15, exec_lo
	v_cmpx_ne_u16_e32 0x80, v24
	s_cbranch_execz .LBB4_3833
; %bb.3828:                             ;   in Loop: Header=BB4_3674 Depth=3
	v_and_b32_e32 v24, 0xffff, v24
	v_mov_b32_e32 v26, 0x7f800001
	s_mov_b32 s44, exec_lo
	s_delay_alu instid0(VALU_DEP_2) | instskip(NEXT) | instid1(VALU_DEP_1)
	v_and_b32_e32 v25, 0x7f, v24
	v_cmpx_ne_u32_e32 0x7f, v25
	s_cbranch_execz .LBB4_3832
; %bb.3829:                             ;   in Loop: Header=BB4_3674 Depth=3
	v_dual_mov_b32 v63, v3 :: v_dual_bitop2_b32 v62, 7, v24 bitop3:0x40
	v_lshrrev_b32_e32 v24, 3, v25
	s_mov_b32 s45, exec_lo
	v_cmpx_gt_u32_e32 8, v25
; %bb.3830:                             ;   in Loop: Header=BB4_3674 Depth=3
	s_delay_alu instid0(VALU_DEP_3) | instskip(NEXT) | instid1(VALU_DEP_1)
	v_clz_i32_u32_e32 v24, v62
	v_min_u32_e32 v24, 32, v24
	s_delay_alu instid0(VALU_DEP_1) | instskip(NEXT) | instid1(VALU_DEP_1)
	v_subrev_nc_u32_e32 v25, 28, v24
	v_lshlrev_b64_e32 v[26:27], v25, v[62:63]
	s_delay_alu instid0(VALU_DEP_1)
	v_dual_sub_nc_u32 v24, 29, v24 :: v_dual_bitop2_b32 v62, 7, v26 bitop3:0x40
; %bb.3831:                             ;   in Loop: Header=BB4_3674 Depth=3
	s_or_b32 exec_lo, exec_lo, s45
	v_lshlrev_b32_e32 v2, 16, v2
	s_delay_alu instid0(VALU_DEP_2) | instskip(NEXT) | instid1(VALU_DEP_3)
	v_lshlrev_b32_e32 v25, 20, v62
	v_lshl_add_u32 v24, v24, 23, 0x3c000000
	s_delay_alu instid0(VALU_DEP_3) | instskip(NEXT) | instid1(VALU_DEP_1)
	v_and_b32_e32 v2, 0x80000000, v2
	v_or3_b32 v26, v25, v2, v24
.LBB4_3832:                             ;   in Loop: Header=BB4_3674 Depth=3
	s_or_b32 exec_lo, exec_lo, s44
.LBB4_3833:                             ;   in Loop: Header=BB4_3674 Depth=3
	s_delay_alu instid0(SALU_CYCLE_1)
	s_or_b32 exec_lo, exec_lo, s15
.LBB4_3834:                             ;   in Loop: Header=BB4_3674 Depth=3
	s_delay_alu instid0(SALU_CYCLE_1) | instskip(SKIP_3) | instid1(VALU_DEP_1)
	s_or_b32 exec_lo, exec_lo, s14
	v_lshrrev_b16 v27, 8, v60
	s_mov_b32 s15, 0
	s_mov_b32 s14, exec_lo
	v_cmpx_lt_i16_e32 0x7f, v27
	s_xor_b32 s14, exec_lo, s14
	s_cbranch_execz .LBB4_3841
; %bb.3835:                             ;   in Loop: Header=BB4_3674 Depth=3
	s_mov_b32 s15, -1
	s_mov_b32 s44, exec_lo
	v_cmpx_eq_u16_e32 0x80, v27
; %bb.3836:                             ;   in Loop: Header=BB4_3674 Depth=3
	s_xor_b32 s15, exec_lo, -1
; %bb.3837:                             ;   in Loop: Header=BB4_3674 Depth=3
	s_or_b32 exec_lo, exec_lo, s44
	s_delay_alu instid0(SALU_CYCLE_1)
	s_and_b32 s15, s15, exec_lo
	s_or_saveexec_b32 s14, s14
	v_bfrev_b32_e32 v24, 1
	s_xor_b32 exec_lo, exec_lo, s14
	s_cbranch_execnz .LBB4_3842
.LBB4_3838:                             ;   in Loop: Header=BB4_3674 Depth=3
	s_or_b32 exec_lo, exec_lo, s14
	s_and_saveexec_b32 s14, s15
	s_cbranch_execnz .LBB4_3843
	s_branch .LBB4_3846
.LBB4_3839:                             ;   in Loop: Header=BB4_3674 Depth=3
	s_or_saveexec_b32 s15, s15
	v_bfrev_b32_e32 v24, 1
	s_xor_b32 exec_lo, exec_lo, s15
	s_cbranch_execz .LBB4_3808
.LBB4_3840:                             ;   in Loop: Header=BB4_3674 Depth=3
	v_cmp_ne_u16_e32 vcc_lo, 0, v25
	v_mov_b32_e32 v24, 0
	s_and_not1_b32 s14, s14, exec_lo
	s_and_b32 s44, vcc_lo, exec_lo
	s_delay_alu instid0(SALU_CYCLE_1)
	s_or_b32 s14, s14, s44
	s_or_b32 exec_lo, exec_lo, s15
	v_mov_b32_e32 v61, v3
	s_and_saveexec_b32 s15, s14
	s_cbranch_execnz .LBB4_3809
	s_branch .LBB4_3810
.LBB4_3841:                             ;   in Loop: Header=BB4_3674 Depth=3
	s_or_saveexec_b32 s14, s14
	v_bfrev_b32_e32 v24, 1
	s_xor_b32 exec_lo, exec_lo, s14
	s_cbranch_execz .LBB4_3838
.LBB4_3842:                             ;   in Loop: Header=BB4_3674 Depth=3
	v_cmp_ne_u16_e32 vcc_lo, 0, v27
	v_mov_b32_e32 v24, 0
	s_and_not1_b32 s15, s15, exec_lo
	s_and_b32 s44, vcc_lo, exec_lo
	s_delay_alu instid0(SALU_CYCLE_1)
	s_or_b32 s15, s15, s44
	s_or_b32 exec_lo, exec_lo, s14
	s_and_saveexec_b32 s14, s15
	s_cbranch_execz .LBB4_3846
.LBB4_3843:                             ;   in Loop: Header=BB4_3674 Depth=3
	v_and_b32_e32 v2, 0xffff, v27
	v_mov_b32_e32 v24, 0x7f800001
	s_mov_b32 s15, exec_lo
	s_delay_alu instid0(VALU_DEP_2) | instskip(NEXT) | instid1(VALU_DEP_1)
	v_and_b32_e32 v25, 0x7f, v2
	v_cmpx_ne_u32_e32 0x7f, v25
	s_cbranch_execz .LBB4_3845
; %bb.3844:                             ;   in Loop: Header=BB4_3674 Depth=3
	v_and_b32_e32 v24, 7, v2
	v_cmp_gt_u32_e32 vcc_lo, 8, v25
	v_lshlrev_b32_e32 v27, 24, v27
	s_delay_alu instid0(VALU_DEP_3) | instskip(NEXT) | instid1(VALU_DEP_1)
	v_clz_i32_u32_e32 v28, v24
	v_min_u32_e32 v68, 32, v28
	s_delay_alu instid0(VALU_DEP_1) | instskip(NEXT) | instid1(VALU_DEP_1)
	v_subrev_nc_u32_e32 v28, 28, v68
	v_lshlrev_b64_e32 v[28:29], v28, v[2:3]
	v_dual_lshrrev_b32 v2, 3, v25 :: v_dual_sub_nc_u32 v29, 29, v68
	s_delay_alu instid0(VALU_DEP_1) | instskip(NEXT) | instid1(VALU_DEP_1)
	v_dual_cndmask_b32 v2, v2, v29, vcc_lo :: v_dual_bitop2_b32 v25, 7, v28 bitop3:0x40
	v_cndmask_b32_e32 v24, v24, v25, vcc_lo
	v_and_b32_e32 v25, 0x80000000, v27
	s_delay_alu instid0(VALU_DEP_3) | instskip(NEXT) | instid1(VALU_DEP_3)
	v_lshl_add_u32 v2, v2, 23, 0x3c000000
	v_lshlrev_b32_e32 v24, 20, v24
	s_delay_alu instid0(VALU_DEP_1)
	v_or3_b32 v24, v24, v25, v2
.LBB4_3845:                             ;   in Loop: Header=BB4_3674 Depth=3
	s_or_b32 exec_lo, exec_lo, s15
.LBB4_3846:                             ;   in Loop: Header=BB4_3674 Depth=3
	s_delay_alu instid0(SALU_CYCLE_1) | instskip(NEXT) | instid1(VALU_DEP_1)
	s_or_b32 exec_lo, exec_lo, s14
	v_add_f32_e32 v24, v26, v24
                                        ; implicit-def: $vgpr73
	s_mov_b32 s14, exec_lo
	s_delay_alu instid0(VALU_DEP_1) | instskip(SKIP_1) | instid1(VALU_DEP_2)
	v_and_b32_e32 v2, 0x7f800000, v24
	v_lshrrev_b32_e32 v25, 24, v24
	v_cmpx_ne_u64_e32 0x7f800000, v[2:3]
	s_xor_b32 s15, exec_lo, s14
	s_cbranch_execz .LBB4_3860
; %bb.3847:                             ;   in Loop: Header=BB4_3674 Depth=3
	v_and_b32_e32 v2, 0x7fffffff, v24
	v_and_b32_e32 v26, 0x80, v25
                                        ; implicit-def: $vgpr73
	s_mov_b32 s14, exec_lo
	s_delay_alu instid0(VALU_DEP_2)
	v_cmpx_gt_u64_e32 0x43e00001, v[2:3]
	s_xor_b32 s44, exec_lo, s14
	s_cbranch_execz .LBB4_3857
; %bb.3848:                             ;   in Loop: Header=BB4_3674 Depth=3
	v_mov_b32_e32 v73, 0
	s_mov_b32 s45, exec_lo
	v_cmpx_ne_u32_e32 0, v24
	s_cbranch_execz .LBB4_3856
; %bb.3849:                             ;   in Loop: Header=BB4_3674 Depth=3
	v_bfe_u32 v25, v24, 23, 8
	s_mov_b32 s77, exec_lo
	s_delay_alu instid0(VALU_DEP_1) | instskip(SKIP_1) | instid1(VALU_DEP_2)
	v_sub_nc_u32_e32 v2, 0x79, v25
	v_cmp_gt_u32_e32 vcc_lo, 0x7a, v25
	v_cndmask_b32_e32 v2, 0, v2, vcc_lo
	v_cmp_eq_u32_e32 vcc_lo, 0, v25
	s_delay_alu instid0(VALU_DEP_2) | instskip(SKIP_1) | instid1(VALU_DEP_2)
	v_cndmask_b32_e64 v27, v2, 0x78, vcc_lo
	v_and_b32_e32 v2, 0x7fffff, v24
	v_add_nc_u32_e32 v24, 20, v27
	s_delay_alu instid0(VALU_DEP_2) | instskip(NEXT) | instid1(VALU_DEP_2)
	v_or_b32_e32 v68, 0x800000, v2
	v_lshlrev_b64_e64 v[28:29], v24, -1
	s_delay_alu instid0(VALU_DEP_2) | instskip(NEXT) | instid1(VALU_DEP_1)
	v_dual_add_nc_u32 v24, 19, v27 :: v_dual_cndmask_b32 v2, v68, v2, vcc_lo
	v_lshlrev_b64_e64 v[68:69], v24, 1
	s_delay_alu instid0(VALU_DEP_2) | instskip(NEXT) | instid1(VALU_DEP_4)
	v_lshrrev_b64 v[60:61], v27, v[2:3]
	v_bfi_b32 v29, v29, 0, 0
	v_bfi_b32 v28, v28, 0, v2
	s_delay_alu instid0(VALU_DEP_3) | instskip(NEXT) | instid1(VALU_DEP_2)
	v_mov_b64_e32 v[62:63], v[60:61]
	v_cmpx_eq_u64_e64 v[28:29], v[68:69]
; %bb.3850:                             ;   in Loop: Header=BB4_3674 Depth=3
	v_bfe_u32 v2, v60, 20, 1
	s_delay_alu instid0(VALU_DEP_1) | instskip(NEXT) | instid1(VALU_DEP_1)
	v_add_nc_u64_e32 v[28:29], v[60:61], v[2:3]
	v_add_nc_u64_e32 v[62:63], -1, v[28:29]
; %bb.3851:                             ;   in Loop: Header=BB4_3674 Depth=3
	s_or_b32 exec_lo, exec_lo, s77
	v_add_nc_u32_e32 v2, 0xffffff81, v25
	v_lshrrev_b32_e32 v24, 23, v60
	s_mov_b32 s14, exec_lo
	s_delay_alu instid0(VALU_DEP_2) | instskip(NEXT) | instid1(VALU_DEP_1)
	v_cndmask_b32_e64 v2, v2, 0xffffff82, vcc_lo
	v_add3_u32 v25, v27, v2, v24
	v_and_b32_e32 v2, 0xfffff, v62
                                        ; implicit-def: $vgpr24
	s_delay_alu instid0(VALU_DEP_1) | instskip(NEXT) | instid1(VALU_DEP_1)
	v_dual_add_nc_u32 v27, 6, v25 :: v_dual_add_nc_u32 v2, v2, v60
                                        ; implicit-def: $vgpr60_vgpr61
	v_cmpx_ne_u32_e32 0, v27
	s_xor_b32 s14, exec_lo, s14
; %bb.3852:                             ;   in Loop: Header=BB4_3674 Depth=3
	s_delay_alu instid0(VALU_DEP_2) | instskip(SKIP_2) | instid1(VALU_DEP_2)
	v_cmp_lt_u64_e32 vcc_lo, 0xffffff, v[2:3]
	v_add_nc_u32_e32 v24, 7, v25
	v_cndmask_b32_e64 v25, 0, 1, vcc_lo
	v_cndmask_b32_e32 v24, v27, v24, vcc_lo
	s_delay_alu instid0(VALU_DEP_2)
	v_lshrrev_b64 v[60:61], v25, v[2:3]
; %bb.3853:                             ;   in Loop: Header=BB4_3674 Depth=3
	s_and_not1_saveexec_b32 s14, s14
; %bb.3854:                             ;   in Loop: Header=BB4_3674 Depth=3
	v_mov_b64_e32 v[60:61], v[2:3]
	v_bfe_u32 v24, v2, 23, 1
; %bb.3855:                             ;   in Loop: Header=BB4_3674 Depth=3
	s_or_b32 exec_lo, exec_lo, s14
	s_delay_alu instid0(VALU_DEP_2) | instskip(NEXT) | instid1(VALU_DEP_2)
	v_lshrrev_b64 v[28:29], 20, v[60:61]
	v_cmp_gt_i32_e32 vcc_lo, 16, v24
	v_min_i32_e32 v2, 15, v24
	v_cmp_eq_u32_e64 s14, 0, v24
	s_delay_alu instid0(VALU_DEP_2) | instskip(SKIP_1) | instid1(VALU_DEP_2)
	v_dual_cndmask_b32 v29, 0, v29 :: v_dual_lshlrev_b32 v2, 3, v2
	v_cndmask_b32_e32 v28, 7, v28, vcc_lo
	v_and_b32_e32 v2, 0xf8, v2
	s_delay_alu instid0(VALU_DEP_2) | instskip(NEXT) | instid1(VALU_DEP_2)
	v_cmp_eq_u64_e32 vcc_lo, 0, v[28:29]
	v_and_or_b32 v2, v28, 7, v2
	s_and_b32 s14, s14, vcc_lo
	s_delay_alu instid0(VALU_DEP_1) | instid1(SALU_CYCLE_1)
	v_cndmask_b32_e64 v2, v2, 0, s14
	s_delay_alu instid0(VALU_DEP_1)
	v_or_b32_e32 v73, v2, v26
.LBB4_3856:                             ;   in Loop: Header=BB4_3674 Depth=3
	s_or_b32 exec_lo, exec_lo, s45
                                        ; implicit-def: $vgpr26
.LBB4_3857:                             ;   in Loop: Header=BB4_3674 Depth=3
	s_and_not1_saveexec_b32 s14, s44
; %bb.3858:                             ;   in Loop: Header=BB4_3674 Depth=3
	v_or_b32_e32 v73, 0x7e, v26
; %bb.3859:                             ;   in Loop: Header=BB4_3674 Depth=3
	s_or_b32 exec_lo, exec_lo, s14
                                        ; implicit-def: $vgpr25
.LBB4_3860:                             ;   in Loop: Header=BB4_3674 Depth=3
	s_and_not1_saveexec_b32 s14, s15
; %bb.3861:                             ;   in Loop: Header=BB4_3674 Depth=3
	v_or_b32_e32 v73, 0x7f, v25
; %bb.3862:                             ;   in Loop: Header=BB4_3674 Depth=3
	s_or_b32 exec_lo, exec_lo, s14
	v_dual_lshrrev_b32 v24, 16, v13 :: v_dual_mov_b32 v26, 0
	s_mov_b32 s14, exec_lo
	s_delay_alu instid0(VALU_DEP_1) | instskip(NEXT) | instid1(VALU_DEP_1)
	v_and_b32_e32 v2, 0xff, v24
	v_cmpx_ne_u16_e32 0, v2
	s_cbranch_execz .LBB4_3870
; %bb.3863:                             ;   in Loop: Header=BB4_3674 Depth=3
	v_bfrev_b32_e32 v26, 1
	s_mov_b32 s15, exec_lo
	v_cmpx_ne_u16_e32 0x80, v2
	s_cbranch_execz .LBB4_3869
; %bb.3864:                             ;   in Loop: Header=BB4_3674 Depth=3
	v_bfe_u32 v27, v13, 16, 7
	v_mov_b32_e32 v26, 0x7f800001
	s_mov_b32 s44, exec_lo
	s_delay_alu instid0(VALU_DEP_2)
	v_cmpx_ne_u32_e32 0x7f, v27
	s_cbranch_execz .LBB4_3868
; %bb.3865:                             ;   in Loop: Header=BB4_3674 Depth=3
	v_dual_lshrrev_b32 v25, 3, v27 :: v_dual_bitop2_b32 v2, 7, v24 bitop3:0x40
	s_mov_b32 s45, exec_lo
	s_delay_alu instid0(VALU_DEP_1)
	v_mov_b64_e32 v[60:61], v[2:3]
	v_cmpx_gt_u32_e32 8, v27
; %bb.3866:                             ;   in Loop: Header=BB4_3674 Depth=3
	v_clz_i32_u32_e32 v25, v2
	s_delay_alu instid0(VALU_DEP_1) | instskip(NEXT) | instid1(VALU_DEP_1)
	v_min_u32_e32 v25, 32, v25
	v_subrev_nc_u32_e32 v26, 28, v25
	s_delay_alu instid0(VALU_DEP_1) | instskip(NEXT) | instid1(VALU_DEP_1)
	v_lshlrev_b64_e32 v[26:27], v26, v[2:3]
	v_dual_sub_nc_u32 v25, 29, v25 :: v_dual_bitop2_b32 v60, 7, v26 bitop3:0x40
; %bb.3867:                             ;   in Loop: Header=BB4_3674 Depth=3
	s_or_b32 exec_lo, exec_lo, s45
	v_lshlrev_b32_e32 v2, 24, v24
	s_delay_alu instid0(VALU_DEP_2) | instskip(NEXT) | instid1(VALU_DEP_3)
	v_lshlrev_b32_e32 v24, 20, v60
	v_lshl_add_u32 v25, v25, 23, 0x3c000000
	s_delay_alu instid0(VALU_DEP_3) | instskip(NEXT) | instid1(VALU_DEP_1)
	v_and_b32_e32 v2, 0x80000000, v2
	v_or3_b32 v26, v24, v2, v25
.LBB4_3868:                             ;   in Loop: Header=BB4_3674 Depth=3
	s_or_b32 exec_lo, exec_lo, s44
.LBB4_3869:                             ;   in Loop: Header=BB4_3674 Depth=3
	s_delay_alu instid0(SALU_CYCLE_1)
	s_or_b32 exec_lo, exec_lo, s15
.LBB4_3870:                             ;   in Loop: Header=BB4_3674 Depth=3
	s_delay_alu instid0(SALU_CYCLE_1) | instskip(SKIP_3) | instid1(VALU_DEP_1)
	s_or_b32 exec_lo, exec_lo, s14
	v_lshrrev_b32_e32 v2, 16, v9
	s_mov_b32 s15, 0
	s_mov_b32 s14, exec_lo
	v_and_b32_e32 v25, 0xff, v2
	s_delay_alu instid0(VALU_DEP_1)
	v_cmpx_lt_i16_e32 0x7f, v25
	s_xor_b32 s14, exec_lo, s14
	s_cbranch_execz .LBB4_3875
; %bb.3871:                             ;   in Loop: Header=BB4_3674 Depth=3
	s_mov_b32 s15, -1
	s_mov_b32 s44, exec_lo
	v_cmpx_eq_u16_e32 0x80, v25
; %bb.3872:                             ;   in Loop: Header=BB4_3674 Depth=3
	s_xor_b32 s15, exec_lo, -1
; %bb.3873:                             ;   in Loop: Header=BB4_3674 Depth=3
	s_or_b32 exec_lo, exec_lo, s44
	s_delay_alu instid0(SALU_CYCLE_1)
	s_and_b32 s15, s15, exec_lo
                                        ; implicit-def: $vgpr25
	s_or_saveexec_b32 s14, s14
	v_bfrev_b32_e32 v24, 1
	s_xor_b32 exec_lo, exec_lo, s14
	s_cbranch_execnz .LBB4_3876
.LBB4_3874:                             ;   in Loop: Header=BB4_3674 Depth=3
	s_or_b32 exec_lo, exec_lo, s14
	s_and_saveexec_b32 s14, s15
	s_cbranch_execnz .LBB4_3877
	s_branch .LBB4_3880
.LBB4_3875:                             ;   in Loop: Header=BB4_3674 Depth=3
	s_or_saveexec_b32 s14, s14
	v_bfrev_b32_e32 v24, 1
	s_xor_b32 exec_lo, exec_lo, s14
	s_cbranch_execz .LBB4_3874
.LBB4_3876:                             ;   in Loop: Header=BB4_3674 Depth=3
	v_cmp_ne_u16_e32 vcc_lo, 0, v25
	v_mov_b32_e32 v24, 0
	s_and_not1_b32 s15, s15, exec_lo
	s_and_b32 s44, vcc_lo, exec_lo
	s_delay_alu instid0(SALU_CYCLE_1)
	s_or_b32 s15, s15, s44
	s_or_b32 exec_lo, exec_lo, s14
	s_and_saveexec_b32 s14, s15
	s_cbranch_execz .LBB4_3880
.LBB4_3877:                             ;   in Loop: Header=BB4_3674 Depth=3
	v_and_b32_e32 v25, 0x7f, v2
	v_mov_b32_e32 v24, 0x7f800001
	s_mov_b32 s15, exec_lo
	s_delay_alu instid0(VALU_DEP_2)
	v_cmpx_ne_u32_e32 0x7f, v25
	s_cbranch_execz .LBB4_3879
; %bb.3878:                             ;   in Loop: Header=BB4_3674 Depth=3
	v_and_b32_e32 v24, 7, v2
	v_cmp_gt_u32_e32 vcc_lo, 8, v25
	s_delay_alu instid0(VALU_DEP_2) | instskip(NEXT) | instid1(VALU_DEP_1)
	v_clz_i32_u32_e32 v27, v24
	v_min_u32_e32 v27, 32, v27
	s_delay_alu instid0(VALU_DEP_1) | instskip(NEXT) | instid1(VALU_DEP_1)
	v_subrev_nc_u32_e32 v28, 28, v27
	v_lshlrev_b64_e32 v[28:29], v28, v[2:3]
	v_dual_lshrrev_b32 v29, 3, v25 :: v_dual_sub_nc_u32 v27, 29, v27
	s_delay_alu instid0(VALU_DEP_2) | instskip(NEXT) | instid1(VALU_DEP_1)
	v_dual_lshlrev_b32 v2, 24, v2 :: v_dual_bitop2_b32 v25, 7, v28 bitop3:0x40
	v_dual_cndmask_b32 v27, v29, v27 :: v_dual_cndmask_b32 v24, v24, v25
	s_delay_alu instid0(VALU_DEP_2) | instskip(NEXT) | instid1(VALU_DEP_2)
	v_and_b32_e32 v2, 0x80000000, v2
	v_lshl_add_u32 v25, v27, 23, 0x3c000000
	s_delay_alu instid0(VALU_DEP_3) | instskip(NEXT) | instid1(VALU_DEP_1)
	v_lshlrev_b32_e32 v24, 20, v24
	v_or3_b32 v24, v24, v2, v25
.LBB4_3879:                             ;   in Loop: Header=BB4_3674 Depth=3
	s_or_b32 exec_lo, exec_lo, s15
.LBB4_3880:                             ;   in Loop: Header=BB4_3674 Depth=3
	s_delay_alu instid0(SALU_CYCLE_1) | instskip(NEXT) | instid1(VALU_DEP_1)
	s_or_b32 exec_lo, exec_lo, s14
	v_add_f32_e32 v24, v26, v24
                                        ; implicit-def: $vgpr62
	s_mov_b32 s14, exec_lo
	s_delay_alu instid0(VALU_DEP_1) | instskip(SKIP_1) | instid1(VALU_DEP_2)
	v_and_b32_e32 v2, 0x7f800000, v24
	v_lshrrev_b32_e32 v25, 24, v24
	v_cmpx_ne_u64_e32 0x7f800000, v[2:3]
	s_xor_b32 s15, exec_lo, s14
	s_cbranch_execz .LBB4_3894
; %bb.3881:                             ;   in Loop: Header=BB4_3674 Depth=3
	v_and_b32_e32 v2, 0x7fffffff, v24
	v_and_b32_e32 v26, 0x80, v25
                                        ; implicit-def: $vgpr62
	s_mov_b32 s14, exec_lo
	s_delay_alu instid0(VALU_DEP_2)
	v_cmpx_gt_u64_e32 0x43e00001, v[2:3]
	s_xor_b32 s44, exec_lo, s14
	s_cbranch_execz .LBB4_3891
; %bb.3882:                             ;   in Loop: Header=BB4_3674 Depth=3
	v_mov_b32_e32 v62, 0
	s_mov_b32 s45, exec_lo
	v_cmpx_ne_u32_e32 0, v24
	s_cbranch_execz .LBB4_3890
; %bb.3883:                             ;   in Loop: Header=BB4_3674 Depth=3
	v_bfe_u32 v25, v24, 23, 8
	s_mov_b32 s77, exec_lo
	s_delay_alu instid0(VALU_DEP_1) | instskip(SKIP_1) | instid1(VALU_DEP_2)
	v_sub_nc_u32_e32 v2, 0x79, v25
	v_cmp_gt_u32_e32 vcc_lo, 0x7a, v25
	v_cndmask_b32_e32 v2, 0, v2, vcc_lo
	v_cmp_eq_u32_e32 vcc_lo, 0, v25
	s_delay_alu instid0(VALU_DEP_2) | instskip(SKIP_1) | instid1(VALU_DEP_2)
	v_cndmask_b32_e64 v27, v2, 0x78, vcc_lo
	v_and_b32_e32 v2, 0x7fffff, v24
	v_add_nc_u32_e32 v24, 20, v27
	s_delay_alu instid0(VALU_DEP_2) | instskip(NEXT) | instid1(VALU_DEP_2)
	v_or_b32_e32 v68, 0x800000, v2
	v_lshlrev_b64_e64 v[28:29], v24, -1
	s_delay_alu instid0(VALU_DEP_2) | instskip(NEXT) | instid1(VALU_DEP_1)
	v_dual_add_nc_u32 v24, 19, v27 :: v_dual_cndmask_b32 v2, v68, v2, vcc_lo
	v_lshlrev_b64_e64 v[68:69], v24, 1
	s_delay_alu instid0(VALU_DEP_2) | instskip(NEXT) | instid1(VALU_DEP_4)
	v_lshrrev_b64 v[60:61], v27, v[2:3]
	v_bfi_b32 v29, v29, 0, 0
	v_bfi_b32 v28, v28, 0, v2
	s_delay_alu instid0(VALU_DEP_3) | instskip(NEXT) | instid1(VALU_DEP_2)
	v_mov_b64_e32 v[62:63], v[60:61]
	v_cmpx_eq_u64_e64 v[28:29], v[68:69]
; %bb.3884:                             ;   in Loop: Header=BB4_3674 Depth=3
	v_bfe_u32 v2, v60, 20, 1
	s_delay_alu instid0(VALU_DEP_1) | instskip(NEXT) | instid1(VALU_DEP_1)
	v_add_nc_u64_e32 v[28:29], v[60:61], v[2:3]
	v_add_nc_u64_e32 v[62:63], -1, v[28:29]
; %bb.3885:                             ;   in Loop: Header=BB4_3674 Depth=3
	s_or_b32 exec_lo, exec_lo, s77
	v_add_nc_u32_e32 v2, 0xffffff81, v25
	v_lshrrev_b32_e32 v24, 23, v60
	s_mov_b32 s14, exec_lo
	s_delay_alu instid0(VALU_DEP_2) | instskip(NEXT) | instid1(VALU_DEP_1)
	v_cndmask_b32_e64 v2, v2, 0xffffff82, vcc_lo
	v_add3_u32 v25, v27, v2, v24
	v_and_b32_e32 v2, 0xfffff, v62
                                        ; implicit-def: $vgpr24
	s_delay_alu instid0(VALU_DEP_1) | instskip(NEXT) | instid1(VALU_DEP_1)
	v_dual_add_nc_u32 v27, 6, v25 :: v_dual_add_nc_u32 v2, v2, v60
                                        ; implicit-def: $vgpr60_vgpr61
	v_cmpx_ne_u32_e32 0, v27
	s_xor_b32 s14, exec_lo, s14
; %bb.3886:                             ;   in Loop: Header=BB4_3674 Depth=3
	s_delay_alu instid0(VALU_DEP_2) | instskip(SKIP_2) | instid1(VALU_DEP_2)
	v_cmp_lt_u64_e32 vcc_lo, 0xffffff, v[2:3]
	v_add_nc_u32_e32 v24, 7, v25
	v_cndmask_b32_e64 v25, 0, 1, vcc_lo
	v_cndmask_b32_e32 v24, v27, v24, vcc_lo
	s_delay_alu instid0(VALU_DEP_2)
	v_lshrrev_b64 v[60:61], v25, v[2:3]
; %bb.3887:                             ;   in Loop: Header=BB4_3674 Depth=3
	s_and_not1_saveexec_b32 s14, s14
; %bb.3888:                             ;   in Loop: Header=BB4_3674 Depth=3
	v_mov_b64_e32 v[60:61], v[2:3]
	v_bfe_u32 v24, v2, 23, 1
; %bb.3889:                             ;   in Loop: Header=BB4_3674 Depth=3
	s_or_b32 exec_lo, exec_lo, s14
	s_delay_alu instid0(VALU_DEP_2) | instskip(NEXT) | instid1(VALU_DEP_2)
	v_lshrrev_b64 v[28:29], 20, v[60:61]
	v_cmp_gt_i32_e32 vcc_lo, 16, v24
	v_min_i32_e32 v2, 15, v24
	v_cmp_eq_u32_e64 s14, 0, v24
	s_delay_alu instid0(VALU_DEP_2) | instskip(SKIP_1) | instid1(VALU_DEP_2)
	v_dual_cndmask_b32 v29, 0, v29 :: v_dual_lshlrev_b32 v2, 3, v2
	v_cndmask_b32_e32 v28, 7, v28, vcc_lo
	v_and_b32_e32 v2, 0xf8, v2
	s_delay_alu instid0(VALU_DEP_2) | instskip(NEXT) | instid1(VALU_DEP_2)
	v_cmp_eq_u64_e32 vcc_lo, 0, v[28:29]
	v_and_or_b32 v2, v28, 7, v2
	s_and_b32 s14, s14, vcc_lo
	s_delay_alu instid0(VALU_DEP_1) | instid1(SALU_CYCLE_1)
	v_cndmask_b32_e64 v2, v2, 0, s14
	s_delay_alu instid0(VALU_DEP_1)
	v_or_b32_e32 v62, v2, v26
.LBB4_3890:                             ;   in Loop: Header=BB4_3674 Depth=3
	s_or_b32 exec_lo, exec_lo, s45
                                        ; implicit-def: $vgpr26
.LBB4_3891:                             ;   in Loop: Header=BB4_3674 Depth=3
	s_and_not1_saveexec_b32 s14, s44
; %bb.3892:                             ;   in Loop: Header=BB4_3674 Depth=3
	v_or_b32_e32 v62, 0x7e, v26
; %bb.3893:                             ;   in Loop: Header=BB4_3674 Depth=3
	s_or_b32 exec_lo, exec_lo, s14
                                        ; implicit-def: $vgpr25
.LBB4_3894:                             ;   in Loop: Header=BB4_3674 Depth=3
	s_and_not1_saveexec_b32 s14, s15
; %bb.3895:                             ;   in Loop: Header=BB4_3674 Depth=3
	v_or_b32_e32 v62, 0x7f, v25
; %bb.3896:                             ;   in Loop: Header=BB4_3674 Depth=3
	s_or_b32 exec_lo, exec_lo, s14
	v_cmp_lt_u64_e32 vcc_lo, s[22:23], v[12:13]
	v_mov_b32_e32 v12, 0
	s_and_saveexec_b32 s14, vcc_lo
	s_cbranch_execz .LBB4_3904
; %bb.3897:                             ;   in Loop: Header=BB4_3674 Depth=3
	v_lshrrev_b32_e32 v24, 24, v13
	v_bfrev_b32_e32 v12, 1
	s_mov_b32 s15, exec_lo
	s_delay_alu instid0(VALU_DEP_2)
	v_cmpx_ne_u32_e32 0x80, v24
	s_cbranch_execz .LBB4_3903
; %bb.3898:                             ;   in Loop: Header=BB4_3674 Depth=3
	v_bfe_u32 v13, v13, 24, 7
	v_mov_b32_e32 v12, 0x7f800001
	s_mov_b32 s44, exec_lo
	s_delay_alu instid0(VALU_DEP_2)
	v_cmpx_ne_u32_e32 0x7f, v13
	s_cbranch_execz .LBB4_3902
; %bb.3899:                             ;   in Loop: Header=BB4_3674 Depth=3
	v_dual_lshrrev_b32 v25, 3, v13 :: v_dual_bitop2_b32 v2, 7, v24 bitop3:0x40
	v_cmp_gt_u32_e32 vcc_lo, 8, v13
	s_delay_alu instid0(VALU_DEP_2)
	v_mov_b64_e32 v[12:13], v[2:3]
	s_and_saveexec_b32 s45, vcc_lo
; %bb.3900:                             ;   in Loop: Header=BB4_3674 Depth=3
	v_clz_i32_u32_e32 v12, v2
	s_delay_alu instid0(VALU_DEP_1) | instskip(NEXT) | instid1(VALU_DEP_1)
	v_min_u32_e32 v25, 32, v12
	v_subrev_nc_u32_e32 v12, 28, v25
	s_delay_alu instid0(VALU_DEP_1) | instskip(NEXT) | instid1(VALU_DEP_1)
	v_lshlrev_b64_e32 v[12:13], v12, v[2:3]
	v_dual_sub_nc_u32 v25, 29, v25 :: v_dual_bitop2_b32 v12, 7, v12 bitop3:0x40
; %bb.3901:                             ;   in Loop: Header=BB4_3674 Depth=3
	s_or_b32 exec_lo, exec_lo, s45
	v_lshlrev_b32_e32 v2, 24, v24
	s_delay_alu instid0(VALU_DEP_2) | instskip(NEXT) | instid1(VALU_DEP_3)
	v_lshlrev_b32_e32 v12, 20, v12
	v_lshl_add_u32 v13, v25, 23, 0x3c000000
	s_delay_alu instid0(VALU_DEP_3) | instskip(NEXT) | instid1(VALU_DEP_1)
	v_and_b32_e32 v2, 0x80000000, v2
	v_or3_b32 v12, v12, v2, v13
.LBB4_3902:                             ;   in Loop: Header=BB4_3674 Depth=3
	s_or_b32 exec_lo, exec_lo, s44
.LBB4_3903:                             ;   in Loop: Header=BB4_3674 Depth=3
	s_delay_alu instid0(SALU_CYCLE_1)
	s_or_b32 exec_lo, exec_lo, s15
.LBB4_3904:                             ;   in Loop: Header=BB4_3674 Depth=3
	s_delay_alu instid0(SALU_CYCLE_1) | instskip(SKIP_3) | instid1(VALU_DEP_3)
	s_or_b32 exec_lo, exec_lo, s14
	v_lshrrev_b32_e32 v2, 24, v9
	v_bfe_u32 v13, v9, 24, 7
	v_cmp_gt_u64_e64 s15, s[24:25], v[8:9]
	v_cmp_eq_u32_e64 s14, 0x80, v2
	s_delay_alu instid0(VALU_DEP_3) | instskip(NEXT) | instid1(VALU_DEP_2)
	v_cmp_eq_u32_e32 vcc_lo, 0x7f, v13
	v_cndmask_b32_e64 v24, 0x7f800001, v91, s14
	s_or_b32 s14, s14, vcc_lo
	s_delay_alu instid0(VALU_DEP_1) | instskip(SKIP_1) | instid1(SALU_CYCLE_1)
	v_cndmask_b32_e64 v8, v24, 0, s15
	s_nor_b32 s15, s15, s14
	s_and_saveexec_b32 s14, s15
	s_cbranch_execz .LBB4_3906
; %bb.3905:                             ;   in Loop: Header=BB4_3674 Depth=3
	v_and_b32_e32 v24, 7, v2
	v_cmp_gt_u32_e32 vcc_lo, 8, v13
	s_delay_alu instid0(VALU_DEP_2) | instskip(NEXT) | instid1(VALU_DEP_1)
	v_clz_i32_u32_e32 v8, v24
	v_min_u32_e32 v25, 32, v8
	s_delay_alu instid0(VALU_DEP_1) | instskip(NEXT) | instid1(VALU_DEP_1)
	v_subrev_nc_u32_e32 v8, 28, v25
	v_lshlrev_b64_e32 v[8:9], v8, v[2:3]
	v_lshrrev_b32_e32 v9, 3, v13
	s_delay_alu instid0(VALU_DEP_2) | instskip(NEXT) | instid1(VALU_DEP_1)
	v_dual_sub_nc_u32 v25, 29, v25 :: v_dual_bitop2_b32 v8, 7, v8 bitop3:0x40
	v_dual_cndmask_b32 v9, v9, v25 :: v_dual_lshlrev_b32 v2, 24, v2
	s_delay_alu instid0(VALU_DEP_2) | instskip(NEXT) | instid1(VALU_DEP_2)
	v_cndmask_b32_e32 v8, v24, v8, vcc_lo
	v_and_b32_e32 v2, 0x80000000, v2
	s_delay_alu instid0(VALU_DEP_3) | instskip(NEXT) | instid1(VALU_DEP_3)
	v_lshl_add_u32 v9, v9, 23, 0x3c000000
	v_lshlrev_b32_e32 v8, 20, v8
	s_delay_alu instid0(VALU_DEP_1)
	v_or3_b32 v8, v8, v2, v9
.LBB4_3906:                             ;   in Loop: Header=BB4_3674 Depth=3
	s_or_b32 exec_lo, exec_lo, s14
	s_delay_alu instid0(VALU_DEP_1) | instskip(SKIP_1) | instid1(VALU_DEP_1)
	v_add_f32_e32 v8, v12, v8
                                        ; implicit-def: $vgpr63
	s_mov_b32 s14, exec_lo
	v_and_b32_e32 v2, 0x7f800000, v8
	v_lshrrev_b32_e32 v9, 24, v8
	s_delay_alu instid0(VALU_DEP_2)
	v_cmpx_ne_u64_e32 0x7f800000, v[2:3]
	s_xor_b32 s15, exec_lo, s14
	s_cbranch_execz .LBB4_3920
; %bb.3907:                             ;   in Loop: Header=BB4_3674 Depth=3
	v_and_b32_e32 v2, 0x7fffffff, v8
	v_and_b32_e32 v26, 0x80, v9
                                        ; implicit-def: $vgpr63
	s_mov_b32 s14, exec_lo
	s_delay_alu instid0(VALU_DEP_2)
	v_cmpx_gt_u64_e32 0x43e00001, v[2:3]
	s_xor_b32 s44, exec_lo, s14
	s_cbranch_execz .LBB4_3917
; %bb.3908:                             ;   in Loop: Header=BB4_3674 Depth=3
	v_mov_b32_e32 v63, 0
	s_mov_b32 s45, exec_lo
	v_cmpx_ne_u32_e32 0, v8
	s_cbranch_execz .LBB4_3916
; %bb.3909:                             ;   in Loop: Header=BB4_3674 Depth=3
	v_bfe_u32 v24, v8, 23, 8
	s_delay_alu instid0(VALU_DEP_1) | instskip(SKIP_1) | instid1(VALU_DEP_2)
	v_sub_nc_u32_e32 v2, 0x79, v24
	v_cmp_gt_u32_e32 vcc_lo, 0x7a, v24
	v_cndmask_b32_e32 v2, 0, v2, vcc_lo
	v_cmp_eq_u32_e32 vcc_lo, 0, v24
	s_delay_alu instid0(VALU_DEP_2) | instskip(SKIP_1) | instid1(VALU_DEP_2)
	v_cndmask_b32_e64 v25, v2, 0x78, vcc_lo
	v_and_b32_e32 v2, 0x7fffff, v8
	v_add_nc_u32_e32 v8, 20, v25
	s_delay_alu instid0(VALU_DEP_2) | instskip(SKIP_1) | instid1(VALU_DEP_3)
	v_or_b32_e32 v12, 0x800000, v2
	v_add_nc_u32_e32 v13, 19, v25
	v_lshlrev_b64_e64 v[8:9], v8, -1
	s_delay_alu instid0(VALU_DEP_3) | instskip(NEXT) | instid1(VALU_DEP_3)
	v_cndmask_b32_e32 v2, v12, v2, vcc_lo
	v_lshlrev_b64_e64 v[12:13], v13, 1
	s_delay_alu instid0(VALU_DEP_3) | instskip(NEXT) | instid1(VALU_DEP_3)
	v_bfi_b32 v29, v9, 0, 0
	v_bfi_b32 v28, v8, 0, v2
	v_lshrrev_b64 v[8:9], v25, v[2:3]
	s_delay_alu instid0(VALU_DEP_2) | instskip(NEXT) | instid1(VALU_DEP_2)
	v_cmp_eq_u64_e64 s14, v[28:29], v[12:13]
	v_mov_b64_e32 v[12:13], v[8:9]
	s_and_saveexec_b32 s77, s14
; %bb.3910:                             ;   in Loop: Header=BB4_3674 Depth=3
	v_bfe_u32 v2, v8, 20, 1
	s_delay_alu instid0(VALU_DEP_1) | instskip(NEXT) | instid1(VALU_DEP_1)
	v_add_nc_u64_e32 v[12:13], v[8:9], v[2:3]
	v_add_nc_u64_e32 v[12:13], -1, v[12:13]
; %bb.3911:                             ;   in Loop: Header=BB4_3674 Depth=3
	s_or_b32 exec_lo, exec_lo, s77
	v_add_nc_u32_e32 v2, 0xffffff81, v24
	v_lshrrev_b32_e32 v9, 23, v8
	s_mov_b32 s14, exec_lo
	s_delay_alu instid0(VALU_DEP_2) | instskip(NEXT) | instid1(VALU_DEP_1)
	v_cndmask_b32_e64 v2, v2, 0xffffff82, vcc_lo
	v_add3_u32 v13, v25, v2, v9
	v_and_b32_e32 v2, 0xfffff, v12
                                        ; implicit-def: $vgpr12
	s_delay_alu instid0(VALU_DEP_1) | instskip(NEXT) | instid1(VALU_DEP_1)
	v_dual_add_nc_u32 v24, 6, v13 :: v_dual_add_nc_u32 v2, v2, v8
                                        ; implicit-def: $vgpr8_vgpr9
	v_cmpx_ne_u32_e32 0, v24
	s_xor_b32 s14, exec_lo, s14
; %bb.3912:                             ;   in Loop: Header=BB4_3674 Depth=3
	s_delay_alu instid0(VALU_DEP_2) | instskip(SKIP_1) | instid1(VALU_DEP_1)
	v_cmp_lt_u64_e32 vcc_lo, 0xffffff, v[2:3]
	v_add_nc_u32_e32 v8, 7, v13
	v_cndmask_b32_e32 v12, v24, v8, vcc_lo
	v_cndmask_b32_e64 v8, 0, 1, vcc_lo
	s_delay_alu instid0(VALU_DEP_1)
	v_lshrrev_b64 v[8:9], v8, v[2:3]
; %bb.3913:                             ;   in Loop: Header=BB4_3674 Depth=3
	s_and_not1_saveexec_b32 s14, s14
; %bb.3914:                             ;   in Loop: Header=BB4_3674 Depth=3
	v_mov_b64_e32 v[8:9], v[2:3]
	v_bfe_u32 v12, v2, 23, 1
; %bb.3915:                             ;   in Loop: Header=BB4_3674 Depth=3
	s_or_b32 exec_lo, exec_lo, s14
	s_delay_alu instid0(VALU_DEP_2) | instskip(NEXT) | instid1(VALU_DEP_2)
	v_lshrrev_b64 v[8:9], 20, v[8:9]
	v_cmp_gt_i32_e32 vcc_lo, 16, v12
	v_min_i32_e32 v2, 15, v12
	v_cmp_eq_u32_e64 s14, 0, v12
	s_delay_alu instid0(VALU_DEP_2) | instskip(SKIP_1) | instid1(VALU_DEP_2)
	v_dual_cndmask_b32 v9, 0, v9 :: v_dual_lshlrev_b32 v2, 3, v2
	v_cndmask_b32_e32 v8, 7, v8, vcc_lo
	v_and_b32_e32 v2, 0xf8, v2
	s_delay_alu instid0(VALU_DEP_2) | instskip(NEXT) | instid1(VALU_DEP_2)
	v_cmp_eq_u64_e32 vcc_lo, 0, v[8:9]
	v_and_or_b32 v2, v8, 7, v2
	s_and_b32 s14, s14, vcc_lo
	s_delay_alu instid0(VALU_DEP_1) | instid1(SALU_CYCLE_1)
	v_cndmask_b32_e64 v2, v2, 0, s14
	s_delay_alu instid0(VALU_DEP_1)
	v_or_b32_e32 v63, v2, v26
.LBB4_3916:                             ;   in Loop: Header=BB4_3674 Depth=3
	s_or_b32 exec_lo, exec_lo, s45
                                        ; implicit-def: $vgpr26
.LBB4_3917:                             ;   in Loop: Header=BB4_3674 Depth=3
	s_and_not1_saveexec_b32 s14, s44
; %bb.3918:                             ;   in Loop: Header=BB4_3674 Depth=3
	v_or_b32_e32 v63, 0x7e, v26
; %bb.3919:                             ;   in Loop: Header=BB4_3674 Depth=3
	s_or_b32 exec_lo, exec_lo, s14
                                        ; implicit-def: $vgpr9
.LBB4_3920:                             ;   in Loop: Header=BB4_3674 Depth=3
	s_and_not1_saveexec_b32 s14, s15
; %bb.3921:                             ;   in Loop: Header=BB4_3674 Depth=3
	v_or_b32_e32 v63, 0x7f, v9
; %bb.3922:                             ;   in Loop: Header=BB4_3674 Depth=3
	s_or_b32 exec_lo, exec_lo, s14
	v_and_b32_e32 v8, 0xff, v14
	v_mov_b32_e32 v2, 0
	s_mov_b32 s14, exec_lo
	s_delay_alu instid0(VALU_DEP_2)
	v_cmpx_ne_u16_e32 0, v8
	s_cbranch_execz .LBB4_3928
; %bb.3923:                             ;   in Loop: Header=BB4_3674 Depth=3
	v_bfrev_b32_e32 v2, 1
	s_mov_b32 s15, exec_lo
	v_cmpx_ne_u16_e32 0x80, v8
	s_cbranch_execz .LBB4_3927
; %bb.3924:                             ;   in Loop: Header=BB4_3674 Depth=3
	v_and_b32_e32 v8, 0x7f, v14
	v_mov_b32_e32 v2, 0x7f800001
	s_mov_b32 s44, exec_lo
	s_delay_alu instid0(VALU_DEP_2)
	v_cmpx_ne_u32_e32 0x7f, v8
	s_cbranch_execz .LBB4_3926
; %bb.3925:                             ;   in Loop: Header=BB4_3674 Depth=3
	v_dual_lshrrev_b32 v9, 3, v8 :: v_dual_bitop2_b32 v2, 7, v14 bitop3:0x40
	v_cmp_gt_u32_e32 vcc_lo, 8, v8
	s_delay_alu instid0(VALU_DEP_2) | instskip(NEXT) | instid1(VALU_DEP_1)
	v_clz_i32_u32_e32 v2, v2
	v_min_u32_e32 v2, 32, v2
	s_delay_alu instid0(VALU_DEP_1) | instskip(NEXT) | instid1(VALU_DEP_1)
	v_subrev_nc_u32_e32 v12, 28, v2
	v_dual_sub_nc_u32 v2, 29, v2 :: v_dual_cndmask_b32 v8, 0, v12, vcc_lo
	s_delay_alu instid0(VALU_DEP_1) | instskip(NEXT) | instid1(VALU_DEP_2)
	v_cndmask_b32_e32 v2, v9, v2, vcc_lo
	v_lshlrev_b64_e32 v[8:9], v8, v[14:15]
	v_lshlrev_b32_e32 v9, 24, v14
	s_delay_alu instid0(VALU_DEP_1) | instskip(NEXT) | instid1(VALU_DEP_3)
	v_and_b32_e32 v9, 0x80000000, v9
	v_lshlrev_b32_e32 v8, 20, v8
	v_lshl_add_u32 v2, v2, 23, 0x3c000000
	s_delay_alu instid0(VALU_DEP_2) | instskip(NEXT) | instid1(VALU_DEP_1)
	v_and_b32_e32 v8, 0x700000, v8
	v_or3_b32 v2, v8, v9, v2
.LBB4_3926:                             ;   in Loop: Header=BB4_3674 Depth=3
	s_or_b32 exec_lo, exec_lo, s44
.LBB4_3927:                             ;   in Loop: Header=BB4_3674 Depth=3
	s_delay_alu instid0(SALU_CYCLE_1)
	s_or_b32 exec_lo, exec_lo, s15
.LBB4_3928:                             ;   in Loop: Header=BB4_3674 Depth=3
	s_delay_alu instid0(SALU_CYCLE_1) | instskip(SKIP_3) | instid1(VALU_DEP_1)
	s_or_b32 exec_lo, exec_lo, s14
	v_and_b32_e32 v9, 0xff, v10
	s_mov_b32 s14, 0
	s_mov_b32 s15, exec_lo
	v_cmpx_lt_i16_e32 0x7f, v9
	s_xor_b32 s15, exec_lo, s15
	s_cbranch_execz .LBB4_3963
; %bb.3929:                             ;   in Loop: Header=BB4_3674 Depth=3
	s_mov_b32 s14, -1
	s_mov_b32 s44, exec_lo
	v_cmpx_eq_u16_e32 0x80, v9
; %bb.3930:                             ;   in Loop: Header=BB4_3674 Depth=3
	s_xor_b32 s14, exec_lo, -1
; %bb.3931:                             ;   in Loop: Header=BB4_3674 Depth=3
	s_or_b32 exec_lo, exec_lo, s44
	s_delay_alu instid0(SALU_CYCLE_1)
	s_and_b32 s14, s14, exec_lo
                                        ; implicit-def: $vgpr9
	s_or_saveexec_b32 s15, s15
	v_bfrev_b32_e32 v8, 1
	s_xor_b32 exec_lo, exec_lo, s15
	s_cbranch_execnz .LBB4_3964
.LBB4_3932:                             ;   in Loop: Header=BB4_3674 Depth=3
	s_or_b32 exec_lo, exec_lo, s15
	s_and_saveexec_b32 s15, s14
	s_cbranch_execz .LBB4_3934
.LBB4_3933:                             ;   in Loop: Header=BB4_3674 Depth=3
	v_and_b32_e32 v8, 7, v10
	v_and_b32_e32 v12, 0x7f, v10
	v_bfe_u32 v9, v10, 3, 4
	s_delay_alu instid0(VALU_DEP_3) | instskip(NEXT) | instid1(VALU_DEP_3)
	v_clz_i32_u32_e32 v8, v8
	v_cmp_gt_u32_e32 vcc_lo, 8, v12
	s_delay_alu instid0(VALU_DEP_2) | instskip(NEXT) | instid1(VALU_DEP_1)
	v_min_u32_e32 v8, 32, v8
	v_subrev_nc_u32_e32 v13, 28, v8
	v_sub_nc_u32_e32 v8, 29, v8
	s_delay_alu instid0(VALU_DEP_1) | instskip(SKIP_1) | instid1(VALU_DEP_2)
	v_dual_cndmask_b32 v24, v9, v8, vcc_lo :: v_dual_cndmask_b32 v8, 0, v13, vcc_lo
	v_cmp_ne_u32_e32 vcc_lo, 0x7f, v12
	v_lshl_add_u32 v13, v24, 23, 0x3c000000
	s_delay_alu instid0(VALU_DEP_3) | instskip(SKIP_1) | instid1(VALU_DEP_1)
	v_lshlrev_b64_e32 v[8:9], v8, v[10:11]
	v_lshlrev_b32_e32 v9, 24, v10
	v_and_b32_e32 v9, 0x80000000, v9
	s_delay_alu instid0(VALU_DEP_3) | instskip(NEXT) | instid1(VALU_DEP_1)
	v_lshlrev_b32_e32 v8, 20, v8
	v_and_b32_e32 v8, 0x700000, v8
	s_delay_alu instid0(VALU_DEP_1) | instskip(NEXT) | instid1(VALU_DEP_1)
	v_or3_b32 v8, v8, v9, v13
	v_cndmask_b32_e32 v8, 0x7f800001, v8, vcc_lo
.LBB4_3934:                             ;   in Loop: Header=BB4_3674 Depth=3
	s_or_b32 exec_lo, exec_lo, s15
	s_delay_alu instid0(VALU_DEP_1) | instskip(SKIP_1) | instid1(VALU_DEP_1)
	v_add_f32_e32 v8, v2, v8
                                        ; implicit-def: $vgpr107
	s_mov_b32 s14, exec_lo
	v_and_b32_e32 v2, 0x7f800000, v8
	v_lshrrev_b32_e32 v9, 24, v8
	s_delay_alu instid0(VALU_DEP_2)
	v_cmpx_ne_u64_e32 0x7f800000, v[2:3]
	s_xor_b32 s15, exec_lo, s14
	s_cbranch_execz .LBB4_3948
; %bb.3935:                             ;   in Loop: Header=BB4_3674 Depth=3
	v_and_b32_e32 v2, 0x7fffffff, v8
	v_and_b32_e32 v26, 0x80, v9
                                        ; implicit-def: $vgpr107
	s_mov_b32 s14, exec_lo
	s_delay_alu instid0(VALU_DEP_2)
	v_cmpx_gt_u64_e32 0x43e00001, v[2:3]
	s_xor_b32 s44, exec_lo, s14
	s_cbranch_execz .LBB4_3945
; %bb.3936:                             ;   in Loop: Header=BB4_3674 Depth=3
	v_mov_b32_e32 v107, 0
	s_mov_b32 s45, exec_lo
	v_cmpx_ne_u32_e32 0, v8
	s_cbranch_execz .LBB4_3944
; %bb.3937:                             ;   in Loop: Header=BB4_3674 Depth=3
	v_bfe_u32 v24, v8, 23, 8
	s_delay_alu instid0(VALU_DEP_1) | instskip(SKIP_1) | instid1(VALU_DEP_2)
	v_sub_nc_u32_e32 v2, 0x79, v24
	v_cmp_gt_u32_e32 vcc_lo, 0x7a, v24
	v_cndmask_b32_e32 v2, 0, v2, vcc_lo
	v_cmp_eq_u32_e32 vcc_lo, 0, v24
	s_delay_alu instid0(VALU_DEP_2) | instskip(SKIP_1) | instid1(VALU_DEP_2)
	v_cndmask_b32_e64 v25, v2, 0x78, vcc_lo
	v_and_b32_e32 v2, 0x7fffff, v8
	v_add_nc_u32_e32 v8, 20, v25
	s_delay_alu instid0(VALU_DEP_2) | instskip(SKIP_1) | instid1(VALU_DEP_3)
	v_or_b32_e32 v12, 0x800000, v2
	v_add_nc_u32_e32 v13, 19, v25
	v_lshlrev_b64_e64 v[8:9], v8, -1
	s_delay_alu instid0(VALU_DEP_3) | instskip(NEXT) | instid1(VALU_DEP_3)
	v_cndmask_b32_e32 v2, v12, v2, vcc_lo
	v_lshlrev_b64_e64 v[12:13], v13, 1
	s_delay_alu instid0(VALU_DEP_3) | instskip(NEXT) | instid1(VALU_DEP_3)
	v_bfi_b32 v29, v9, 0, 0
	v_bfi_b32 v28, v8, 0, v2
	v_lshrrev_b64 v[8:9], v25, v[2:3]
	s_delay_alu instid0(VALU_DEP_2) | instskip(NEXT) | instid1(VALU_DEP_2)
	v_cmp_eq_u64_e64 s14, v[28:29], v[12:13]
	v_mov_b64_e32 v[12:13], v[8:9]
	s_and_saveexec_b32 s77, s14
; %bb.3938:                             ;   in Loop: Header=BB4_3674 Depth=3
	v_bfe_u32 v2, v8, 20, 1
	s_delay_alu instid0(VALU_DEP_1) | instskip(NEXT) | instid1(VALU_DEP_1)
	v_add_nc_u64_e32 v[12:13], v[8:9], v[2:3]
	v_add_nc_u64_e32 v[12:13], -1, v[12:13]
; %bb.3939:                             ;   in Loop: Header=BB4_3674 Depth=3
	s_or_b32 exec_lo, exec_lo, s77
	v_add_nc_u32_e32 v2, 0xffffff81, v24
	v_lshrrev_b32_e32 v9, 23, v8
	s_mov_b32 s14, exec_lo
	s_delay_alu instid0(VALU_DEP_2) | instskip(NEXT) | instid1(VALU_DEP_1)
	v_cndmask_b32_e64 v2, v2, 0xffffff82, vcc_lo
	v_add3_u32 v13, v25, v2, v9
	v_and_b32_e32 v2, 0xfffff, v12
                                        ; implicit-def: $vgpr12
	s_delay_alu instid0(VALU_DEP_1) | instskip(NEXT) | instid1(VALU_DEP_1)
	v_dual_add_nc_u32 v24, 6, v13 :: v_dual_add_nc_u32 v2, v2, v8
                                        ; implicit-def: $vgpr8_vgpr9
	v_cmpx_ne_u32_e32 0, v24
	s_xor_b32 s14, exec_lo, s14
; %bb.3940:                             ;   in Loop: Header=BB4_3674 Depth=3
	s_delay_alu instid0(VALU_DEP_2) | instskip(SKIP_1) | instid1(VALU_DEP_1)
	v_cmp_lt_u64_e32 vcc_lo, 0xffffff, v[2:3]
	v_add_nc_u32_e32 v8, 7, v13
	v_cndmask_b32_e32 v12, v24, v8, vcc_lo
	v_cndmask_b32_e64 v8, 0, 1, vcc_lo
	s_delay_alu instid0(VALU_DEP_1)
	v_lshrrev_b64 v[8:9], v8, v[2:3]
; %bb.3941:                             ;   in Loop: Header=BB4_3674 Depth=3
	s_and_not1_saveexec_b32 s14, s14
; %bb.3942:                             ;   in Loop: Header=BB4_3674 Depth=3
	v_mov_b64_e32 v[8:9], v[2:3]
	v_bfe_u32 v12, v2, 23, 1
; %bb.3943:                             ;   in Loop: Header=BB4_3674 Depth=3
	s_or_b32 exec_lo, exec_lo, s14
	s_delay_alu instid0(VALU_DEP_2) | instskip(NEXT) | instid1(VALU_DEP_2)
	v_lshrrev_b64 v[8:9], 20, v[8:9]
	v_cmp_gt_i32_e32 vcc_lo, 16, v12
	v_min_i32_e32 v2, 15, v12
	v_cmp_eq_u32_e64 s14, 0, v12
	s_delay_alu instid0(VALU_DEP_2) | instskip(SKIP_1) | instid1(VALU_DEP_2)
	v_dual_cndmask_b32 v9, 0, v9 :: v_dual_lshlrev_b32 v2, 3, v2
	v_cndmask_b32_e32 v8, 7, v8, vcc_lo
	v_and_b32_e32 v2, 0xf8, v2
	s_delay_alu instid0(VALU_DEP_2) | instskip(NEXT) | instid1(VALU_DEP_2)
	v_cmp_eq_u64_e32 vcc_lo, 0, v[8:9]
	v_and_or_b32 v2, v8, 7, v2
	s_and_b32 s14, s14, vcc_lo
	s_delay_alu instid0(VALU_DEP_1) | instid1(SALU_CYCLE_1)
	v_cndmask_b32_e64 v2, v2, 0, s14
	s_delay_alu instid0(VALU_DEP_1)
	v_or_b32_e32 v107, v2, v26
.LBB4_3944:                             ;   in Loop: Header=BB4_3674 Depth=3
	s_or_b32 exec_lo, exec_lo, s45
                                        ; implicit-def: $vgpr26
.LBB4_3945:                             ;   in Loop: Header=BB4_3674 Depth=3
	s_and_not1_saveexec_b32 s14, s44
; %bb.3946:                             ;   in Loop: Header=BB4_3674 Depth=3
	v_or_b32_e32 v107, 0x7e, v26
; %bb.3947:                             ;   in Loop: Header=BB4_3674 Depth=3
	s_or_b32 exec_lo, exec_lo, s14
                                        ; implicit-def: $vgpr9
.LBB4_3948:                             ;   in Loop: Header=BB4_3674 Depth=3
	s_and_not1_saveexec_b32 s14, s15
; %bb.3949:                             ;   in Loop: Header=BB4_3674 Depth=3
	v_or_b32_e32 v107, 0x7f, v9
; %bb.3950:                             ;   in Loop: Header=BB4_3674 Depth=3
	s_or_b32 exec_lo, exec_lo, s14
	v_lshrrev_b16 v2, 8, v14
	v_mov_b32_e32 v8, 0
	s_mov_b32 s14, exec_lo
	s_delay_alu instid0(VALU_DEP_2)
	v_cmpx_ne_u16_e32 0, v2
	s_cbranch_execz .LBB4_3958
; %bb.3951:                             ;   in Loop: Header=BB4_3674 Depth=3
	v_bfrev_b32_e32 v8, 1
	s_mov_b32 s15, exec_lo
	v_cmpx_ne_u16_e32 0x80, v2
	s_cbranch_execz .LBB4_3957
; %bb.3952:                             ;   in Loop: Header=BB4_3674 Depth=3
	v_and_b32_e32 v2, 0xffff, v2
	v_mov_b32_e32 v8, 0x7f800001
	s_mov_b32 s44, exec_lo
	s_delay_alu instid0(VALU_DEP_2) | instskip(NEXT) | instid1(VALU_DEP_1)
	v_and_b32_e32 v9, 0x7f, v2
	v_cmpx_ne_u32_e32 0x7f, v9
	s_cbranch_execz .LBB4_3956
; %bb.3953:                             ;   in Loop: Header=BB4_3674 Depth=3
	v_dual_lshrrev_b32 v12, 3, v9 :: v_dual_bitop2_b32 v2, 7, v2 bitop3:0x40
	v_cmp_gt_u32_e32 vcc_lo, 8, v9
	s_delay_alu instid0(VALU_DEP_2)
	v_mov_b64_e32 v[8:9], v[2:3]
	s_and_saveexec_b32 s45, vcc_lo
; %bb.3954:                             ;   in Loop: Header=BB4_3674 Depth=3
	v_clz_i32_u32_e32 v8, v2
	s_delay_alu instid0(VALU_DEP_1) | instskip(NEXT) | instid1(VALU_DEP_1)
	v_min_u32_e32 v12, 32, v8
	v_subrev_nc_u32_e32 v8, 28, v12
	v_sub_nc_u32_e32 v12, 29, v12
	s_delay_alu instid0(VALU_DEP_2) | instskip(NEXT) | instid1(VALU_DEP_1)
	v_lshlrev_b64_e32 v[8:9], v8, v[2:3]
	v_and_b32_e32 v8, 7, v8
; %bb.3955:                             ;   in Loop: Header=BB4_3674 Depth=3
	s_or_b32 exec_lo, exec_lo, s45
	s_delay_alu instid0(VALU_DEP_1) | instskip(SKIP_1) | instid1(VALU_DEP_2)
	v_dual_lshlrev_b32 v2, 16, v14 :: v_dual_lshlrev_b32 v8, 20, v8
	v_lshl_add_u32 v9, v12, 23, 0x3c000000
	v_and_b32_e32 v2, 0x80000000, v2
	s_delay_alu instid0(VALU_DEP_1)
	v_or3_b32 v8, v8, v2, v9
.LBB4_3956:                             ;   in Loop: Header=BB4_3674 Depth=3
	s_or_b32 exec_lo, exec_lo, s44
.LBB4_3957:                             ;   in Loop: Header=BB4_3674 Depth=3
	s_delay_alu instid0(SALU_CYCLE_1)
	s_or_b32 exec_lo, exec_lo, s15
.LBB4_3958:                             ;   in Loop: Header=BB4_3674 Depth=3
	s_delay_alu instid0(SALU_CYCLE_1) | instskip(SKIP_3) | instid1(VALU_DEP_1)
	s_or_b32 exec_lo, exec_lo, s14
	v_lshrrev_b16 v9, 8, v10
	s_mov_b32 s15, 0
	s_mov_b32 s14, exec_lo
	v_cmpx_lt_i16_e32 0x7f, v9
	s_xor_b32 s14, exec_lo, s14
	s_cbranch_execz .LBB4_3965
; %bb.3959:                             ;   in Loop: Header=BB4_3674 Depth=3
	s_mov_b32 s15, -1
	s_mov_b32 s44, exec_lo
	v_cmpx_eq_u16_e32 0x80, v9
; %bb.3960:                             ;   in Loop: Header=BB4_3674 Depth=3
	s_xor_b32 s15, exec_lo, -1
; %bb.3961:                             ;   in Loop: Header=BB4_3674 Depth=3
	s_or_b32 exec_lo, exec_lo, s44
	s_delay_alu instid0(SALU_CYCLE_1)
	s_and_b32 s15, s15, exec_lo
	s_or_saveexec_b32 s14, s14
	v_bfrev_b32_e32 v12, 1
	s_xor_b32 exec_lo, exec_lo, s14
	s_cbranch_execnz .LBB4_3966
.LBB4_3962:                             ;   in Loop: Header=BB4_3674 Depth=3
	s_or_b32 exec_lo, exec_lo, s14
	s_and_saveexec_b32 s14, s15
	s_cbranch_execnz .LBB4_3967
	s_branch .LBB4_3970
.LBB4_3963:                             ;   in Loop: Header=BB4_3674 Depth=3
	s_or_saveexec_b32 s15, s15
	v_bfrev_b32_e32 v8, 1
	s_xor_b32 exec_lo, exec_lo, s15
	s_cbranch_execz .LBB4_3932
.LBB4_3964:                             ;   in Loop: Header=BB4_3674 Depth=3
	v_cmp_ne_u16_e32 vcc_lo, 0, v9
	v_mov_b32_e32 v8, 0
	s_and_not1_b32 s14, s14, exec_lo
	s_and_b32 s44, vcc_lo, exec_lo
	s_delay_alu instid0(SALU_CYCLE_1)
	s_or_b32 s14, s14, s44
	s_or_b32 exec_lo, exec_lo, s15
	s_and_saveexec_b32 s15, s14
	s_cbranch_execnz .LBB4_3933
	s_branch .LBB4_3934
.LBB4_3965:                             ;   in Loop: Header=BB4_3674 Depth=3
	s_or_saveexec_b32 s14, s14
	v_bfrev_b32_e32 v12, 1
	s_xor_b32 exec_lo, exec_lo, s14
	s_cbranch_execz .LBB4_3962
.LBB4_3966:                             ;   in Loop: Header=BB4_3674 Depth=3
	v_cmp_ne_u16_e32 vcc_lo, 0, v9
	v_mov_b32_e32 v12, 0
	s_and_not1_b32 s15, s15, exec_lo
	s_and_b32 s44, vcc_lo, exec_lo
	s_delay_alu instid0(SALU_CYCLE_1)
	s_or_b32 s15, s15, s44
	s_or_b32 exec_lo, exec_lo, s14
	s_and_saveexec_b32 s14, s15
	s_cbranch_execz .LBB4_3970
.LBB4_3967:                             ;   in Loop: Header=BB4_3674 Depth=3
	v_and_b32_e32 v2, 0xffff, v9
	v_mov_b32_e32 v12, 0x7f800001
	s_mov_b32 s15, exec_lo
	s_delay_alu instid0(VALU_DEP_2) | instskip(NEXT) | instid1(VALU_DEP_1)
	v_and_b32_e32 v13, 0x7f, v2
	v_cmpx_ne_u32_e32 0x7f, v13
	s_cbranch_execz .LBB4_3969
; %bb.3968:                             ;   in Loop: Header=BB4_3674 Depth=3
	v_and_b32_e32 v12, 7, v2
	v_cmp_gt_u32_e32 vcc_lo, 8, v13
	s_delay_alu instid0(VALU_DEP_2) | instskip(NEXT) | instid1(VALU_DEP_1)
	v_clz_i32_u32_e32 v24, v12
	v_min_u32_e32 v26, 32, v24
	s_delay_alu instid0(VALU_DEP_1) | instskip(NEXT) | instid1(VALU_DEP_1)
	v_subrev_nc_u32_e32 v24, 28, v26
	v_lshlrev_b64_e32 v[24:25], v24, v[2:3]
	v_dual_lshrrev_b32 v2, 3, v13 :: v_dual_sub_nc_u32 v25, 29, v26
	s_delay_alu instid0(VALU_DEP_1) | instskip(NEXT) | instid1(VALU_DEP_1)
	v_dual_cndmask_b32 v2, v2, v25, vcc_lo :: v_dual_bitop2_b32 v13, 7, v24 bitop3:0x40
	v_cndmask_b32_e32 v12, v12, v13, vcc_lo
	v_lshlrev_b32_e32 v9, 24, v9
	s_delay_alu instid0(VALU_DEP_3) | instskip(NEXT) | instid1(VALU_DEP_3)
	v_lshl_add_u32 v2, v2, 23, 0x3c000000
	v_lshlrev_b32_e32 v12, 20, v12
	s_delay_alu instid0(VALU_DEP_3) | instskip(NEXT) | instid1(VALU_DEP_1)
	v_and_b32_e32 v9, 0x80000000, v9
	v_or3_b32 v12, v12, v9, v2
.LBB4_3969:                             ;   in Loop: Header=BB4_3674 Depth=3
	s_or_b32 exec_lo, exec_lo, s15
.LBB4_3970:                             ;   in Loop: Header=BB4_3674 Depth=3
	s_delay_alu instid0(SALU_CYCLE_1) | instskip(NEXT) | instid1(VALU_DEP_1)
	s_or_b32 exec_lo, exec_lo, s14
	v_add_f32_e32 v8, v8, v12
                                        ; implicit-def: $vgpr108
	s_mov_b32 s14, exec_lo
	s_delay_alu instid0(VALU_DEP_1) | instskip(SKIP_1) | instid1(VALU_DEP_2)
	v_and_b32_e32 v2, 0x7f800000, v8
	v_lshrrev_b32_e32 v9, 24, v8
	v_cmpx_ne_u64_e32 0x7f800000, v[2:3]
	s_xor_b32 s15, exec_lo, s14
	s_cbranch_execz .LBB4_3984
; %bb.3971:                             ;   in Loop: Header=BB4_3674 Depth=3
	v_and_b32_e32 v2, 0x7fffffff, v8
	v_and_b32_e32 v26, 0x80, v9
                                        ; implicit-def: $vgpr108
	s_mov_b32 s14, exec_lo
	s_delay_alu instid0(VALU_DEP_2)
	v_cmpx_gt_u64_e32 0x43e00001, v[2:3]
	s_xor_b32 s44, exec_lo, s14
	s_cbranch_execz .LBB4_3981
; %bb.3972:                             ;   in Loop: Header=BB4_3674 Depth=3
	v_mov_b32_e32 v108, 0
	s_mov_b32 s45, exec_lo
	v_cmpx_ne_u32_e32 0, v8
	s_cbranch_execz .LBB4_3980
; %bb.3973:                             ;   in Loop: Header=BB4_3674 Depth=3
	v_bfe_u32 v24, v8, 23, 8
	s_delay_alu instid0(VALU_DEP_1) | instskip(SKIP_1) | instid1(VALU_DEP_2)
	v_sub_nc_u32_e32 v2, 0x79, v24
	v_cmp_gt_u32_e32 vcc_lo, 0x7a, v24
	v_cndmask_b32_e32 v2, 0, v2, vcc_lo
	v_cmp_eq_u32_e32 vcc_lo, 0, v24
	s_delay_alu instid0(VALU_DEP_2) | instskip(SKIP_1) | instid1(VALU_DEP_2)
	v_cndmask_b32_e64 v25, v2, 0x78, vcc_lo
	v_and_b32_e32 v2, 0x7fffff, v8
	v_add_nc_u32_e32 v8, 20, v25
	s_delay_alu instid0(VALU_DEP_2) | instskip(SKIP_1) | instid1(VALU_DEP_3)
	v_or_b32_e32 v12, 0x800000, v2
	v_add_nc_u32_e32 v13, 19, v25
	v_lshlrev_b64_e64 v[8:9], v8, -1
	s_delay_alu instid0(VALU_DEP_3) | instskip(NEXT) | instid1(VALU_DEP_3)
	v_cndmask_b32_e32 v2, v12, v2, vcc_lo
	v_lshlrev_b64_e64 v[12:13], v13, 1
	s_delay_alu instid0(VALU_DEP_3) | instskip(NEXT) | instid1(VALU_DEP_3)
	v_bfi_b32 v29, v9, 0, 0
	v_bfi_b32 v28, v8, 0, v2
	v_lshrrev_b64 v[8:9], v25, v[2:3]
	s_delay_alu instid0(VALU_DEP_2) | instskip(NEXT) | instid1(VALU_DEP_2)
	v_cmp_eq_u64_e64 s14, v[28:29], v[12:13]
	v_mov_b64_e32 v[12:13], v[8:9]
	s_and_saveexec_b32 s77, s14
; %bb.3974:                             ;   in Loop: Header=BB4_3674 Depth=3
	v_bfe_u32 v2, v8, 20, 1
	s_delay_alu instid0(VALU_DEP_1) | instskip(NEXT) | instid1(VALU_DEP_1)
	v_add_nc_u64_e32 v[12:13], v[8:9], v[2:3]
	v_add_nc_u64_e32 v[12:13], -1, v[12:13]
; %bb.3975:                             ;   in Loop: Header=BB4_3674 Depth=3
	s_or_b32 exec_lo, exec_lo, s77
	v_add_nc_u32_e32 v2, 0xffffff81, v24
	v_lshrrev_b32_e32 v9, 23, v8
	s_mov_b32 s14, exec_lo
	s_delay_alu instid0(VALU_DEP_2) | instskip(NEXT) | instid1(VALU_DEP_1)
	v_cndmask_b32_e64 v2, v2, 0xffffff82, vcc_lo
	v_add3_u32 v13, v25, v2, v9
	v_and_b32_e32 v2, 0xfffff, v12
                                        ; implicit-def: $vgpr12
	s_delay_alu instid0(VALU_DEP_1) | instskip(NEXT) | instid1(VALU_DEP_1)
	v_dual_add_nc_u32 v24, 6, v13 :: v_dual_add_nc_u32 v2, v2, v8
                                        ; implicit-def: $vgpr8_vgpr9
	v_cmpx_ne_u32_e32 0, v24
	s_xor_b32 s14, exec_lo, s14
; %bb.3976:                             ;   in Loop: Header=BB4_3674 Depth=3
	s_delay_alu instid0(VALU_DEP_2) | instskip(SKIP_1) | instid1(VALU_DEP_1)
	v_cmp_lt_u64_e32 vcc_lo, 0xffffff, v[2:3]
	v_add_nc_u32_e32 v8, 7, v13
	v_cndmask_b32_e32 v12, v24, v8, vcc_lo
	v_cndmask_b32_e64 v8, 0, 1, vcc_lo
	s_delay_alu instid0(VALU_DEP_1)
	v_lshrrev_b64 v[8:9], v8, v[2:3]
; %bb.3977:                             ;   in Loop: Header=BB4_3674 Depth=3
	s_and_not1_saveexec_b32 s14, s14
; %bb.3978:                             ;   in Loop: Header=BB4_3674 Depth=3
	v_mov_b64_e32 v[8:9], v[2:3]
	v_bfe_u32 v12, v2, 23, 1
; %bb.3979:                             ;   in Loop: Header=BB4_3674 Depth=3
	s_or_b32 exec_lo, exec_lo, s14
	s_delay_alu instid0(VALU_DEP_2) | instskip(NEXT) | instid1(VALU_DEP_2)
	v_lshrrev_b64 v[8:9], 20, v[8:9]
	v_cmp_gt_i32_e32 vcc_lo, 16, v12
	v_min_i32_e32 v2, 15, v12
	v_cmp_eq_u32_e64 s14, 0, v12
	s_delay_alu instid0(VALU_DEP_2) | instskip(SKIP_1) | instid1(VALU_DEP_2)
	v_dual_cndmask_b32 v9, 0, v9 :: v_dual_lshlrev_b32 v2, 3, v2
	v_cndmask_b32_e32 v8, 7, v8, vcc_lo
	v_and_b32_e32 v2, 0xf8, v2
	s_delay_alu instid0(VALU_DEP_2) | instskip(NEXT) | instid1(VALU_DEP_2)
	v_cmp_eq_u64_e32 vcc_lo, 0, v[8:9]
	v_and_or_b32 v2, v8, 7, v2
	s_and_b32 s14, s14, vcc_lo
	s_delay_alu instid0(VALU_DEP_1) | instid1(SALU_CYCLE_1)
	v_cndmask_b32_e64 v2, v2, 0, s14
	s_delay_alu instid0(VALU_DEP_1)
	v_or_b32_e32 v108, v2, v26
.LBB4_3980:                             ;   in Loop: Header=BB4_3674 Depth=3
	s_or_b32 exec_lo, exec_lo, s45
                                        ; implicit-def: $vgpr26
.LBB4_3981:                             ;   in Loop: Header=BB4_3674 Depth=3
	s_and_not1_saveexec_b32 s14, s44
; %bb.3982:                             ;   in Loop: Header=BB4_3674 Depth=3
	v_or_b32_e32 v108, 0x7e, v26
; %bb.3983:                             ;   in Loop: Header=BB4_3674 Depth=3
	s_or_b32 exec_lo, exec_lo, s14
                                        ; implicit-def: $vgpr9
.LBB4_3984:                             ;   in Loop: Header=BB4_3674 Depth=3
	s_and_not1_saveexec_b32 s14, s15
; %bb.3985:                             ;   in Loop: Header=BB4_3674 Depth=3
	v_or_b32_e32 v108, 0x7f, v9
; %bb.3986:                             ;   in Loop: Header=BB4_3674 Depth=3
	s_or_b32 exec_lo, exec_lo, s14
	v_dual_lshrrev_b32 v12, 16, v14 :: v_dual_mov_b32 v8, 0
	s_mov_b32 s14, exec_lo
	s_delay_alu instid0(VALU_DEP_1) | instskip(NEXT) | instid1(VALU_DEP_1)
	v_and_b32_e32 v2, 0xff, v12
	v_cmpx_ne_u16_e32 0, v2
	s_cbranch_execz .LBB4_3994
; %bb.3987:                             ;   in Loop: Header=BB4_3674 Depth=3
	v_bfrev_b32_e32 v8, 1
	s_mov_b32 s15, exec_lo
	v_cmpx_ne_u16_e32 0x80, v2
	s_cbranch_execz .LBB4_3993
; %bb.3988:                             ;   in Loop: Header=BB4_3674 Depth=3
	v_bfe_u32 v9, v14, 16, 7
	v_mov_b32_e32 v8, 0x7f800001
	s_mov_b32 s44, exec_lo
	s_delay_alu instid0(VALU_DEP_2)
	v_cmpx_ne_u32_e32 0x7f, v9
	s_cbranch_execz .LBB4_3992
; %bb.3989:                             ;   in Loop: Header=BB4_3674 Depth=3
	v_dual_lshrrev_b32 v13, 3, v9 :: v_dual_bitop2_b32 v2, 7, v12 bitop3:0x40
	v_cmp_gt_u32_e32 vcc_lo, 8, v9
	s_delay_alu instid0(VALU_DEP_2)
	v_mov_b64_e32 v[8:9], v[2:3]
	s_and_saveexec_b32 s45, vcc_lo
; %bb.3990:                             ;   in Loop: Header=BB4_3674 Depth=3
	v_clz_i32_u32_e32 v8, v2
	s_delay_alu instid0(VALU_DEP_1) | instskip(NEXT) | instid1(VALU_DEP_1)
	v_min_u32_e32 v13, 32, v8
	v_subrev_nc_u32_e32 v8, 28, v13
	s_delay_alu instid0(VALU_DEP_1) | instskip(NEXT) | instid1(VALU_DEP_1)
	v_lshlrev_b64_e32 v[8:9], v8, v[2:3]
	v_dual_sub_nc_u32 v13, 29, v13 :: v_dual_bitop2_b32 v8, 7, v8 bitop3:0x40
; %bb.3991:                             ;   in Loop: Header=BB4_3674 Depth=3
	s_or_b32 exec_lo, exec_lo, s45
	v_lshlrev_b32_e32 v2, 24, v12
	s_delay_alu instid0(VALU_DEP_2) | instskip(NEXT) | instid1(VALU_DEP_3)
	v_lshlrev_b32_e32 v8, 20, v8
	v_lshl_add_u32 v9, v13, 23, 0x3c000000
	s_delay_alu instid0(VALU_DEP_3) | instskip(NEXT) | instid1(VALU_DEP_1)
	v_and_b32_e32 v2, 0x80000000, v2
	v_or3_b32 v8, v8, v2, v9
.LBB4_3992:                             ;   in Loop: Header=BB4_3674 Depth=3
	s_or_b32 exec_lo, exec_lo, s44
.LBB4_3993:                             ;   in Loop: Header=BB4_3674 Depth=3
	s_delay_alu instid0(SALU_CYCLE_1)
	s_or_b32 exec_lo, exec_lo, s15
.LBB4_3994:                             ;   in Loop: Header=BB4_3674 Depth=3
	s_delay_alu instid0(SALU_CYCLE_1) | instskip(SKIP_3) | instid1(VALU_DEP_1)
	s_or_b32 exec_lo, exec_lo, s14
	v_lshrrev_b32_e32 v2, 16, v10
	s_mov_b32 s15, 0
	s_mov_b32 s14, exec_lo
	v_and_b32_e32 v12, 0xff, v2
	s_delay_alu instid0(VALU_DEP_1)
	v_cmpx_lt_i16_e32 0x7f, v12
	s_xor_b32 s14, exec_lo, s14
	s_cbranch_execz .LBB4_3999
; %bb.3995:                             ;   in Loop: Header=BB4_3674 Depth=3
	s_mov_b32 s15, -1
	s_mov_b32 s44, exec_lo
	v_cmpx_eq_u16_e32 0x80, v12
; %bb.3996:                             ;   in Loop: Header=BB4_3674 Depth=3
	s_xor_b32 s15, exec_lo, -1
; %bb.3997:                             ;   in Loop: Header=BB4_3674 Depth=3
	s_or_b32 exec_lo, exec_lo, s44
	s_delay_alu instid0(SALU_CYCLE_1)
	s_and_b32 s15, s15, exec_lo
                                        ; implicit-def: $vgpr12
	s_or_saveexec_b32 s14, s14
	v_bfrev_b32_e32 v9, 1
	s_xor_b32 exec_lo, exec_lo, s14
	s_cbranch_execnz .LBB4_4000
.LBB4_3998:                             ;   in Loop: Header=BB4_3674 Depth=3
	s_or_b32 exec_lo, exec_lo, s14
	s_and_saveexec_b32 s14, s15
	s_cbranch_execnz .LBB4_4001
	s_branch .LBB4_4004
.LBB4_3999:                             ;   in Loop: Header=BB4_3674 Depth=3
	s_or_saveexec_b32 s14, s14
	v_bfrev_b32_e32 v9, 1
	s_xor_b32 exec_lo, exec_lo, s14
	s_cbranch_execz .LBB4_3998
.LBB4_4000:                             ;   in Loop: Header=BB4_3674 Depth=3
	v_cmp_ne_u16_e32 vcc_lo, 0, v12
	v_mov_b32_e32 v9, 0
	s_and_not1_b32 s15, s15, exec_lo
	s_and_b32 s44, vcc_lo, exec_lo
	s_delay_alu instid0(SALU_CYCLE_1)
	s_or_b32 s15, s15, s44
	s_or_b32 exec_lo, exec_lo, s14
	s_and_saveexec_b32 s14, s15
	s_cbranch_execz .LBB4_4004
.LBB4_4001:                             ;   in Loop: Header=BB4_3674 Depth=3
	v_and_b32_e32 v12, 0x7f, v2
	v_mov_b32_e32 v9, 0x7f800001
	s_mov_b32 s15, exec_lo
	s_delay_alu instid0(VALU_DEP_2)
	v_cmpx_ne_u32_e32 0x7f, v12
	s_cbranch_execz .LBB4_4003
; %bb.4002:                             ;   in Loop: Header=BB4_3674 Depth=3
	v_and_b32_e32 v9, 7, v2
	v_cmp_gt_u32_e32 vcc_lo, 8, v12
	s_delay_alu instid0(VALU_DEP_2) | instskip(NEXT) | instid1(VALU_DEP_1)
	v_clz_i32_u32_e32 v13, v9
	v_min_u32_e32 v13, 32, v13
	s_delay_alu instid0(VALU_DEP_1) | instskip(NEXT) | instid1(VALU_DEP_1)
	v_subrev_nc_u32_e32 v24, 28, v13
	v_lshlrev_b64_e32 v[24:25], v24, v[2:3]
	v_dual_lshrrev_b32 v25, 3, v12 :: v_dual_sub_nc_u32 v13, 29, v13
	s_delay_alu instid0(VALU_DEP_2) | instskip(NEXT) | instid1(VALU_DEP_2)
	v_dual_lshlrev_b32 v2, 24, v2 :: v_dual_bitop2_b32 v12, 7, v24 bitop3:0x40
	v_cndmask_b32_e32 v13, v25, v13, vcc_lo
	s_delay_alu instid0(VALU_DEP_2) | instskip(NEXT) | instid1(VALU_DEP_3)
	v_cndmask_b32_e32 v9, v9, v12, vcc_lo
	v_and_b32_e32 v2, 0x80000000, v2
	s_delay_alu instid0(VALU_DEP_3) | instskip(NEXT) | instid1(VALU_DEP_3)
	v_lshl_add_u32 v12, v13, 23, 0x3c000000
	v_lshlrev_b32_e32 v9, 20, v9
	s_delay_alu instid0(VALU_DEP_1)
	v_or3_b32 v9, v9, v2, v12
.LBB4_4003:                             ;   in Loop: Header=BB4_3674 Depth=3
	s_or_b32 exec_lo, exec_lo, s15
.LBB4_4004:                             ;   in Loop: Header=BB4_3674 Depth=3
	s_delay_alu instid0(SALU_CYCLE_1) | instskip(NEXT) | instid1(VALU_DEP_1)
	s_or_b32 exec_lo, exec_lo, s14
	v_add_f32_e32 v8, v8, v9
                                        ; implicit-def: $vgpr26
	s_mov_b32 s14, exec_lo
	s_delay_alu instid0(VALU_DEP_1) | instskip(SKIP_1) | instid1(VALU_DEP_2)
	v_and_b32_e32 v2, 0x7f800000, v8
	v_lshrrev_b32_e32 v9, 24, v8
	v_cmpx_ne_u64_e32 0x7f800000, v[2:3]
	s_xor_b32 s15, exec_lo, s14
	s_cbranch_execz .LBB4_4018
; %bb.4005:                             ;   in Loop: Header=BB4_3674 Depth=3
	v_and_b32_e32 v2, 0x7fffffff, v8
	v_and_b32_e32 v27, 0x80, v9
                                        ; implicit-def: $vgpr26
	s_mov_b32 s14, exec_lo
	s_delay_alu instid0(VALU_DEP_2)
	v_cmpx_gt_u64_e32 0x43e00001, v[2:3]
	s_xor_b32 s44, exec_lo, s14
	s_cbranch_execz .LBB4_4015
; %bb.4006:                             ;   in Loop: Header=BB4_3674 Depth=3
	v_mov_b32_e32 v26, 0
	s_mov_b32 s45, exec_lo
	v_cmpx_ne_u32_e32 0, v8
	s_cbranch_execz .LBB4_4014
; %bb.4007:                             ;   in Loop: Header=BB4_3674 Depth=3
	v_bfe_u32 v24, v8, 23, 8
	s_delay_alu instid0(VALU_DEP_1) | instskip(SKIP_1) | instid1(VALU_DEP_2)
	v_sub_nc_u32_e32 v2, 0x79, v24
	v_cmp_gt_u32_e32 vcc_lo, 0x7a, v24
	v_cndmask_b32_e32 v2, 0, v2, vcc_lo
	v_cmp_eq_u32_e32 vcc_lo, 0, v24
	s_delay_alu instid0(VALU_DEP_2) | instskip(SKIP_1) | instid1(VALU_DEP_2)
	v_cndmask_b32_e64 v25, v2, 0x78, vcc_lo
	v_and_b32_e32 v2, 0x7fffff, v8
	v_add_nc_u32_e32 v8, 20, v25
	s_delay_alu instid0(VALU_DEP_2) | instskip(SKIP_1) | instid1(VALU_DEP_3)
	v_or_b32_e32 v12, 0x800000, v2
	v_add_nc_u32_e32 v13, 19, v25
	v_lshlrev_b64_e64 v[8:9], v8, -1
	s_delay_alu instid0(VALU_DEP_3) | instskip(NEXT) | instid1(VALU_DEP_3)
	v_cndmask_b32_e32 v2, v12, v2, vcc_lo
	v_lshlrev_b64_e64 v[12:13], v13, 1
	s_delay_alu instid0(VALU_DEP_3) | instskip(NEXT) | instid1(VALU_DEP_3)
	v_bfi_b32 v29, v9, 0, 0
	v_bfi_b32 v28, v8, 0, v2
	v_lshrrev_b64 v[8:9], v25, v[2:3]
	s_delay_alu instid0(VALU_DEP_2) | instskip(NEXT) | instid1(VALU_DEP_2)
	v_cmp_eq_u64_e64 s14, v[28:29], v[12:13]
	v_mov_b64_e32 v[12:13], v[8:9]
	s_and_saveexec_b32 s77, s14
; %bb.4008:                             ;   in Loop: Header=BB4_3674 Depth=3
	v_bfe_u32 v2, v8, 20, 1
	s_delay_alu instid0(VALU_DEP_1) | instskip(NEXT) | instid1(VALU_DEP_1)
	v_add_nc_u64_e32 v[12:13], v[8:9], v[2:3]
	v_add_nc_u64_e32 v[12:13], -1, v[12:13]
; %bb.4009:                             ;   in Loop: Header=BB4_3674 Depth=3
	s_or_b32 exec_lo, exec_lo, s77
	v_add_nc_u32_e32 v2, 0xffffff81, v24
	v_lshrrev_b32_e32 v9, 23, v8
	s_mov_b32 s14, exec_lo
	s_delay_alu instid0(VALU_DEP_2) | instskip(NEXT) | instid1(VALU_DEP_1)
	v_cndmask_b32_e64 v2, v2, 0xffffff82, vcc_lo
	v_add3_u32 v13, v25, v2, v9
	v_and_b32_e32 v2, 0xfffff, v12
                                        ; implicit-def: $vgpr12
	s_delay_alu instid0(VALU_DEP_1) | instskip(NEXT) | instid1(VALU_DEP_1)
	v_dual_add_nc_u32 v24, 6, v13 :: v_dual_add_nc_u32 v2, v2, v8
                                        ; implicit-def: $vgpr8_vgpr9
	v_cmpx_ne_u32_e32 0, v24
	s_xor_b32 s14, exec_lo, s14
; %bb.4010:                             ;   in Loop: Header=BB4_3674 Depth=3
	s_delay_alu instid0(VALU_DEP_2) | instskip(SKIP_1) | instid1(VALU_DEP_1)
	v_cmp_lt_u64_e32 vcc_lo, 0xffffff, v[2:3]
	v_add_nc_u32_e32 v8, 7, v13
	v_cndmask_b32_e32 v12, v24, v8, vcc_lo
	v_cndmask_b32_e64 v8, 0, 1, vcc_lo
	s_delay_alu instid0(VALU_DEP_1)
	v_lshrrev_b64 v[8:9], v8, v[2:3]
; %bb.4011:                             ;   in Loop: Header=BB4_3674 Depth=3
	s_and_not1_saveexec_b32 s14, s14
; %bb.4012:                             ;   in Loop: Header=BB4_3674 Depth=3
	v_mov_b64_e32 v[8:9], v[2:3]
	v_bfe_u32 v12, v2, 23, 1
; %bb.4013:                             ;   in Loop: Header=BB4_3674 Depth=3
	s_or_b32 exec_lo, exec_lo, s14
	s_delay_alu instid0(VALU_DEP_2) | instskip(NEXT) | instid1(VALU_DEP_2)
	v_lshrrev_b64 v[8:9], 20, v[8:9]
	v_cmp_gt_i32_e32 vcc_lo, 16, v12
	v_min_i32_e32 v2, 15, v12
	v_cmp_eq_u32_e64 s14, 0, v12
	s_delay_alu instid0(VALU_DEP_2) | instskip(SKIP_1) | instid1(VALU_DEP_2)
	v_dual_cndmask_b32 v9, 0, v9 :: v_dual_lshlrev_b32 v2, 3, v2
	v_cndmask_b32_e32 v8, 7, v8, vcc_lo
	v_and_b32_e32 v2, 0xf8, v2
	s_delay_alu instid0(VALU_DEP_2) | instskip(NEXT) | instid1(VALU_DEP_2)
	v_cmp_eq_u64_e32 vcc_lo, 0, v[8:9]
	v_and_or_b32 v2, v8, 7, v2
	s_and_b32 s14, s14, vcc_lo
	s_delay_alu instid0(VALU_DEP_1) | instid1(SALU_CYCLE_1)
	v_cndmask_b32_e64 v2, v2, 0, s14
	s_delay_alu instid0(VALU_DEP_1)
	v_or_b32_e32 v26, v2, v27
.LBB4_4014:                             ;   in Loop: Header=BB4_3674 Depth=3
	s_or_b32 exec_lo, exec_lo, s45
                                        ; implicit-def: $vgpr27
.LBB4_4015:                             ;   in Loop: Header=BB4_3674 Depth=3
	s_and_not1_saveexec_b32 s14, s44
; %bb.4016:                             ;   in Loop: Header=BB4_3674 Depth=3
	v_or_b32_e32 v26, 0x7e, v27
; %bb.4017:                             ;   in Loop: Header=BB4_3674 Depth=3
	s_or_b32 exec_lo, exec_lo, s14
                                        ; implicit-def: $vgpr9
.LBB4_4018:                             ;   in Loop: Header=BB4_3674 Depth=3
	s_and_not1_saveexec_b32 s14, s15
; %bb.4019:                             ;   in Loop: Header=BB4_3674 Depth=3
	v_or_b32_e32 v26, 0x7f, v9
; %bb.4020:                             ;   in Loop: Header=BB4_3674 Depth=3
	s_or_b32 exec_lo, exec_lo, s14
	v_mov_b32_e32 v8, 0
	s_mov_b32 s14, exec_lo
	v_cmpx_lt_u32_e32 0xffffff, v14
	s_cbranch_execz .LBB4_4028
; %bb.4021:                             ;   in Loop: Header=BB4_3674 Depth=3
	v_lshrrev_b32_e32 v12, 24, v14
	v_bfrev_b32_e32 v8, 1
	s_mov_b32 s15, exec_lo
	s_delay_alu instid0(VALU_DEP_2)
	v_cmpx_ne_u32_e32 0x80, v12
	s_cbranch_execz .LBB4_4027
; %bb.4022:                             ;   in Loop: Header=BB4_3674 Depth=3
	v_bfe_u32 v9, v14, 24, 7
	v_mov_b32_e32 v8, 0x7f800001
	s_mov_b32 s44, exec_lo
	s_delay_alu instid0(VALU_DEP_2)
	v_cmpx_ne_u32_e32 0x7f, v9
	s_cbranch_execz .LBB4_4026
; %bb.4023:                             ;   in Loop: Header=BB4_3674 Depth=3
	v_dual_lshrrev_b32 v13, 3, v9 :: v_dual_bitop2_b32 v2, 7, v12 bitop3:0x40
	v_cmp_gt_u32_e32 vcc_lo, 8, v9
	s_delay_alu instid0(VALU_DEP_2)
	v_mov_b64_e32 v[8:9], v[2:3]
	s_and_saveexec_b32 s45, vcc_lo
; %bb.4024:                             ;   in Loop: Header=BB4_3674 Depth=3
	v_clz_i32_u32_e32 v8, v2
	s_delay_alu instid0(VALU_DEP_1) | instskip(NEXT) | instid1(VALU_DEP_1)
	v_min_u32_e32 v13, 32, v8
	v_subrev_nc_u32_e32 v8, 28, v13
	s_delay_alu instid0(VALU_DEP_1) | instskip(NEXT) | instid1(VALU_DEP_1)
	v_lshlrev_b64_e32 v[8:9], v8, v[2:3]
	v_dual_sub_nc_u32 v13, 29, v13 :: v_dual_bitop2_b32 v8, 7, v8 bitop3:0x40
; %bb.4025:                             ;   in Loop: Header=BB4_3674 Depth=3
	s_or_b32 exec_lo, exec_lo, s45
	v_lshlrev_b32_e32 v2, 24, v12
	s_delay_alu instid0(VALU_DEP_2) | instskip(NEXT) | instid1(VALU_DEP_3)
	v_lshlrev_b32_e32 v8, 20, v8
	v_lshl_add_u32 v9, v13, 23, 0x3c000000
	s_delay_alu instid0(VALU_DEP_3) | instskip(NEXT) | instid1(VALU_DEP_1)
	v_and_b32_e32 v2, 0x80000000, v2
	v_or3_b32 v8, v8, v2, v9
.LBB4_4026:                             ;   in Loop: Header=BB4_3674 Depth=3
	s_or_b32 exec_lo, exec_lo, s44
.LBB4_4027:                             ;   in Loop: Header=BB4_3674 Depth=3
	s_delay_alu instid0(SALU_CYCLE_1)
	s_or_b32 exec_lo, exec_lo, s15
.LBB4_4028:                             ;   in Loop: Header=BB4_3674 Depth=3
	s_delay_alu instid0(SALU_CYCLE_1) | instskip(SKIP_3) | instid1(VALU_DEP_3)
	s_or_b32 exec_lo, exec_lo, s14
	v_lshrrev_b32_e32 v2, 24, v10
	v_bfe_u32 v9, v10, 24, 7
	v_cmp_gt_u32_e64 s15, 0x1000000, v10
	v_cmp_eq_u32_e32 vcc_lo, 0x80, v2
	s_delay_alu instid0(VALU_DEP_3) | instskip(SKIP_2) | instid1(VALU_DEP_1)
	v_cmp_eq_u32_e64 s14, 0x7f, v9
	v_cndmask_b32_e32 v12, 0x7f800001, v91, vcc_lo
	s_or_b32 s14, vcc_lo, s14
	v_cndmask_b32_e64 v12, v12, 0, s15
	s_nor_b32 s15, s15, s14
	s_delay_alu instid0(SALU_CYCLE_1)
	s_and_saveexec_b32 s14, s15
	s_cbranch_execz .LBB4_4030
; %bb.4029:                             ;   in Loop: Header=BB4_3674 Depth=3
	v_and_b32_e32 v24, 7, v2
	v_cmp_gt_u32_e32 vcc_lo, 8, v9
	s_delay_alu instid0(VALU_DEP_2) | instskip(NEXT) | instid1(VALU_DEP_1)
	v_clz_i32_u32_e32 v12, v24
	v_min_u32_e32 v25, 32, v12
	s_delay_alu instid0(VALU_DEP_1) | instskip(NEXT) | instid1(VALU_DEP_1)
	v_subrev_nc_u32_e32 v12, 28, v25
	v_lshlrev_b64_e32 v[12:13], v12, v[2:3]
	v_lshrrev_b32_e32 v13, 3, v9
	v_dual_sub_nc_u32 v25, 29, v25 :: v_dual_lshlrev_b32 v2, 24, v2
	s_delay_alu instid0(VALU_DEP_1) | instskip(NEXT) | instid1(VALU_DEP_2)
	v_dual_cndmask_b32 v12, v13, v25, vcc_lo :: v_dual_bitop2_b32 v9, 7, v12 bitop3:0x40
	v_and_b32_e32 v2, 0x80000000, v2
	s_delay_alu instid0(VALU_DEP_2) | instskip(NEXT) | instid1(VALU_DEP_3)
	v_cndmask_b32_e32 v9, v24, v9, vcc_lo
	v_lshl_add_u32 v12, v12, 23, 0x3c000000
	s_delay_alu instid0(VALU_DEP_2) | instskip(NEXT) | instid1(VALU_DEP_1)
	v_lshlrev_b32_e32 v9, 20, v9
	v_or3_b32 v12, v9, v2, v12
.LBB4_4030:                             ;   in Loop: Header=BB4_3674 Depth=3
	s_or_b32 exec_lo, exec_lo, s14
	s_delay_alu instid0(VALU_DEP_1) | instskip(SKIP_1) | instid1(VALU_DEP_1)
	v_add_f32_e32 v8, v8, v12
                                        ; implicit-def: $vgpr27
	s_mov_b32 s14, exec_lo
	v_and_b32_e32 v2, 0x7f800000, v8
	v_lshrrev_b32_e32 v9, 24, v8
	s_delay_alu instid0(VALU_DEP_2)
	v_cmpx_ne_u64_e32 0x7f800000, v[2:3]
	s_xor_b32 s15, exec_lo, s14
	s_cbranch_execz .LBB4_4044
; %bb.4031:                             ;   in Loop: Header=BB4_3674 Depth=3
	v_and_b32_e32 v2, 0x7fffffff, v8
	v_and_b32_e32 v28, 0x80, v9
                                        ; implicit-def: $vgpr27
	s_mov_b32 s14, exec_lo
	s_delay_alu instid0(VALU_DEP_2)
	v_cmpx_gt_u64_e32 0x43e00001, v[2:3]
	s_xor_b32 s44, exec_lo, s14
	s_cbranch_execz .LBB4_4041
; %bb.4032:                             ;   in Loop: Header=BB4_3674 Depth=3
	v_mov_b32_e32 v27, 0
	s_mov_b32 s45, exec_lo
	v_cmpx_ne_u32_e32 0, v8
	s_cbranch_execz .LBB4_4040
; %bb.4033:                             ;   in Loop: Header=BB4_3674 Depth=3
	v_bfe_u32 v24, v8, 23, 8
	s_delay_alu instid0(VALU_DEP_1) | instskip(SKIP_1) | instid1(VALU_DEP_2)
	v_sub_nc_u32_e32 v2, 0x79, v24
	v_cmp_gt_u32_e32 vcc_lo, 0x7a, v24
	v_cndmask_b32_e32 v2, 0, v2, vcc_lo
	v_cmp_eq_u32_e32 vcc_lo, 0, v24
	s_delay_alu instid0(VALU_DEP_2) | instskip(SKIP_1) | instid1(VALU_DEP_2)
	v_cndmask_b32_e64 v25, v2, 0x78, vcc_lo
	v_and_b32_e32 v2, 0x7fffff, v8
	v_add_nc_u32_e32 v8, 20, v25
	s_delay_alu instid0(VALU_DEP_2) | instskip(SKIP_1) | instid1(VALU_DEP_3)
	v_or_b32_e32 v12, 0x800000, v2
	v_add_nc_u32_e32 v13, 19, v25
	v_lshlrev_b64_e64 v[8:9], v8, -1
	s_delay_alu instid0(VALU_DEP_3) | instskip(NEXT) | instid1(VALU_DEP_3)
	v_cndmask_b32_e32 v2, v12, v2, vcc_lo
	v_lshlrev_b64_e64 v[12:13], v13, 1
	s_delay_alu instid0(VALU_DEP_3) | instskip(NEXT) | instid1(VALU_DEP_3)
	v_bfi_b32 v69, v9, 0, 0
	v_bfi_b32 v68, v8, 0, v2
	v_lshrrev_b64 v[8:9], v25, v[2:3]
	s_delay_alu instid0(VALU_DEP_2) | instskip(NEXT) | instid1(VALU_DEP_2)
	v_cmp_eq_u64_e64 s14, v[68:69], v[12:13]
	v_mov_b64_e32 v[12:13], v[8:9]
	s_and_saveexec_b32 s77, s14
; %bb.4034:                             ;   in Loop: Header=BB4_3674 Depth=3
	v_bfe_u32 v2, v8, 20, 1
	s_delay_alu instid0(VALU_DEP_1) | instskip(NEXT) | instid1(VALU_DEP_1)
	v_add_nc_u64_e32 v[12:13], v[8:9], v[2:3]
	v_add_nc_u64_e32 v[12:13], -1, v[12:13]
; %bb.4035:                             ;   in Loop: Header=BB4_3674 Depth=3
	s_or_b32 exec_lo, exec_lo, s77
	v_add_nc_u32_e32 v2, 0xffffff81, v24
	v_lshrrev_b32_e32 v9, 23, v8
	s_mov_b32 s14, exec_lo
	s_delay_alu instid0(VALU_DEP_2) | instskip(NEXT) | instid1(VALU_DEP_1)
	v_cndmask_b32_e64 v2, v2, 0xffffff82, vcc_lo
	v_add3_u32 v13, v25, v2, v9
	v_and_b32_e32 v2, 0xfffff, v12
                                        ; implicit-def: $vgpr12
	s_delay_alu instid0(VALU_DEP_1) | instskip(NEXT) | instid1(VALU_DEP_1)
	v_dual_add_nc_u32 v24, 6, v13 :: v_dual_add_nc_u32 v2, v2, v8
                                        ; implicit-def: $vgpr8_vgpr9
	v_cmpx_ne_u32_e32 0, v24
	s_xor_b32 s14, exec_lo, s14
; %bb.4036:                             ;   in Loop: Header=BB4_3674 Depth=3
	s_delay_alu instid0(VALU_DEP_2) | instskip(SKIP_1) | instid1(VALU_DEP_1)
	v_cmp_lt_u64_e32 vcc_lo, 0xffffff, v[2:3]
	v_add_nc_u32_e32 v8, 7, v13
	v_cndmask_b32_e32 v12, v24, v8, vcc_lo
	v_cndmask_b32_e64 v8, 0, 1, vcc_lo
	s_delay_alu instid0(VALU_DEP_1)
	v_lshrrev_b64 v[8:9], v8, v[2:3]
; %bb.4037:                             ;   in Loop: Header=BB4_3674 Depth=3
	s_and_not1_saveexec_b32 s14, s14
; %bb.4038:                             ;   in Loop: Header=BB4_3674 Depth=3
	v_mov_b64_e32 v[8:9], v[2:3]
	v_bfe_u32 v12, v2, 23, 1
; %bb.4039:                             ;   in Loop: Header=BB4_3674 Depth=3
	s_or_b32 exec_lo, exec_lo, s14
	s_delay_alu instid0(VALU_DEP_2) | instskip(NEXT) | instid1(VALU_DEP_2)
	v_lshrrev_b64 v[8:9], 20, v[8:9]
	v_cmp_gt_i32_e32 vcc_lo, 16, v12
	v_min_i32_e32 v2, 15, v12
	v_cmp_eq_u32_e64 s14, 0, v12
	s_delay_alu instid0(VALU_DEP_2) | instskip(SKIP_1) | instid1(VALU_DEP_2)
	v_dual_cndmask_b32 v9, 0, v9 :: v_dual_lshlrev_b32 v2, 3, v2
	v_cndmask_b32_e32 v8, 7, v8, vcc_lo
	v_and_b32_e32 v2, 0xf8, v2
	s_delay_alu instid0(VALU_DEP_2) | instskip(NEXT) | instid1(VALU_DEP_2)
	v_cmp_eq_u64_e32 vcc_lo, 0, v[8:9]
	v_and_or_b32 v2, v8, 7, v2
	s_and_b32 s14, s14, vcc_lo
	s_delay_alu instid0(VALU_DEP_1) | instid1(SALU_CYCLE_1)
	v_cndmask_b32_e64 v2, v2, 0, s14
	s_delay_alu instid0(VALU_DEP_1)
	v_or_b32_e32 v27, v2, v28
.LBB4_4040:                             ;   in Loop: Header=BB4_3674 Depth=3
	s_or_b32 exec_lo, exec_lo, s45
                                        ; implicit-def: $vgpr28
.LBB4_4041:                             ;   in Loop: Header=BB4_3674 Depth=3
	s_and_not1_saveexec_b32 s14, s44
; %bb.4042:                             ;   in Loop: Header=BB4_3674 Depth=3
	v_or_b32_e32 v27, 0x7e, v28
; %bb.4043:                             ;   in Loop: Header=BB4_3674 Depth=3
	s_or_b32 exec_lo, exec_lo, s14
                                        ; implicit-def: $vgpr9
.LBB4_4044:                             ;   in Loop: Header=BB4_3674 Depth=3
	s_and_not1_saveexec_b32 s14, s15
; %bb.4045:                             ;   in Loop: Header=BB4_3674 Depth=3
	v_or_b32_e32 v27, 0x7f, v9
; %bb.4046:                             ;   in Loop: Header=BB4_3674 Depth=3
	s_or_b32 exec_lo, exec_lo, s14
	v_and_b32_e32 v8, 0xff, v15
	v_dual_mov_b32 v2, v15 :: v_dual_mov_b32 v12, 0
	s_mov_b32 s14, exec_lo
	s_delay_alu instid0(VALU_DEP_2)
	v_cmpx_ne_u16_e32 0, v8
	s_cbranch_execz .LBB4_4052
; %bb.4047:                             ;   in Loop: Header=BB4_3674 Depth=3
	v_bfrev_b32_e32 v12, 1
	s_mov_b32 s15, exec_lo
	v_cmpx_ne_u16_e32 0x80, v8
	s_cbranch_execz .LBB4_4051
; %bb.4048:                             ;   in Loop: Header=BB4_3674 Depth=3
	v_and_b32_e32 v8, 0x7f, v15
	v_mov_b32_e32 v12, 0x7f800001
	s_mov_b32 s44, exec_lo
	s_delay_alu instid0(VALU_DEP_2)
	v_cmpx_ne_u32_e32 0x7f, v8
	s_cbranch_execz .LBB4_4050
; %bb.4049:                             ;   in Loop: Header=BB4_3674 Depth=3
	v_dual_lshrrev_b32 v12, 3, v8 :: v_dual_bitop2_b32 v9, 7, v15 bitop3:0x40
	v_cmp_gt_u32_e32 vcc_lo, 8, v8
	s_delay_alu instid0(VALU_DEP_2) | instskip(NEXT) | instid1(VALU_DEP_1)
	v_clz_i32_u32_e32 v9, v9
	v_min_u32_e32 v9, 32, v9
	s_delay_alu instid0(VALU_DEP_1) | instskip(SKIP_1) | instid1(VALU_DEP_2)
	v_subrev_nc_u32_e32 v13, 28, v9
	v_sub_nc_u32_e32 v9, 29, v9
	v_cndmask_b32_e32 v8, 0, v13, vcc_lo
	s_delay_alu instid0(VALU_DEP_2) | instskip(NEXT) | instid1(VALU_DEP_2)
	v_cndmask_b32_e32 v12, v12, v9, vcc_lo
	v_lshlrev_b64_e32 v[8:9], v8, v[2:3]
	v_lshlrev_b32_e32 v9, 24, v2
	s_delay_alu instid0(VALU_DEP_3) | instskip(NEXT) | instid1(VALU_DEP_2)
	v_lshl_add_u32 v12, v12, 23, 0x3c000000
	v_and_b32_e32 v9, 0x80000000, v9
	s_delay_alu instid0(VALU_DEP_4) | instskip(NEXT) | instid1(VALU_DEP_1)
	v_lshlrev_b32_e32 v8, 20, v8
	v_and_b32_e32 v8, 0x700000, v8
	s_delay_alu instid0(VALU_DEP_1)
	v_or3_b32 v12, v8, v9, v12
.LBB4_4050:                             ;   in Loop: Header=BB4_3674 Depth=3
	s_or_b32 exec_lo, exec_lo, s44
.LBB4_4051:                             ;   in Loop: Header=BB4_3674 Depth=3
	s_delay_alu instid0(SALU_CYCLE_1)
	s_or_b32 exec_lo, exec_lo, s15
.LBB4_4052:                             ;   in Loop: Header=BB4_3674 Depth=3
	s_delay_alu instid0(SALU_CYCLE_1) | instskip(SKIP_4) | instid1(VALU_DEP_2)
	s_or_b32 exec_lo, exec_lo, s14
	v_and_b32_e32 v9, 0xff, v11
	v_mov_b32_e32 v8, v11
	s_mov_b32 s14, 0
	s_mov_b32 s15, exec_lo
	v_cmpx_lt_i16_e32 0x7f, v9
	s_xor_b32 s15, exec_lo, s15
	s_cbranch_execz .LBB4_4087
; %bb.4053:                             ;   in Loop: Header=BB4_3674 Depth=3
	s_mov_b32 s14, -1
	s_mov_b32 s44, exec_lo
	v_cmpx_eq_u16_e32 0x80, v9
; %bb.4054:                             ;   in Loop: Header=BB4_3674 Depth=3
	s_xor_b32 s14, exec_lo, -1
; %bb.4055:                             ;   in Loop: Header=BB4_3674 Depth=3
	s_or_b32 exec_lo, exec_lo, s44
	s_delay_alu instid0(SALU_CYCLE_1)
	s_and_b32 s14, s14, exec_lo
                                        ; implicit-def: $vgpr9
	s_or_saveexec_b32 s15, s15
	v_bfrev_b32_e32 v13, 1
	s_xor_b32 exec_lo, exec_lo, s15
	s_cbranch_execnz .LBB4_4088
.LBB4_4056:                             ;   in Loop: Header=BB4_3674 Depth=3
	s_or_b32 exec_lo, exec_lo, s15
	v_mov_b32_e32 v9, v3
	s_and_saveexec_b32 s15, s14
	s_cbranch_execz .LBB4_4058
.LBB4_4057:                             ;   in Loop: Header=BB4_3674 Depth=3
	v_and_b32_e32 v28, 0x7f, v11
	v_bfe_u32 v24, v11, 3, 4
	s_delay_alu instid0(VALU_DEP_2) | instskip(SKIP_1) | instid1(VALU_DEP_1)
	v_cmp_gt_u32_e32 vcc_lo, 8, v28
	v_and_b32_e32 v13, 7, v11
	v_clz_i32_u32_e32 v13, v13
	s_delay_alu instid0(VALU_DEP_1) | instskip(NEXT) | instid1(VALU_DEP_1)
	v_min_u32_e32 v13, 32, v13
	v_subrev_nc_u32_e32 v25, 28, v13
	v_sub_nc_u32_e32 v13, 29, v13
	s_delay_alu instid0(VALU_DEP_1) | instskip(NEXT) | instid1(VALU_DEP_3)
	v_cndmask_b32_e32 v13, v24, v13, vcc_lo
	v_cndmask_b32_e32 v24, 0, v25, vcc_lo
	v_cmp_ne_u32_e32 vcc_lo, 0x7f, v28
	s_delay_alu instid0(VALU_DEP_2) | instskip(SKIP_1) | instid1(VALU_DEP_1)
	v_lshlrev_b64_e32 v[24:25], v24, v[8:9]
	v_lshlrev_b32_e32 v9, 24, v8
	v_and_b32_e32 v9, 0x80000000, v9
	s_delay_alu instid0(VALU_DEP_3) | instskip(SKIP_1) | instid1(VALU_DEP_2)
	v_lshlrev_b32_e32 v24, 20, v24
	v_lshl_add_u32 v13, v13, 23, 0x3c000000
	v_and_b32_e32 v24, 0x700000, v24
	s_delay_alu instid0(VALU_DEP_1) | instskip(NEXT) | instid1(VALU_DEP_1)
	v_or3_b32 v9, v24, v9, v13
	v_cndmask_b32_e32 v13, 0x7f800001, v9, vcc_lo
.LBB4_4058:                             ;   in Loop: Header=BB4_3674 Depth=3
	s_or_b32 exec_lo, exec_lo, s15
	s_delay_alu instid0(VALU_DEP_1) | instskip(SKIP_1) | instid1(VALU_DEP_1)
	v_dual_add_f32 v12, v12, v13 :: v_dual_mov_b32 v25, v3
                                        ; implicit-def: $vgpr60
	s_mov_b32 s14, exec_lo
	v_and_b32_e32 v24, 0x7f800000, v12
	v_lshrrev_b32_e32 v9, 24, v12
	s_delay_alu instid0(VALU_DEP_2)
	v_cmpx_ne_u64_e32 0x7f800000, v[24:25]
	s_xor_b32 s15, exec_lo, s14
	s_cbranch_execz .LBB4_4072
; %bb.4059:                             ;   in Loop: Header=BB4_3674 Depth=3
	v_and_b32_e32 v24, 0x7fffffff, v12
	v_mov_b32_e32 v25, v3
	v_and_b32_e32 v9, 0x80, v9
                                        ; implicit-def: $vgpr60
	s_mov_b32 s14, exec_lo
	s_delay_alu instid0(VALU_DEP_2)
	v_cmpx_gt_u64_e32 0x43e00001, v[24:25]
	s_xor_b32 s44, exec_lo, s14
	s_cbranch_execz .LBB4_4069
; %bb.4060:                             ;   in Loop: Header=BB4_3674 Depth=3
	v_mov_b32_e32 v60, 0
	s_mov_b32 s45, exec_lo
	v_cmpx_ne_u32_e32 0, v12
	s_cbranch_execz .LBB4_4068
; %bb.4061:                             ;   in Loop: Header=BB4_3674 Depth=3
	v_bfe_u32 v24, v12, 23, 8
	v_and_b32_e32 v28, 0x7fffff, v12
	s_delay_alu instid0(VALU_DEP_2) | instskip(SKIP_1) | instid1(VALU_DEP_3)
	v_sub_nc_u32_e32 v13, 0x79, v24
	v_cmp_gt_u32_e32 vcc_lo, 0x7a, v24
	v_or_b32_e32 v29, 0x800000, v28
	s_delay_alu instid0(VALU_DEP_3) | instskip(SKIP_1) | instid1(VALU_DEP_3)
	v_cndmask_b32_e32 v13, 0, v13, vcc_lo
	v_cmp_eq_u32_e32 vcc_lo, 0, v24
	v_cndmask_b32_e32 v28, v29, v28, vcc_lo
	s_delay_alu instid0(VALU_DEP_3) | instskip(NEXT) | instid1(VALU_DEP_1)
	v_cndmask_b32_e64 v25, v13, 0x78, vcc_lo
	v_dual_mov_b32 v29, v3 :: v_dual_add_nc_u32 v12, 20, v25
	v_add_nc_u32_e32 v68, 19, v25
	s_delay_alu instid0(VALU_DEP_2) | instskip(NEXT) | instid1(VALU_DEP_2)
	v_lshlrev_b64_e64 v[12:13], v12, -1
	v_lshlrev_b64_e64 v[68:69], v68, 1
	s_delay_alu instid0(VALU_DEP_2) | instskip(NEXT) | instid1(VALU_DEP_3)
	v_bfi_b32 v61, v13, 0, 0
	v_bfi_b32 v60, v12, 0, v28
	v_lshrrev_b64 v[12:13], v25, v[28:29]
	s_delay_alu instid0(VALU_DEP_2) | instskip(NEXT) | instid1(VALU_DEP_2)
	v_cmp_eq_u64_e64 s14, v[60:61], v[68:69]
	v_mov_b64_e32 v[60:61], v[12:13]
	s_and_saveexec_b32 s77, s14
; %bb.4062:                             ;   in Loop: Header=BB4_3674 Depth=3
	v_bfe_u32 v28, v12, 20, 1
	v_mov_b32_e32 v29, v3
	s_delay_alu instid0(VALU_DEP_1) | instskip(NEXT) | instid1(VALU_DEP_1)
	v_add_nc_u64_e32 v[28:29], v[12:13], v[28:29]
	v_add_nc_u64_e32 v[60:61], -1, v[28:29]
; %bb.4063:                             ;   in Loop: Header=BB4_3674 Depth=3
	s_or_b32 exec_lo, exec_lo, s77
	v_add_nc_u32_e32 v13, 0xffffff81, v24
	v_lshrrev_b32_e32 v24, 23, v12
	s_mov_b32 s14, exec_lo
	s_delay_alu instid0(VALU_DEP_2) | instskip(NEXT) | instid1(VALU_DEP_1)
	v_cndmask_b32_e64 v13, v13, 0xffffff82, vcc_lo
	v_add3_u32 v25, v25, v13, v24
	v_and_b32_e32 v13, 0xfffff, v60
                                        ; implicit-def: $vgpr24
	s_delay_alu instid0(VALU_DEP_1) | instskip(SKIP_1) | instid1(VALU_DEP_2)
	v_dual_add_nc_u32 v28, 6, v25 :: v_dual_add_nc_u32 v12, v13, v12
	v_mov_b32_e32 v13, v3
	v_cmpx_ne_u32_e32 0, v28
	s_xor_b32 s14, exec_lo, s14
; %bb.4064:                             ;   in Loop: Header=BB4_3674 Depth=3
	s_delay_alu instid0(VALU_DEP_2) | instskip(SKIP_2) | instid1(VALU_DEP_2)
	v_cmp_lt_u64_e32 vcc_lo, 0xffffff, v[12:13]
	v_add_nc_u32_e32 v24, 7, v25
	v_cndmask_b32_e64 v25, 0, 1, vcc_lo
	v_cndmask_b32_e32 v24, v28, v24, vcc_lo
	s_delay_alu instid0(VALU_DEP_2)
	v_lshrrev_b64 v[12:13], v25, v[12:13]
; %bb.4065:                             ;   in Loop: Header=BB4_3674 Depth=3
	s_and_not1_saveexec_b32 s14, s14
; %bb.4066:                             ;   in Loop: Header=BB4_3674 Depth=3
	s_delay_alu instid0(VALU_DEP_1)
	v_bfe_u32 v24, v12, 23, 1
; %bb.4067:                             ;   in Loop: Header=BB4_3674 Depth=3
	s_or_b32 exec_lo, exec_lo, s14
	s_delay_alu instid0(VALU_DEP_2) | instskip(NEXT) | instid1(VALU_DEP_2)
	v_lshrrev_b64 v[12:13], 20, v[12:13]
	v_cmp_gt_i32_e32 vcc_lo, 16, v24
	v_min_i32_e32 v25, 15, v24
	v_cmp_eq_u32_e64 s14, 0, v24
	s_delay_alu instid0(VALU_DEP_4) | instskip(NEXT) | instid1(VALU_DEP_3)
	v_cndmask_b32_e32 v13, 0, v13, vcc_lo
	v_dual_cndmask_b32 v12, 7, v12 :: v_dual_lshlrev_b32 v25, 3, v25
	s_delay_alu instid0(VALU_DEP_1) | instskip(NEXT) | instid1(VALU_DEP_2)
	v_and_b32_e32 v25, 0xf8, v25
	v_cmp_eq_u64_e32 vcc_lo, 0, v[12:13]
	s_delay_alu instid0(VALU_DEP_2)
	v_and_or_b32 v12, v12, 7, v25
	s_and_b32 s14, s14, vcc_lo
	s_delay_alu instid0(VALU_DEP_1) | instid1(SALU_CYCLE_1)
	v_cndmask_b32_e64 v12, v12, 0, s14
	s_delay_alu instid0(VALU_DEP_1)
	v_or_b32_e32 v60, v12, v9
.LBB4_4068:                             ;   in Loop: Header=BB4_3674 Depth=3
	s_or_b32 exec_lo, exec_lo, s45
                                        ; implicit-def: $vgpr9
.LBB4_4069:                             ;   in Loop: Header=BB4_3674 Depth=3
	s_and_not1_saveexec_b32 s14, s44
; %bb.4070:                             ;   in Loop: Header=BB4_3674 Depth=3
	v_or_b32_e32 v60, 0x7e, v9
; %bb.4071:                             ;   in Loop: Header=BB4_3674 Depth=3
	s_or_b32 exec_lo, exec_lo, s14
                                        ; implicit-def: $vgpr9
.LBB4_4072:                             ;   in Loop: Header=BB4_3674 Depth=3
	s_and_not1_saveexec_b32 s14, s15
; %bb.4073:                             ;   in Loop: Header=BB4_3674 Depth=3
	v_or_b32_e32 v60, 0x7f, v9
; %bb.4074:                             ;   in Loop: Header=BB4_3674 Depth=3
	s_or_b32 exec_lo, exec_lo, s14
	v_lshrrev_b16 v12, 8, v2
	v_mov_b32_e32 v9, 0
	s_mov_b32 s14, exec_lo
	s_delay_alu instid0(VALU_DEP_2)
	v_cmpx_ne_u16_e32 0, v12
	s_cbranch_execz .LBB4_4082
; %bb.4075:                             ;   in Loop: Header=BB4_3674 Depth=3
	v_bfrev_b32_e32 v9, 1
	s_mov_b32 s15, exec_lo
	v_cmpx_ne_u16_e32 0x80, v12
	s_cbranch_execz .LBB4_4081
; %bb.4076:                             ;   in Loop: Header=BB4_3674 Depth=3
	v_and_b32_e32 v12, 0xffff, v12
	v_mov_b32_e32 v9, 0x7f800001
	s_mov_b32 s44, exec_lo
	s_delay_alu instid0(VALU_DEP_2) | instskip(NEXT) | instid1(VALU_DEP_1)
	v_and_b32_e32 v24, 0x7f, v12
	v_cmpx_ne_u32_e32 0x7f, v24
	s_cbranch_execz .LBB4_4080
; %bb.4077:                             ;   in Loop: Header=BB4_3674 Depth=3
	v_dual_mov_b32 v13, v3 :: v_dual_bitop2_b32 v12, 7, v12 bitop3:0x40
	v_lshrrev_b32_e32 v9, 3, v24
	s_mov_b32 s45, exec_lo
	v_cmpx_gt_u32_e32 8, v24
; %bb.4078:                             ;   in Loop: Header=BB4_3674 Depth=3
	s_delay_alu instid0(VALU_DEP_3) | instskip(NEXT) | instid1(VALU_DEP_1)
	v_clz_i32_u32_e32 v9, v12
	v_min_u32_e32 v9, 32, v9
	s_delay_alu instid0(VALU_DEP_1) | instskip(NEXT) | instid1(VALU_DEP_1)
	v_subrev_nc_u32_e32 v24, 28, v9
	v_lshlrev_b64_e32 v[12:13], v24, v[12:13]
	s_delay_alu instid0(VALU_DEP_1)
	v_dual_sub_nc_u32 v9, 29, v9 :: v_dual_bitop2_b32 v12, 7, v12 bitop3:0x40
; %bb.4079:                             ;   in Loop: Header=BB4_3674 Depth=3
	s_or_b32 exec_lo, exec_lo, s45
	s_delay_alu instid0(VALU_DEP_1) | instskip(NEXT) | instid1(VALU_DEP_2)
	v_dual_lshlrev_b32 v2, 16, v2 :: v_dual_lshlrev_b32 v12, 20, v12
	v_lshl_add_u32 v9, v9, 23, 0x3c000000
	s_delay_alu instid0(VALU_DEP_2) | instskip(NEXT) | instid1(VALU_DEP_1)
	v_and_b32_e32 v2, 0x80000000, v2
	v_or3_b32 v9, v12, v2, v9
.LBB4_4080:                             ;   in Loop: Header=BB4_3674 Depth=3
	s_or_b32 exec_lo, exec_lo, s44
.LBB4_4081:                             ;   in Loop: Header=BB4_3674 Depth=3
	s_delay_alu instid0(SALU_CYCLE_1)
	s_or_b32 exec_lo, exec_lo, s15
.LBB4_4082:                             ;   in Loop: Header=BB4_3674 Depth=3
	s_delay_alu instid0(SALU_CYCLE_1) | instskip(SKIP_3) | instid1(VALU_DEP_1)
	s_or_b32 exec_lo, exec_lo, s14
	v_lshrrev_b16 v8, 8, v8
	s_mov_b32 s15, 0
	s_mov_b32 s14, exec_lo
	v_cmpx_lt_i16_e32 0x7f, v8
	s_xor_b32 s14, exec_lo, s14
	s_cbranch_execz .LBB4_4089
; %bb.4083:                             ;   in Loop: Header=BB4_3674 Depth=3
	s_mov_b32 s15, -1
	s_mov_b32 s44, exec_lo
	v_cmpx_eq_u16_e32 0x80, v8
; %bb.4084:                             ;   in Loop: Header=BB4_3674 Depth=3
	s_xor_b32 s15, exec_lo, -1
; %bb.4085:                             ;   in Loop: Header=BB4_3674 Depth=3
	s_or_b32 exec_lo, exec_lo, s44
	s_delay_alu instid0(SALU_CYCLE_1)
	s_and_b32 s15, s15, exec_lo
	s_or_saveexec_b32 s14, s14
	v_bfrev_b32_e32 v12, 1
	s_xor_b32 exec_lo, exec_lo, s14
	s_cbranch_execnz .LBB4_4090
.LBB4_4086:                             ;   in Loop: Header=BB4_3674 Depth=3
	s_or_b32 exec_lo, exec_lo, s14
	s_and_saveexec_b32 s14, s15
	s_cbranch_execnz .LBB4_4091
	s_branch .LBB4_4094
.LBB4_4087:                             ;   in Loop: Header=BB4_3674 Depth=3
	s_or_saveexec_b32 s15, s15
	v_bfrev_b32_e32 v13, 1
	s_xor_b32 exec_lo, exec_lo, s15
	s_cbranch_execz .LBB4_4056
.LBB4_4088:                             ;   in Loop: Header=BB4_3674 Depth=3
	v_cmp_ne_u16_e32 vcc_lo, 0, v9
	v_mov_b32_e32 v13, 0
	s_and_not1_b32 s14, s14, exec_lo
	s_and_b32 s44, vcc_lo, exec_lo
	s_delay_alu instid0(SALU_CYCLE_1)
	s_or_b32 s14, s14, s44
	s_or_b32 exec_lo, exec_lo, s15
	v_mov_b32_e32 v9, v3
	s_and_saveexec_b32 s15, s14
	s_cbranch_execnz .LBB4_4057
	s_branch .LBB4_4058
.LBB4_4089:                             ;   in Loop: Header=BB4_3674 Depth=3
	s_or_saveexec_b32 s14, s14
	v_bfrev_b32_e32 v12, 1
	s_xor_b32 exec_lo, exec_lo, s14
	s_cbranch_execz .LBB4_4086
.LBB4_4090:                             ;   in Loop: Header=BB4_3674 Depth=3
	v_cmp_ne_u16_e32 vcc_lo, 0, v8
	v_mov_b32_e32 v12, 0
	s_and_not1_b32 s15, s15, exec_lo
	s_and_b32 s44, vcc_lo, exec_lo
	s_delay_alu instid0(SALU_CYCLE_1)
	s_or_b32 s15, s15, s44
	s_or_b32 exec_lo, exec_lo, s14
	s_and_saveexec_b32 s14, s15
	s_cbranch_execz .LBB4_4094
.LBB4_4091:                             ;   in Loop: Header=BB4_3674 Depth=3
	v_and_b32_e32 v2, 0xffff, v8
	v_mov_b32_e32 v12, 0x7f800001
	s_mov_b32 s15, exec_lo
	s_delay_alu instid0(VALU_DEP_2) | instskip(NEXT) | instid1(VALU_DEP_1)
	v_and_b32_e32 v13, 0x7f, v2
	v_cmpx_ne_u32_e32 0x7f, v13
	s_cbranch_execz .LBB4_4093
; %bb.4092:                             ;   in Loop: Header=BB4_3674 Depth=3
	v_and_b32_e32 v12, 7, v2
	v_cmp_gt_u32_e32 vcc_lo, 8, v13
	v_lshlrev_b32_e32 v8, 24, v8
	s_delay_alu instid0(VALU_DEP_3) | instskip(NEXT) | instid1(VALU_DEP_2)
	v_clz_i32_u32_e32 v24, v12
	v_and_b32_e32 v8, 0x80000000, v8
	s_delay_alu instid0(VALU_DEP_2) | instskip(NEXT) | instid1(VALU_DEP_1)
	v_min_u32_e32 v28, 32, v24
	v_subrev_nc_u32_e32 v24, 28, v28
	s_delay_alu instid0(VALU_DEP_1) | instskip(NEXT) | instid1(VALU_DEP_1)
	v_lshlrev_b64_e32 v[24:25], v24, v[2:3]
	v_dual_lshrrev_b32 v2, 3, v13 :: v_dual_bitop2_b32 v13, 7, v24 bitop3:0x40
	s_delay_alu instid0(VALU_DEP_1) | instskip(NEXT) | instid1(VALU_DEP_1)
	v_dual_cndmask_b32 v12, v12, v13 :: v_dual_sub_nc_u32 v25, 29, v28
	v_dual_cndmask_b32 v2, v2, v25, vcc_lo :: v_dual_lshlrev_b32 v12, 20, v12
	s_delay_alu instid0(VALU_DEP_1) | instskip(NEXT) | instid1(VALU_DEP_1)
	v_lshl_add_u32 v2, v2, 23, 0x3c000000
	v_or3_b32 v12, v12, v8, v2
.LBB4_4093:                             ;   in Loop: Header=BB4_3674 Depth=3
	s_or_b32 exec_lo, exec_lo, s15
.LBB4_4094:                             ;   in Loop: Header=BB4_3674 Depth=3
	s_delay_alu instid0(SALU_CYCLE_1) | instskip(NEXT) | instid1(VALU_DEP_1)
	s_or_b32 exec_lo, exec_lo, s14
	v_add_f32_e32 v8, v9, v12
                                        ; implicit-def: $vgpr28
	s_mov_b32 s14, exec_lo
	s_delay_alu instid0(VALU_DEP_1) | instskip(SKIP_1) | instid1(VALU_DEP_2)
	v_and_b32_e32 v2, 0x7f800000, v8
	v_lshrrev_b32_e32 v9, 24, v8
	v_cmpx_ne_u64_e32 0x7f800000, v[2:3]
	s_xor_b32 s15, exec_lo, s14
	s_cbranch_execz .LBB4_4108
; %bb.4095:                             ;   in Loop: Header=BB4_3674 Depth=3
	v_and_b32_e32 v2, 0x7fffffff, v8
	v_and_b32_e32 v29, 0x80, v9
                                        ; implicit-def: $vgpr28
	s_mov_b32 s14, exec_lo
	s_delay_alu instid0(VALU_DEP_2)
	v_cmpx_gt_u64_e32 0x43e00001, v[2:3]
	s_xor_b32 s44, exec_lo, s14
	s_cbranch_execz .LBB4_4105
; %bb.4096:                             ;   in Loop: Header=BB4_3674 Depth=3
	v_mov_b32_e32 v28, 0
	s_mov_b32 s45, exec_lo
	v_cmpx_ne_u32_e32 0, v8
	s_cbranch_execz .LBB4_4104
; %bb.4097:                             ;   in Loop: Header=BB4_3674 Depth=3
	v_bfe_u32 v24, v8, 23, 8
	s_delay_alu instid0(VALU_DEP_1) | instskip(SKIP_1) | instid1(VALU_DEP_2)
	v_sub_nc_u32_e32 v2, 0x79, v24
	v_cmp_gt_u32_e32 vcc_lo, 0x7a, v24
	v_cndmask_b32_e32 v2, 0, v2, vcc_lo
	v_cmp_eq_u32_e32 vcc_lo, 0, v24
	s_delay_alu instid0(VALU_DEP_2) | instskip(SKIP_1) | instid1(VALU_DEP_2)
	v_cndmask_b32_e64 v25, v2, 0x78, vcc_lo
	v_and_b32_e32 v2, 0x7fffff, v8
	v_add_nc_u32_e32 v8, 20, v25
	s_delay_alu instid0(VALU_DEP_2) | instskip(SKIP_1) | instid1(VALU_DEP_3)
	v_or_b32_e32 v12, 0x800000, v2
	v_add_nc_u32_e32 v13, 19, v25
	v_lshlrev_b64_e64 v[8:9], v8, -1
	s_delay_alu instid0(VALU_DEP_3) | instskip(NEXT) | instid1(VALU_DEP_3)
	v_cndmask_b32_e32 v2, v12, v2, vcc_lo
	v_lshlrev_b64_e64 v[12:13], v13, 1
	s_delay_alu instid0(VALU_DEP_3) | instskip(NEXT) | instid1(VALU_DEP_3)
	v_bfi_b32 v69, v9, 0, 0
	v_bfi_b32 v68, v8, 0, v2
	v_lshrrev_b64 v[8:9], v25, v[2:3]
	s_delay_alu instid0(VALU_DEP_2) | instskip(NEXT) | instid1(VALU_DEP_2)
	v_cmp_eq_u64_e64 s14, v[68:69], v[12:13]
	v_mov_b64_e32 v[12:13], v[8:9]
	s_and_saveexec_b32 s77, s14
; %bb.4098:                             ;   in Loop: Header=BB4_3674 Depth=3
	v_bfe_u32 v2, v8, 20, 1
	s_delay_alu instid0(VALU_DEP_1) | instskip(NEXT) | instid1(VALU_DEP_1)
	v_add_nc_u64_e32 v[12:13], v[8:9], v[2:3]
	v_add_nc_u64_e32 v[12:13], -1, v[12:13]
; %bb.4099:                             ;   in Loop: Header=BB4_3674 Depth=3
	s_or_b32 exec_lo, exec_lo, s77
	v_add_nc_u32_e32 v2, 0xffffff81, v24
	v_lshrrev_b32_e32 v9, 23, v8
	s_mov_b32 s14, exec_lo
	s_delay_alu instid0(VALU_DEP_2) | instskip(NEXT) | instid1(VALU_DEP_1)
	v_cndmask_b32_e64 v2, v2, 0xffffff82, vcc_lo
	v_add3_u32 v13, v25, v2, v9
	v_and_b32_e32 v2, 0xfffff, v12
                                        ; implicit-def: $vgpr12
	s_delay_alu instid0(VALU_DEP_1) | instskip(NEXT) | instid1(VALU_DEP_1)
	v_dual_add_nc_u32 v24, 6, v13 :: v_dual_add_nc_u32 v2, v2, v8
                                        ; implicit-def: $vgpr8_vgpr9
	v_cmpx_ne_u32_e32 0, v24
	s_xor_b32 s14, exec_lo, s14
; %bb.4100:                             ;   in Loop: Header=BB4_3674 Depth=3
	s_delay_alu instid0(VALU_DEP_2) | instskip(SKIP_1) | instid1(VALU_DEP_1)
	v_cmp_lt_u64_e32 vcc_lo, 0xffffff, v[2:3]
	v_add_nc_u32_e32 v8, 7, v13
	v_cndmask_b32_e32 v12, v24, v8, vcc_lo
	v_cndmask_b32_e64 v8, 0, 1, vcc_lo
	s_delay_alu instid0(VALU_DEP_1)
	v_lshrrev_b64 v[8:9], v8, v[2:3]
; %bb.4101:                             ;   in Loop: Header=BB4_3674 Depth=3
	s_and_not1_saveexec_b32 s14, s14
; %bb.4102:                             ;   in Loop: Header=BB4_3674 Depth=3
	v_mov_b64_e32 v[8:9], v[2:3]
	v_bfe_u32 v12, v2, 23, 1
; %bb.4103:                             ;   in Loop: Header=BB4_3674 Depth=3
	s_or_b32 exec_lo, exec_lo, s14
	s_delay_alu instid0(VALU_DEP_2) | instskip(NEXT) | instid1(VALU_DEP_2)
	v_lshrrev_b64 v[8:9], 20, v[8:9]
	v_cmp_gt_i32_e32 vcc_lo, 16, v12
	v_min_i32_e32 v2, 15, v12
	v_cmp_eq_u32_e64 s14, 0, v12
	s_delay_alu instid0(VALU_DEP_2) | instskip(SKIP_1) | instid1(VALU_DEP_2)
	v_dual_cndmask_b32 v9, 0, v9 :: v_dual_lshlrev_b32 v2, 3, v2
	v_cndmask_b32_e32 v8, 7, v8, vcc_lo
	v_and_b32_e32 v2, 0xf8, v2
	s_delay_alu instid0(VALU_DEP_2) | instskip(NEXT) | instid1(VALU_DEP_2)
	v_cmp_eq_u64_e32 vcc_lo, 0, v[8:9]
	v_and_or_b32 v2, v8, 7, v2
	s_and_b32 s14, s14, vcc_lo
	s_delay_alu instid0(VALU_DEP_1) | instid1(SALU_CYCLE_1)
	v_cndmask_b32_e64 v2, v2, 0, s14
	s_delay_alu instid0(VALU_DEP_1)
	v_or_b32_e32 v28, v2, v29
.LBB4_4104:                             ;   in Loop: Header=BB4_3674 Depth=3
	s_or_b32 exec_lo, exec_lo, s45
                                        ; implicit-def: $vgpr29
.LBB4_4105:                             ;   in Loop: Header=BB4_3674 Depth=3
	s_and_not1_saveexec_b32 s14, s44
; %bb.4106:                             ;   in Loop: Header=BB4_3674 Depth=3
	v_or_b32_e32 v28, 0x7e, v29
; %bb.4107:                             ;   in Loop: Header=BB4_3674 Depth=3
	s_or_b32 exec_lo, exec_lo, s14
                                        ; implicit-def: $vgpr9
.LBB4_4108:                             ;   in Loop: Header=BB4_3674 Depth=3
	s_and_not1_saveexec_b32 s14, s15
; %bb.4109:                             ;   in Loop: Header=BB4_3674 Depth=3
	v_or_b32_e32 v28, 0x7f, v9
; %bb.4110:                             ;   in Loop: Header=BB4_3674 Depth=3
	s_or_b32 exec_lo, exec_lo, s14
	v_dual_lshrrev_b32 v12, 16, v15 :: v_dual_mov_b32 v8, 0
	s_mov_b32 s14, exec_lo
	s_delay_alu instid0(VALU_DEP_1) | instskip(NEXT) | instid1(VALU_DEP_1)
	v_and_b32_e32 v2, 0xff, v12
	v_cmpx_ne_u16_e32 0, v2
	s_cbranch_execz .LBB4_4118
; %bb.4111:                             ;   in Loop: Header=BB4_3674 Depth=3
	v_bfrev_b32_e32 v8, 1
	s_mov_b32 s15, exec_lo
	v_cmpx_ne_u16_e32 0x80, v2
	s_cbranch_execz .LBB4_4117
; %bb.4112:                             ;   in Loop: Header=BB4_3674 Depth=3
	v_bfe_u32 v9, v15, 16, 7
	v_mov_b32_e32 v8, 0x7f800001
	s_mov_b32 s44, exec_lo
	s_delay_alu instid0(VALU_DEP_2)
	v_cmpx_ne_u32_e32 0x7f, v9
	s_cbranch_execz .LBB4_4116
; %bb.4113:                             ;   in Loop: Header=BB4_3674 Depth=3
	v_dual_lshrrev_b32 v13, 3, v9 :: v_dual_bitop2_b32 v2, 7, v12 bitop3:0x40
	v_cmp_gt_u32_e32 vcc_lo, 8, v9
	s_delay_alu instid0(VALU_DEP_2)
	v_mov_b64_e32 v[8:9], v[2:3]
	s_and_saveexec_b32 s45, vcc_lo
; %bb.4114:                             ;   in Loop: Header=BB4_3674 Depth=3
	v_clz_i32_u32_e32 v8, v2
	s_delay_alu instid0(VALU_DEP_1) | instskip(NEXT) | instid1(VALU_DEP_1)
	v_min_u32_e32 v13, 32, v8
	v_subrev_nc_u32_e32 v8, 28, v13
	s_delay_alu instid0(VALU_DEP_1) | instskip(NEXT) | instid1(VALU_DEP_1)
	v_lshlrev_b64_e32 v[8:9], v8, v[2:3]
	v_dual_sub_nc_u32 v13, 29, v13 :: v_dual_bitop2_b32 v8, 7, v8 bitop3:0x40
; %bb.4115:                             ;   in Loop: Header=BB4_3674 Depth=3
	s_or_b32 exec_lo, exec_lo, s45
	v_lshlrev_b32_e32 v2, 24, v12
	s_delay_alu instid0(VALU_DEP_2) | instskip(NEXT) | instid1(VALU_DEP_3)
	v_lshlrev_b32_e32 v8, 20, v8
	v_lshl_add_u32 v9, v13, 23, 0x3c000000
	s_delay_alu instid0(VALU_DEP_3) | instskip(NEXT) | instid1(VALU_DEP_1)
	v_and_b32_e32 v2, 0x80000000, v2
	v_or3_b32 v8, v8, v2, v9
.LBB4_4116:                             ;   in Loop: Header=BB4_3674 Depth=3
	s_or_b32 exec_lo, exec_lo, s44
.LBB4_4117:                             ;   in Loop: Header=BB4_3674 Depth=3
	s_delay_alu instid0(SALU_CYCLE_1)
	s_or_b32 exec_lo, exec_lo, s15
.LBB4_4118:                             ;   in Loop: Header=BB4_3674 Depth=3
	s_delay_alu instid0(SALU_CYCLE_1) | instskip(SKIP_3) | instid1(VALU_DEP_1)
	s_or_b32 exec_lo, exec_lo, s14
	v_lshrrev_b32_e32 v2, 16, v11
	s_mov_b32 s15, 0
	s_mov_b32 s14, exec_lo
	v_and_b32_e32 v12, 0xff, v2
	s_delay_alu instid0(VALU_DEP_1)
	v_cmpx_lt_i16_e32 0x7f, v12
	s_xor_b32 s14, exec_lo, s14
	s_cbranch_execz .LBB4_4123
; %bb.4119:                             ;   in Loop: Header=BB4_3674 Depth=3
	s_mov_b32 s15, -1
	s_mov_b32 s44, exec_lo
	v_cmpx_eq_u16_e32 0x80, v12
; %bb.4120:                             ;   in Loop: Header=BB4_3674 Depth=3
	s_xor_b32 s15, exec_lo, -1
; %bb.4121:                             ;   in Loop: Header=BB4_3674 Depth=3
	s_or_b32 exec_lo, exec_lo, s44
	s_delay_alu instid0(SALU_CYCLE_1)
	s_and_b32 s15, s15, exec_lo
                                        ; implicit-def: $vgpr12
	s_or_saveexec_b32 s14, s14
	v_bfrev_b32_e32 v9, 1
	s_xor_b32 exec_lo, exec_lo, s14
	s_cbranch_execnz .LBB4_4124
.LBB4_4122:                             ;   in Loop: Header=BB4_3674 Depth=3
	s_or_b32 exec_lo, exec_lo, s14
	s_and_saveexec_b32 s14, s15
	s_cbranch_execnz .LBB4_4125
	s_branch .LBB4_4128
.LBB4_4123:                             ;   in Loop: Header=BB4_3674 Depth=3
	s_or_saveexec_b32 s14, s14
	v_bfrev_b32_e32 v9, 1
	s_xor_b32 exec_lo, exec_lo, s14
	s_cbranch_execz .LBB4_4122
.LBB4_4124:                             ;   in Loop: Header=BB4_3674 Depth=3
	v_cmp_ne_u16_e32 vcc_lo, 0, v12
	v_mov_b32_e32 v9, 0
	s_and_not1_b32 s15, s15, exec_lo
	s_and_b32 s44, vcc_lo, exec_lo
	s_delay_alu instid0(SALU_CYCLE_1)
	s_or_b32 s15, s15, s44
	s_or_b32 exec_lo, exec_lo, s14
	s_and_saveexec_b32 s14, s15
	s_cbranch_execz .LBB4_4128
.LBB4_4125:                             ;   in Loop: Header=BB4_3674 Depth=3
	v_and_b32_e32 v12, 0x7f, v2
	v_mov_b32_e32 v9, 0x7f800001
	s_mov_b32 s15, exec_lo
	s_delay_alu instid0(VALU_DEP_2)
	v_cmpx_ne_u32_e32 0x7f, v12
	s_cbranch_execz .LBB4_4127
; %bb.4126:                             ;   in Loop: Header=BB4_3674 Depth=3
	v_and_b32_e32 v9, 7, v2
	v_cmp_gt_u32_e32 vcc_lo, 8, v12
	s_delay_alu instid0(VALU_DEP_2) | instskip(NEXT) | instid1(VALU_DEP_1)
	v_clz_i32_u32_e32 v13, v9
	v_min_u32_e32 v13, 32, v13
	s_delay_alu instid0(VALU_DEP_1) | instskip(NEXT) | instid1(VALU_DEP_1)
	v_subrev_nc_u32_e32 v24, 28, v13
	v_lshlrev_b64_e32 v[24:25], v24, v[2:3]
	v_dual_lshrrev_b32 v25, 3, v12 :: v_dual_sub_nc_u32 v13, 29, v13
	s_delay_alu instid0(VALU_DEP_2) | instskip(NEXT) | instid1(VALU_DEP_2)
	v_dual_lshlrev_b32 v2, 24, v2 :: v_dual_bitop2_b32 v12, 7, v24 bitop3:0x40
	v_cndmask_b32_e32 v13, v25, v13, vcc_lo
	s_delay_alu instid0(VALU_DEP_2) | instskip(NEXT) | instid1(VALU_DEP_3)
	v_cndmask_b32_e32 v9, v9, v12, vcc_lo
	v_and_b32_e32 v2, 0x80000000, v2
	s_delay_alu instid0(VALU_DEP_3) | instskip(NEXT) | instid1(VALU_DEP_3)
	v_lshl_add_u32 v12, v13, 23, 0x3c000000
	v_lshlrev_b32_e32 v9, 20, v9
	s_delay_alu instid0(VALU_DEP_1)
	v_or3_b32 v9, v9, v2, v12
.LBB4_4127:                             ;   in Loop: Header=BB4_3674 Depth=3
	s_or_b32 exec_lo, exec_lo, s15
.LBB4_4128:                             ;   in Loop: Header=BB4_3674 Depth=3
	s_delay_alu instid0(SALU_CYCLE_1) | instskip(NEXT) | instid1(VALU_DEP_1)
	s_or_b32 exec_lo, exec_lo, s14
	v_add_f32_e32 v8, v8, v9
                                        ; implicit-def: $vgpr12
	s_mov_b32 s14, exec_lo
	s_delay_alu instid0(VALU_DEP_1) | instskip(SKIP_1) | instid1(VALU_DEP_2)
	v_and_b32_e32 v2, 0x7f800000, v8
	v_lshrrev_b32_e32 v9, 24, v8
	v_cmpx_ne_u64_e32 0x7f800000, v[2:3]
	s_xor_b32 s15, exec_lo, s14
	s_cbranch_execz .LBB4_4142
; %bb.4129:                             ;   in Loop: Header=BB4_3674 Depth=3
	v_and_b32_e32 v2, 0x7fffffff, v8
	v_and_b32_e32 v29, 0x80, v9
                                        ; implicit-def: $vgpr12
	s_mov_b32 s14, exec_lo
	s_delay_alu instid0(VALU_DEP_2)
	v_cmpx_gt_u64_e32 0x43e00001, v[2:3]
	s_xor_b32 s44, exec_lo, s14
	s_cbranch_execz .LBB4_4139
; %bb.4130:                             ;   in Loop: Header=BB4_3674 Depth=3
	v_mov_b32_e32 v12, 0
	s_mov_b32 s45, exec_lo
	v_cmpx_ne_u32_e32 0, v8
	s_cbranch_execz .LBB4_4138
; %bb.4131:                             ;   in Loop: Header=BB4_3674 Depth=3
	v_bfe_u32 v24, v8, 23, 8
	s_delay_alu instid0(VALU_DEP_1) | instskip(SKIP_1) | instid1(VALU_DEP_2)
	v_sub_nc_u32_e32 v2, 0x79, v24
	v_cmp_gt_u32_e32 vcc_lo, 0x7a, v24
	v_cndmask_b32_e32 v2, 0, v2, vcc_lo
	v_cmp_eq_u32_e32 vcc_lo, 0, v24
	s_delay_alu instid0(VALU_DEP_2) | instskip(SKIP_1) | instid1(VALU_DEP_2)
	v_cndmask_b32_e64 v25, v2, 0x78, vcc_lo
	v_and_b32_e32 v2, 0x7fffff, v8
	v_add_nc_u32_e32 v8, 20, v25
	s_delay_alu instid0(VALU_DEP_2) | instskip(SKIP_1) | instid1(VALU_DEP_3)
	v_or_b32_e32 v12, 0x800000, v2
	v_add_nc_u32_e32 v13, 19, v25
	v_lshlrev_b64_e64 v[8:9], v8, -1
	s_delay_alu instid0(VALU_DEP_3) | instskip(NEXT) | instid1(VALU_DEP_3)
	v_cndmask_b32_e32 v2, v12, v2, vcc_lo
	v_lshlrev_b64_e64 v[12:13], v13, 1
	s_delay_alu instid0(VALU_DEP_3) | instskip(NEXT) | instid1(VALU_DEP_3)
	v_bfi_b32 v69, v9, 0, 0
	v_bfi_b32 v68, v8, 0, v2
	v_lshrrev_b64 v[8:9], v25, v[2:3]
	s_delay_alu instid0(VALU_DEP_2) | instskip(NEXT) | instid1(VALU_DEP_2)
	v_cmp_eq_u64_e64 s14, v[68:69], v[12:13]
	v_mov_b64_e32 v[12:13], v[8:9]
	s_and_saveexec_b32 s77, s14
; %bb.4132:                             ;   in Loop: Header=BB4_3674 Depth=3
	v_bfe_u32 v2, v8, 20, 1
	s_delay_alu instid0(VALU_DEP_1) | instskip(NEXT) | instid1(VALU_DEP_1)
	v_add_nc_u64_e32 v[12:13], v[8:9], v[2:3]
	v_add_nc_u64_e32 v[12:13], -1, v[12:13]
; %bb.4133:                             ;   in Loop: Header=BB4_3674 Depth=3
	s_or_b32 exec_lo, exec_lo, s77
	v_add_nc_u32_e32 v2, 0xffffff81, v24
	v_lshrrev_b32_e32 v9, 23, v8
	s_mov_b32 s14, exec_lo
	s_delay_alu instid0(VALU_DEP_2) | instskip(NEXT) | instid1(VALU_DEP_1)
	v_cndmask_b32_e64 v2, v2, 0xffffff82, vcc_lo
	v_add3_u32 v13, v25, v2, v9
	v_and_b32_e32 v2, 0xfffff, v12
                                        ; implicit-def: $vgpr12
	s_delay_alu instid0(VALU_DEP_1) | instskip(NEXT) | instid1(VALU_DEP_1)
	v_dual_add_nc_u32 v24, 6, v13 :: v_dual_add_nc_u32 v2, v2, v8
                                        ; implicit-def: $vgpr8_vgpr9
	v_cmpx_ne_u32_e32 0, v24
	s_xor_b32 s14, exec_lo, s14
; %bb.4134:                             ;   in Loop: Header=BB4_3674 Depth=3
	s_delay_alu instid0(VALU_DEP_2) | instskip(SKIP_1) | instid1(VALU_DEP_1)
	v_cmp_lt_u64_e32 vcc_lo, 0xffffff, v[2:3]
	v_add_nc_u32_e32 v8, 7, v13
	v_cndmask_b32_e32 v12, v24, v8, vcc_lo
	v_cndmask_b32_e64 v8, 0, 1, vcc_lo
	s_delay_alu instid0(VALU_DEP_1)
	v_lshrrev_b64 v[8:9], v8, v[2:3]
; %bb.4135:                             ;   in Loop: Header=BB4_3674 Depth=3
	s_and_not1_saveexec_b32 s14, s14
; %bb.4136:                             ;   in Loop: Header=BB4_3674 Depth=3
	v_mov_b64_e32 v[8:9], v[2:3]
	v_bfe_u32 v12, v2, 23, 1
; %bb.4137:                             ;   in Loop: Header=BB4_3674 Depth=3
	s_or_b32 exec_lo, exec_lo, s14
	s_delay_alu instid0(VALU_DEP_2) | instskip(NEXT) | instid1(VALU_DEP_2)
	v_lshrrev_b64 v[8:9], 20, v[8:9]
	v_cmp_gt_i32_e32 vcc_lo, 16, v12
	v_min_i32_e32 v2, 15, v12
	v_cmp_eq_u32_e64 s14, 0, v12
	s_delay_alu instid0(VALU_DEP_2) | instskip(SKIP_1) | instid1(VALU_DEP_2)
	v_dual_cndmask_b32 v9, 0, v9 :: v_dual_lshlrev_b32 v2, 3, v2
	v_cndmask_b32_e32 v8, 7, v8, vcc_lo
	v_and_b32_e32 v2, 0xf8, v2
	s_delay_alu instid0(VALU_DEP_2) | instskip(NEXT) | instid1(VALU_DEP_2)
	v_cmp_eq_u64_e32 vcc_lo, 0, v[8:9]
	v_and_or_b32 v2, v8, 7, v2
	s_and_b32 s14, s14, vcc_lo
	s_delay_alu instid0(VALU_DEP_1) | instid1(SALU_CYCLE_1)
	v_cndmask_b32_e64 v2, v2, 0, s14
	s_delay_alu instid0(VALU_DEP_1)
	v_or_b32_e32 v12, v2, v29
.LBB4_4138:                             ;   in Loop: Header=BB4_3674 Depth=3
	s_or_b32 exec_lo, exec_lo, s45
                                        ; implicit-def: $vgpr29
.LBB4_4139:                             ;   in Loop: Header=BB4_3674 Depth=3
	s_and_not1_saveexec_b32 s14, s44
; %bb.4140:                             ;   in Loop: Header=BB4_3674 Depth=3
	v_or_b32_e32 v12, 0x7e, v29
; %bb.4141:                             ;   in Loop: Header=BB4_3674 Depth=3
	s_or_b32 exec_lo, exec_lo, s14
                                        ; implicit-def: $vgpr9
.LBB4_4142:                             ;   in Loop: Header=BB4_3674 Depth=3
	s_and_not1_saveexec_b32 s14, s15
; %bb.4143:                             ;   in Loop: Header=BB4_3674 Depth=3
	v_or_b32_e32 v12, 0x7f, v9
; %bb.4144:                             ;   in Loop: Header=BB4_3674 Depth=3
	s_or_b32 exec_lo, exec_lo, s14
	v_mov_b32_e32 v8, 0
	s_mov_b32 s14, exec_lo
	v_cmpx_lt_u64_e64 s[22:23], v[14:15]
	s_cbranch_execz .LBB4_4152
; %bb.4145:                             ;   in Loop: Header=BB4_3674 Depth=3
	v_lshrrev_b32_e32 v13, 24, v15
	v_bfrev_b32_e32 v8, 1
	s_mov_b32 s15, exec_lo
	s_delay_alu instid0(VALU_DEP_2)
	v_cmpx_ne_u32_e32 0x80, v13
	s_cbranch_execz .LBB4_4151
; %bb.4146:                             ;   in Loop: Header=BB4_3674 Depth=3
	v_bfe_u32 v9, v15, 24, 7
	v_mov_b32_e32 v8, 0x7f800001
	s_mov_b32 s44, exec_lo
	s_delay_alu instid0(VALU_DEP_2)
	v_cmpx_ne_u32_e32 0x7f, v9
	s_cbranch_execz .LBB4_4150
; %bb.4147:                             ;   in Loop: Header=BB4_3674 Depth=3
	v_and_b32_e32 v2, 7, v13
	v_lshrrev_b32_e32 v14, 3, v9
	v_cmp_gt_u32_e32 vcc_lo, 8, v9
	s_delay_alu instid0(VALU_DEP_3)
	v_mov_b64_e32 v[8:9], v[2:3]
	s_and_saveexec_b32 s45, vcc_lo
; %bb.4148:                             ;   in Loop: Header=BB4_3674 Depth=3
	v_clz_i32_u32_e32 v8, v2
	s_delay_alu instid0(VALU_DEP_1) | instskip(NEXT) | instid1(VALU_DEP_1)
	v_min_u32_e32 v14, 32, v8
	v_subrev_nc_u32_e32 v8, 28, v14
	s_delay_alu instid0(VALU_DEP_1) | instskip(NEXT) | instid1(VALU_DEP_1)
	v_lshlrev_b64_e32 v[8:9], v8, v[2:3]
	v_dual_sub_nc_u32 v14, 29, v14 :: v_dual_bitop2_b32 v8, 7, v8 bitop3:0x40
; %bb.4149:                             ;   in Loop: Header=BB4_3674 Depth=3
	s_or_b32 exec_lo, exec_lo, s45
	s_delay_alu instid0(VALU_DEP_1) | instskip(NEXT) | instid1(VALU_DEP_2)
	v_dual_lshlrev_b32 v2, 24, v13 :: v_dual_lshlrev_b32 v8, 20, v8
	v_lshl_add_u32 v9, v14, 23, 0x3c000000
	s_delay_alu instid0(VALU_DEP_2) | instskip(NEXT) | instid1(VALU_DEP_1)
	v_and_b32_e32 v2, 0x80000000, v2
	v_or3_b32 v8, v8, v2, v9
.LBB4_4150:                             ;   in Loop: Header=BB4_3674 Depth=3
	s_or_b32 exec_lo, exec_lo, s44
.LBB4_4151:                             ;   in Loop: Header=BB4_3674 Depth=3
	s_delay_alu instid0(SALU_CYCLE_1)
	s_or_b32 exec_lo, exec_lo, s15
.LBB4_4152:                             ;   in Loop: Header=BB4_3674 Depth=3
	s_delay_alu instid0(SALU_CYCLE_1) | instskip(SKIP_3) | instid1(VALU_DEP_3)
	s_or_b32 exec_lo, exec_lo, s14
	v_lshrrev_b32_e32 v2, 24, v11
	v_bfe_u32 v9, v11, 24, 7
	v_cmp_gt_u64_e64 s15, s[24:25], v[10:11]
	v_cmp_eq_u32_e64 s14, 0x80, v2
	s_delay_alu instid0(VALU_DEP_3) | instskip(NEXT) | instid1(VALU_DEP_2)
	v_cmp_eq_u32_e32 vcc_lo, 0x7f, v9
	v_cndmask_b32_e64 v13, 0x7f800001, v91, s14
	s_or_b32 s14, s14, vcc_lo
	s_delay_alu instid0(VALU_DEP_1) | instskip(SKIP_1) | instid1(SALU_CYCLE_1)
	v_cndmask_b32_e64 v10, v13, 0, s15
	s_nor_b32 s15, s15, s14
	s_and_saveexec_b32 s14, s15
	s_cbranch_execz .LBB4_4154
; %bb.4153:                             ;   in Loop: Header=BB4_3674 Depth=3
	v_and_b32_e32 v13, 7, v2
	v_cmp_gt_u32_e32 vcc_lo, 8, v9
	s_delay_alu instid0(VALU_DEP_2) | instskip(NEXT) | instid1(VALU_DEP_1)
	v_clz_i32_u32_e32 v10, v13
	v_min_u32_e32 v14, 32, v10
	s_delay_alu instid0(VALU_DEP_1) | instskip(NEXT) | instid1(VALU_DEP_1)
	v_subrev_nc_u32_e32 v10, 28, v14
	v_lshlrev_b64_e32 v[10:11], v10, v[2:3]
	s_delay_alu instid0(VALU_DEP_1) | instskip(NEXT) | instid1(VALU_DEP_1)
	v_dual_lshrrev_b32 v11, 3, v9 :: v_dual_bitop2_b32 v9, 7, v10 bitop3:0x40
	v_dual_cndmask_b32 v9, v13, v9 :: v_dual_sub_nc_u32 v14, 29, v14
	v_lshlrev_b32_e32 v2, 24, v2
	s_delay_alu instid0(VALU_DEP_2) | instskip(NEXT) | instid1(VALU_DEP_2)
	v_dual_cndmask_b32 v10, v11, v14 :: v_dual_lshlrev_b32 v9, 20, v9
	v_and_b32_e32 v2, 0x80000000, v2
	s_delay_alu instid0(VALU_DEP_2) | instskip(NEXT) | instid1(VALU_DEP_1)
	v_lshl_add_u32 v10, v10, 23, 0x3c000000
	v_or3_b32 v10, v9, v2, v10
.LBB4_4154:                             ;   in Loop: Header=BB4_3674 Depth=3
	s_or_b32 exec_lo, exec_lo, s14
	s_delay_alu instid0(VALU_DEP_1) | instskip(NEXT) | instid1(VALU_DEP_1)
	v_add_f32_e32 v8, v8, v10
	v_and_b32_e32 v2, 0x7f800000, v8
	v_lshrrev_b32_e32 v9, 24, v8
	s_delay_alu instid0(VALU_DEP_2) | instskip(SKIP_1) | instid1(SALU_CYCLE_1)
	v_cmp_ne_u64_e32 vcc_lo, 0x7f800000, v[2:3]
                                        ; implicit-def: $vgpr2
	s_and_saveexec_b32 s14, vcc_lo
	s_xor_b32 s15, exec_lo, s14
	s_cbranch_execz .LBB4_4168
; %bb.4155:                             ;   in Loop: Header=BB4_3674 Depth=3
	v_and_b32_e32 v2, 0x7fffffff, v8
	v_and_b32_e32 v13, 0x80, v9
	s_delay_alu instid0(VALU_DEP_2) | instskip(SKIP_1) | instid1(SALU_CYCLE_1)
	v_cmp_gt_u64_e32 vcc_lo, 0x43e00001, v[2:3]
                                        ; implicit-def: $vgpr2
	s_and_saveexec_b32 s14, vcc_lo
	s_xor_b32 s44, exec_lo, s14
	s_cbranch_execz .LBB4_4165
; %bb.4156:                             ;   in Loop: Header=BB4_3674 Depth=3
	v_mov_b32_e32 v2, 0
	s_mov_b32 s45, exec_lo
	v_cmpx_ne_u32_e32 0, v8
	s_cbranch_execz .LBB4_4164
; %bb.4157:                             ;   in Loop: Header=BB4_3674 Depth=3
	v_bfe_u32 v14, v8, 23, 8
	s_delay_alu instid0(VALU_DEP_1) | instskip(SKIP_1) | instid1(VALU_DEP_2)
	v_sub_nc_u32_e32 v2, 0x79, v14
	v_cmp_gt_u32_e32 vcc_lo, 0x7a, v14
	v_cndmask_b32_e32 v2, 0, v2, vcc_lo
	v_cmp_eq_u32_e32 vcc_lo, 0, v14
	s_delay_alu instid0(VALU_DEP_2) | instskip(SKIP_1) | instid1(VALU_DEP_2)
	v_cndmask_b32_e64 v15, v2, 0x78, vcc_lo
	v_and_b32_e32 v2, 0x7fffff, v8
	v_add_nc_u32_e32 v8, 20, v15
	s_delay_alu instid0(VALU_DEP_2) | instskip(SKIP_1) | instid1(VALU_DEP_3)
	v_or_b32_e32 v10, 0x800000, v2
	v_add_nc_u32_e32 v11, 19, v15
	v_lshlrev_b64_e64 v[8:9], v8, -1
	s_delay_alu instid0(VALU_DEP_3) | instskip(NEXT) | instid1(VALU_DEP_3)
	v_cndmask_b32_e32 v2, v10, v2, vcc_lo
	v_lshlrev_b64_e64 v[10:11], v11, 1
	s_delay_alu instid0(VALU_DEP_3) | instskip(NEXT) | instid1(VALU_DEP_3)
	v_bfi_b32 v25, v9, 0, 0
	v_bfi_b32 v24, v8, 0, v2
	v_lshrrev_b64 v[8:9], v15, v[2:3]
	s_delay_alu instid0(VALU_DEP_2) | instskip(NEXT) | instid1(VALU_DEP_2)
	v_cmp_eq_u64_e64 s14, v[24:25], v[10:11]
	v_mov_b64_e32 v[10:11], v[8:9]
	s_and_saveexec_b32 s77, s14
; %bb.4158:                             ;   in Loop: Header=BB4_3674 Depth=3
	v_bfe_u32 v2, v8, 20, 1
	s_delay_alu instid0(VALU_DEP_1) | instskip(NEXT) | instid1(VALU_DEP_1)
	v_add_nc_u64_e32 v[10:11], v[8:9], v[2:3]
	v_add_nc_u64_e32 v[10:11], -1, v[10:11]
; %bb.4159:                             ;   in Loop: Header=BB4_3674 Depth=3
	s_or_b32 exec_lo, exec_lo, s77
	v_add_nc_u32_e32 v2, 0xffffff81, v14
	v_lshrrev_b32_e32 v9, 23, v8
	s_mov_b32 s14, exec_lo
	s_delay_alu instid0(VALU_DEP_2) | instskip(NEXT) | instid1(VALU_DEP_1)
	v_cndmask_b32_e64 v2, v2, 0xffffff82, vcc_lo
	v_add3_u32 v11, v15, v2, v9
	v_and_b32_e32 v2, 0xfffff, v10
                                        ; implicit-def: $vgpr10
	s_delay_alu instid0(VALU_DEP_1) | instskip(NEXT) | instid1(VALU_DEP_1)
	v_dual_add_nc_u32 v14, 6, v11 :: v_dual_add_nc_u32 v2, v2, v8
                                        ; implicit-def: $vgpr8_vgpr9
	v_cmpx_ne_u32_e32 0, v14
	s_xor_b32 s14, exec_lo, s14
; %bb.4160:                             ;   in Loop: Header=BB4_3674 Depth=3
	s_delay_alu instid0(VALU_DEP_2) | instskip(SKIP_1) | instid1(VALU_DEP_1)
	v_cmp_lt_u64_e32 vcc_lo, 0xffffff, v[2:3]
	v_add_nc_u32_e32 v8, 7, v11
	v_cndmask_b32_e32 v10, v14, v8, vcc_lo
	v_cndmask_b32_e64 v8, 0, 1, vcc_lo
	s_delay_alu instid0(VALU_DEP_1)
	v_lshrrev_b64 v[8:9], v8, v[2:3]
; %bb.4161:                             ;   in Loop: Header=BB4_3674 Depth=3
	s_and_not1_saveexec_b32 s14, s14
; %bb.4162:                             ;   in Loop: Header=BB4_3674 Depth=3
	v_mov_b64_e32 v[8:9], v[2:3]
	v_bfe_u32 v10, v2, 23, 1
; %bb.4163:                             ;   in Loop: Header=BB4_3674 Depth=3
	s_or_b32 exec_lo, exec_lo, s14
	s_delay_alu instid0(VALU_DEP_2) | instskip(NEXT) | instid1(VALU_DEP_2)
	v_lshrrev_b64 v[8:9], 20, v[8:9]
	v_cmp_gt_i32_e32 vcc_lo, 16, v10
	v_min_i32_e32 v2, 15, v10
	v_cmp_eq_u32_e64 s14, 0, v10
	s_delay_alu instid0(VALU_DEP_2) | instskip(SKIP_1) | instid1(VALU_DEP_2)
	v_dual_cndmask_b32 v9, 0, v9 :: v_dual_lshlrev_b32 v2, 3, v2
	v_cndmask_b32_e32 v8, 7, v8, vcc_lo
	v_and_b32_e32 v2, 0xf8, v2
	s_delay_alu instid0(VALU_DEP_2) | instskip(NEXT) | instid1(VALU_DEP_2)
	v_cmp_eq_u64_e32 vcc_lo, 0, v[8:9]
	v_and_or_b32 v2, v8, 7, v2
	s_and_b32 s14, s14, vcc_lo
	s_delay_alu instid0(VALU_DEP_1) | instid1(SALU_CYCLE_1)
	v_cndmask_b32_e64 v2, v2, 0, s14
	s_delay_alu instid0(VALU_DEP_1)
	v_or_b32_e32 v2, v2, v13
.LBB4_4164:                             ;   in Loop: Header=BB4_3674 Depth=3
	s_or_b32 exec_lo, exec_lo, s45
                                        ; implicit-def: $vgpr13
.LBB4_4165:                             ;   in Loop: Header=BB4_3674 Depth=3
	s_and_not1_saveexec_b32 s14, s44
; %bb.4166:                             ;   in Loop: Header=BB4_3674 Depth=3
	v_or_b32_e32 v2, 0x7e, v13
; %bb.4167:                             ;   in Loop: Header=BB4_3674 Depth=3
	s_or_b32 exec_lo, exec_lo, s14
                                        ; implicit-def: $vgpr9
.LBB4_4168:                             ;   in Loop: Header=BB4_3674 Depth=3
	s_and_not1_saveexec_b32 s14, s15
; %bb.4169:                             ;   in Loop: Header=BB4_3674 Depth=3
	v_or_b32_e32 v2, 0x7f, v9
; %bb.4170:                             ;   in Loop: Header=BB4_3674 Depth=3
	s_or_b32 exec_lo, exec_lo, s14
	v_lshl_or_b32 v8, v73, 8, v72
	v_dual_lshlrev_b32 v9, 16, v62 :: v_dual_lshlrev_b32 v10, 24, v63
	v_lshl_or_b32 v11, v104, 8, v79
	v_dual_lshlrev_b32 v13, 16, v105 :: v_dual_lshlrev_b32 v14, 24, v106
	;; [unrolled: 2-line block ×3, first 2 shown]
	v_dual_lshlrev_b32 v2, 24, v2 :: v_dual_lshlrev_b32 v12, 16, v12
	v_lshl_or_b32 v26, v28, 8, v60
	v_or3_b32 v9, v8, v9, v10
	v_or3_b32 v8, v11, v13, v14
	;; [unrolled: 1-line block ×3, first 2 shown]
	s_mov_b64 s[44:45], 0
	v_or3_b32 v11, v26, v12, v2
	s_mov_b32 s77, -1
.LBB4_4171:                             ;   Parent Loop BB4_47 Depth=1
                                        ;     Parent Loop BB4_2595 Depth=2
                                        ;       Parent Loop BB4_3674 Depth=3
                                        ; =>      This Inner Loop Header: Depth=4
	s_cmp_eq_u32 s44, 1
	s_cselect_b32 vcc_lo, -1, 0
	s_cmp_eq_u32 s44, 0
	s_wait_xcnt 0x0
	v_dual_cndmask_b32 v13, v17, v19 :: v_dual_cndmask_b32 v12, v16, v18
	s_cselect_b32 s14, -1, 0
	s_and_b32 s15, exec_lo, s77
	s_mov_b64 s[44:45], 1
	s_mov_b32 s77, 0
	v_add_nc_u64_e32 v[14:15], 0x200, v[12:13]
	global_store_b128 v[12:13], v[8:11], off th:TH_STORE_NT
	v_dual_cndmask_b32 v19, v19, v15 :: v_dual_cndmask_b32 v18, v18, v14
	v_dual_cndmask_b32 v17, v17, v15, s14 :: v_dual_cndmask_b32 v16, v16, v14, s14
	s_mov_b32 vcc_lo, s15
	s_cbranch_vccnz .LBB4_4171
; %bb.4172:                             ;   in Loop: Header=BB4_3674 Depth=3
	v_sub_nc_u32_e32 v78, v78, v80
	v_add_nc_u64_e32 v[20:21], v[20:21], v[100:101]
	v_add_nc_u64_e32 v[22:23], v[22:23], v[100:101]
	;; [unrolled: 1-line block ×4, first 2 shown]
	v_cmp_gt_i32_e32 vcc_lo, 16, v78
	v_sub_nc_u32_e32 v77, v77, v52
	s_or_b32 s76, vcc_lo, s76
	s_wait_xcnt 0x0
	s_and_not1_b32 exec_lo, exec_lo, s76
	s_cbranch_execnz .LBB4_3674
; %bb.4173:                             ;   in Loop: Header=BB4_2595 Depth=2
	s_or_b32 exec_lo, exec_lo, s76
.LBB4_4174:                             ;   in Loop: Header=BB4_2595 Depth=2
	s_delay_alu instid0(SALU_CYCLE_1) | instskip(SKIP_3) | instid1(VALU_DEP_1)
	s_or_b32 exec_lo, exec_lo, s75
	v_dual_mov_b32 v20, 0 :: v_dual_bitop2_b32 v8, 15, v41 bitop3:0x40
	s_mov_b32 s14, 0
	s_mov_b32 s15, exec_lo
                                        ; implicit-def: $vgpr22
                                        ; implicit-def: $vgpr2
	v_cndmask_b32_e64 v21, v76, v8, s13
	s_delay_alu instid0(VALU_DEP_1)
	v_cmpx_ne_u32_e32 0, v21
	s_cbranch_execz .LBB4_4176
; %bb.4175:                             ;   in Loop: Header=BB4_2595 Depth=2
	v_cmp_lt_i32_e32 vcc_lo, 0, v77
	s_mov_b32 s14, exec_lo
	v_sub_nc_u32_e32 v8, v76, v8
	v_cndmask_b32_e32 v2, 0, v52, vcc_lo
	s_delay_alu instid0(VALU_DEP_1) | instskip(NEXT) | instid1(VALU_DEP_1)
	v_dual_cndmask_b32 v8, 0, v8, s13 :: v_dual_sub_nc_u32 v2, v2, v77
	v_add3_u32 v20, v43, v74, v8
	s_delay_alu instid0(VALU_DEP_2) | instskip(NEXT) | instid1(VALU_DEP_1)
	v_lshl_add_u32 v22, v2, 5, v75
	v_ashrrev_i32_e32 v2, 31, v22
	s_delay_alu instid0(VALU_DEP_1) | instskip(NEXT) | instid1(VALU_DEP_1)
	v_lshrrev_b32_e32 v2, 27, v2
	v_add_nc_u32_e32 v2, v22, v2
	s_delay_alu instid0(VALU_DEP_1)
	v_ashrrev_i32_e32 v2, 5, v2
.LBB4_4176:                             ;   in Loop: Header=BB4_2595 Depth=2
	s_or_b32 exec_lo, exec_lo, s15
	s_delay_alu instid0(SALU_CYCLE_1)
	s_and_b32 s13, s14, exec_lo
.LBB4_4177:                             ;   in Loop: Header=BB4_2595 Depth=2
	s_or_b32 exec_lo, exec_lo, s74
	s_and_saveexec_b32 s15, s13
	s_cbranch_execz .LBB4_4800
.LBB4_4178:                             ;   in Loop: Header=BB4_2595 Depth=2
	v_ashrrev_i32_e32 v8, 31, v21
	s_mov_b32 s14, exec_lo
	s_delay_alu instid0(VALU_DEP_1) | instskip(NEXT) | instid1(VALU_DEP_1)
	v_lshrrev_b32_e32 v8, 23, v8
	v_add_nc_u32_e32 v8, v21, v8
	s_delay_alu instid0(VALU_DEP_1) | instskip(NEXT) | instid1(VALU_DEP_1)
	v_dual_ashrrev_i32 v60, 9, v8 :: v_dual_ashrrev_i32 v8, 31, v22
	v_dual_sub_nc_u32 v23, v60, v2 :: v_dual_lshrrev_b32 v43, 27, v8
	s_delay_alu instid0(VALU_DEP_1)
	v_cmpx_lt_i32_e32 0, v23
	s_cbranch_execz .LBB4_4758
; %bb.4179:                             ;   in Loop: Header=BB4_2595 Depth=2
	s_delay_alu instid0(VALU_DEP_2) | instskip(SKIP_4) | instid1(VALU_DEP_1)
	v_dual_add_nc_u32 v8, v22, v43 :: v_dual_lshlrev_b32 v2, 9, v2
	s_trap 2
	ds_load_b64 v[14:15], v0
	s_mov_b32 s44, 0
	v_and_b32_e32 v8, 0xffffffe0, v8
	v_sub_nc_u32_e32 v8, v22, v8
	s_delay_alu instid0(VALU_DEP_1) | instskip(NEXT) | instid1(VALU_DEP_1)
	v_add3_u32 v16, v20, v8, v2
	v_ashrrev_i32_e32 v17, 31, v16
	s_delay_alu instid0(VALU_DEP_1)
	v_add_nc_u64_e32 v[8:9], v[16:17], v[56:57]
	v_add_nc_u64_e32 v[10:11], v[16:17], v[58:59]
	;; [unrolled: 1-line block ×3, first 2 shown]
	s_wait_dscnt 0x0
	v_add_nc_u64_e32 v[14:15], v[14:15], v[16:17]
	s_branch .LBB4_4181
.LBB4_4180:                             ;   in Loop: Header=BB4_4181 Depth=3
	s_or_b32 exec_lo, exec_lo, s13
	v_sub_nc_u32_e32 v23, v23, v52
	s_clause 0xf
	flat_store_b8 v[8:9], v61 th:TH_STORE_NT
	flat_store_b8 v[8:9], v72 offset:32 th:TH_STORE_NT
	flat_store_b8 v[8:9], v75 offset:64 th:TH_STORE_NT
	flat_store_b8 v[8:9], v78 offset:96 th:TH_STORE_NT
	flat_store_b8 v[8:9], v105 offset:128 th:TH_STORE_NT
	flat_store_b8 v[8:9], v108 offset:160 th:TH_STORE_NT
	flat_store_b8 v[8:9], v111 offset:192 th:TH_STORE_NT
	flat_store_b8 v[8:9], v122 offset:224 th:TH_STORE_NT
	flat_store_b8 v[8:9], v120 offset:256 th:TH_STORE_NT
	flat_store_b8 v[8:9], v109 offset:288 th:TH_STORE_NT
	flat_store_b8 v[8:9], v26 offset:320 th:TH_STORE_NT
	flat_store_b8 v[8:9], v27 offset:352 th:TH_STORE_NT
	flat_store_b8 v[8:9], v76 offset:384 th:TH_STORE_NT
	flat_store_b8 v[8:9], v28 offset:416 th:TH_STORE_NT
	flat_store_b8 v[8:9], v29 offset:448 th:TH_STORE_NT
	flat_store_b8 v[8:9], v2 offset:480 th:TH_STORE_NT
	s_clause 0xf
	flat_store_b8 v[10:11], v61 th:TH_STORE_NT
	flat_store_b8 v[10:11], v72 offset:32 th:TH_STORE_NT
	flat_store_b8 v[10:11], v75 offset:64 th:TH_STORE_NT
	;; [unrolled: 1-line block ×15, first 2 shown]
	v_add_nc_u64_e32 v[12:13], v[12:13], v[80:81]
	v_add_nc_u64_e32 v[14:15], v[14:15], v[80:81]
	s_wait_xcnt 0x10
	v_add_nc_u64_e32 v[8:9], v[8:9], v[80:81]
	v_cmp_gt_i32_e32 vcc_lo, 1, v23
	s_wait_xcnt 0x0
	v_add_nc_u64_e32 v[10:11], v[10:11], v[80:81]
	s_or_b32 s44, vcc_lo, s44
	s_delay_alu instid0(SALU_CYCLE_1)
	s_and_not1_b32 exec_lo, exec_lo, s44
	s_cbranch_execz .LBB4_4757
.LBB4_4181:                             ;   Parent Loop BB4_47 Depth=1
                                        ;     Parent Loop BB4_2595 Depth=2
                                        ; =>    This Inner Loop Header: Depth=3
	s_clause 0xf
	flat_load_u8 v72, v[12:13] th:TH_LOAD_NT
	flat_load_u8 v29, v[12:13] offset:32 th:TH_LOAD_NT
	flat_load_u8 v88, v[12:13] offset:64 th:TH_LOAD_NT
	;; [unrolled: 1-line block ×15, first 2 shown]
	s_clause 0xf
	flat_load_u8 v18, v[14:15] th:TH_LOAD_NT
	flat_load_u8 v28, v[14:15] offset:32 th:TH_LOAD_NT
	flat_load_u8 v75, v[14:15] offset:64 th:TH_LOAD_NT
	;; [unrolled: 1-line block ×15, first 2 shown]
	v_dual_mov_b32 v19, 0 :: v_dual_mov_b32 v61, 0
	s_mov_b32 s13, exec_lo
	s_wait_loadcnt_dscnt 0x1f1f
	s_wait_xcnt 0x0
	v_cmpx_ne_u16_e32 0, v72
	s_cbranch_execz .LBB4_4189
; %bb.4182:                             ;   in Loop: Header=BB4_4181 Depth=3
	v_bfrev_b32_e32 v61, 1
	s_mov_b32 s45, exec_lo
	v_cmpx_ne_u16_e32 0x80, v72
	s_cbranch_execz .LBB4_4188
; %bb.4183:                             ;   in Loop: Header=BB4_4181 Depth=3
	v_and_b32_e32 v2, 0xffff, v72
	v_mov_b32_e32 v61, 0x7f800001
	s_mov_b32 s74, exec_lo
	s_delay_alu instid0(VALU_DEP_2) | instskip(NEXT) | instid1(VALU_DEP_1)
	v_and_b32_e32 v16, 0x7f, v2
	v_cmpx_ne_u32_e32 0x7f, v16
	s_cbranch_execz .LBB4_4187
; %bb.4184:                             ;   in Loop: Header=BB4_4181 Depth=3
	v_dual_lshrrev_b32 v24, 3, v16 :: v_dual_bitop2_b32 v2, 7, v2 bitop3:0x40
	v_cmp_gt_u32_e32 vcc_lo, 8, v16
	s_delay_alu instid0(VALU_DEP_2)
	v_mov_b64_e32 v[16:17], v[2:3]
	s_and_saveexec_b32 s75, vcc_lo
; %bb.4185:                             ;   in Loop: Header=BB4_4181 Depth=3
	v_clz_i32_u32_e32 v16, v2
	s_delay_alu instid0(VALU_DEP_1) | instskip(NEXT) | instid1(VALU_DEP_1)
	v_min_u32_e32 v24, 32, v16
	v_subrev_nc_u32_e32 v16, 28, v24
	v_sub_nc_u32_e32 v24, 29, v24
	s_delay_alu instid0(VALU_DEP_2) | instskip(NEXT) | instid1(VALU_DEP_1)
	v_lshlrev_b64_e32 v[16:17], v16, v[2:3]
	v_and_b32_e32 v16, 7, v16
; %bb.4186:                             ;   in Loop: Header=BB4_4181 Depth=3
	s_or_b32 exec_lo, exec_lo, s75
	v_lshlrev_b32_e32 v2, 24, v72
	s_delay_alu instid0(VALU_DEP_2) | instskip(SKIP_1) | instid1(VALU_DEP_3)
	v_lshlrev_b32_e32 v16, 20, v16
	v_lshl_add_u32 v17, v24, 23, 0x3c000000
	v_and_b32_e32 v2, 0x80000000, v2
	s_delay_alu instid0(VALU_DEP_1)
	v_or3_b32 v61, v16, v2, v17
.LBB4_4187:                             ;   in Loop: Header=BB4_4181 Depth=3
	s_or_b32 exec_lo, exec_lo, s74
.LBB4_4188:                             ;   in Loop: Header=BB4_4181 Depth=3
	s_delay_alu instid0(SALU_CYCLE_1)
	s_or_b32 exec_lo, exec_lo, s45
.LBB4_4189:                             ;   in Loop: Header=BB4_4181 Depth=3
	s_delay_alu instid0(SALU_CYCLE_1) | instskip(SKIP_3) | instid1(VALU_DEP_1)
	s_or_b32 exec_lo, exec_lo, s13
	s_wait_loadcnt_dscnt 0xf0f
	v_and_b32_e32 v2, 0xff, v18
	s_mov_b32 s13, exec_lo
	v_cmpx_ne_u16_e32 0, v2
	s_cbranch_execz .LBB4_4197
; %bb.4190:                             ;   in Loop: Header=BB4_4181 Depth=3
	v_bfrev_b32_e32 v19, 1
	s_mov_b32 s45, exec_lo
	v_cmpx_ne_u16_e32 0x80, v2
	s_cbranch_execz .LBB4_4196
; %bb.4191:                             ;   in Loop: Header=BB4_4181 Depth=3
	v_and_b32_e32 v16, 0x7f, v18
	v_mov_b32_e32 v19, 0x7f800001
	s_mov_b32 s74, exec_lo
	s_delay_alu instid0(VALU_DEP_2)
	v_cmpx_ne_u32_e32 0x7f, v16
	s_cbranch_execz .LBB4_4195
; %bb.4192:                             ;   in Loop: Header=BB4_4181 Depth=3
	v_dual_lshrrev_b32 v19, 3, v16 :: v_dual_bitop2_b32 v2, 7, v2 bitop3:0x40
	v_cmp_gt_u32_e32 vcc_lo, 8, v16
	s_delay_alu instid0(VALU_DEP_2)
	v_mov_b64_e32 v[16:17], v[2:3]
	s_and_saveexec_b32 s75, vcc_lo
; %bb.4193:                             ;   in Loop: Header=BB4_4181 Depth=3
	v_clz_i32_u32_e32 v16, v2
	s_delay_alu instid0(VALU_DEP_1) | instskip(NEXT) | instid1(VALU_DEP_1)
	v_min_u32_e32 v19, 32, v16
	v_subrev_nc_u32_e32 v16, 28, v19
	s_delay_alu instid0(VALU_DEP_1) | instskip(NEXT) | instid1(VALU_DEP_1)
	v_lshlrev_b64_e32 v[16:17], v16, v[2:3]
	v_dual_sub_nc_u32 v19, 29, v19 :: v_dual_bitop2_b32 v16, 7, v16 bitop3:0x40
; %bb.4194:                             ;   in Loop: Header=BB4_4181 Depth=3
	s_or_b32 exec_lo, exec_lo, s75
	s_delay_alu instid0(VALU_DEP_1) | instskip(NEXT) | instid1(VALU_DEP_2)
	v_dual_lshlrev_b32 v2, 24, v18 :: v_dual_lshlrev_b32 v16, 20, v16
	v_lshl_add_u32 v17, v19, 23, 0x3c000000
	s_delay_alu instid0(VALU_DEP_2) | instskip(NEXT) | instid1(VALU_DEP_1)
	v_and_b32_e32 v2, 0x80000000, v2
	v_or3_b32 v19, v16, v2, v17
.LBB4_4195:                             ;   in Loop: Header=BB4_4181 Depth=3
	s_or_b32 exec_lo, exec_lo, s74
.LBB4_4196:                             ;   in Loop: Header=BB4_4181 Depth=3
	s_delay_alu instid0(SALU_CYCLE_1)
	s_or_b32 exec_lo, exec_lo, s45
.LBB4_4197:                             ;   in Loop: Header=BB4_4181 Depth=3
	s_delay_alu instid0(SALU_CYCLE_1) | instskip(NEXT) | instid1(VALU_DEP_1)
	s_or_b32 exec_lo, exec_lo, s13
	v_add_f32_e32 v16, v61, v19
                                        ; implicit-def: $vgpr61
	s_mov_b32 s13, exec_lo
	s_delay_alu instid0(VALU_DEP_1) | instskip(SKIP_1) | instid1(VALU_DEP_2)
	v_and_b32_e32 v2, 0x7f800000, v16
	v_lshrrev_b32_e32 v17, 24, v16
	v_cmpx_ne_u64_e32 0x7f800000, v[2:3]
	s_xor_b32 s45, exec_lo, s13
	s_cbranch_execz .LBB4_4215
; %bb.4198:                             ;   in Loop: Header=BB4_4181 Depth=3
	v_and_b32_e32 v2, 0x7fffffff, v16
	v_and_b32_e32 v72, 0x80, v17
                                        ; implicit-def: $vgpr61
	s_mov_b32 s13, exec_lo
	s_delay_alu instid0(VALU_DEP_2)
	v_cmpx_gt_u64_e32 0x43e00001, v[2:3]
	s_xor_b32 s74, exec_lo, s13
	s_cbranch_execz .LBB4_4212
; %bb.4199:                             ;   in Loop: Header=BB4_4181 Depth=3
	v_mov_b32_e32 v61, 0
	s_mov_b32 s75, exec_lo
	v_cmpx_ne_u32_e32 0, v16
	s_cbranch_execz .LBB4_4211
; %bb.4200:                             ;   in Loop: Header=BB4_4181 Depth=3
	v_bfe_u32 v24, v16, 23, 8
	v_and_b32_e32 v2, 0x7fffff, v16
	s_delay_alu instid0(VALU_DEP_2) | instskip(SKIP_2) | instid1(VALU_DEP_4)
	v_cmp_gt_u32_e64 s13, 0x7a, v24
	v_sub_nc_u32_e32 v16, 0x79, v24
	v_cmp_eq_u32_e32 vcc_lo, 0, v24
	v_or_b32_e32 v17, 0x800000, v2
	s_delay_alu instid0(VALU_DEP_1) | instskip(NEXT) | instid1(VALU_DEP_1)
	v_dual_cndmask_b32 v16, 0, v16, s13 :: v_dual_cndmask_b32 v2, v17, v2, vcc_lo
	v_cndmask_b32_e64 v25, v16, 0x78, vcc_lo
	s_delay_alu instid0(VALU_DEP_1) | instskip(NEXT) | instid1(VALU_DEP_1)
	v_dual_add_nc_u32 v16, 20, v25 :: v_dual_add_nc_u32 v18, 19, v25
	v_lshlrev_b64_e64 v[16:17], v16, -1
	s_delay_alu instid0(VALU_DEP_2) | instskip(NEXT) | instid1(VALU_DEP_2)
	v_lshlrev_b64_e64 v[18:19], v18, 1
	v_bfi_b32 v17, v17, 0, 0
	s_delay_alu instid0(VALU_DEP_3) | instskip(NEXT) | instid1(VALU_DEP_1)
	v_bfi_b32 v16, v16, 0, v2
	v_cmp_eq_u64_e64 s13, v[16:17], v[18:19]
	v_lshrrev_b64 v[16:17], v25, v[2:3]
	s_delay_alu instid0(VALU_DEP_1)
	v_mov_b64_e32 v[18:19], v[16:17]
	s_and_saveexec_b32 s76, s13
; %bb.4201:                             ;   in Loop: Header=BB4_4181 Depth=3
	v_bfe_u32 v2, v16, 20, 1
	s_delay_alu instid0(VALU_DEP_1) | instskip(NEXT) | instid1(VALU_DEP_1)
	v_add_nc_u64_e32 v[18:19], v[16:17], v[2:3]
	v_add_nc_u64_e32 v[18:19], -1, v[18:19]
; %bb.4202:                             ;   in Loop: Header=BB4_4181 Depth=3
	s_or_b32 exec_lo, exec_lo, s76
	v_add_nc_u32_e32 v2, 0xffffff81, v24
	v_lshrrev_b32_e32 v17, 23, v16
	s_mov_b32 s13, exec_lo
	s_delay_alu instid0(VALU_DEP_2) | instskip(NEXT) | instid1(VALU_DEP_1)
	v_cndmask_b32_e64 v2, v2, 0xffffff82, vcc_lo
	v_add3_u32 v24, v25, v2, v17
	v_and_b32_e32 v2, 0xfffff, v18
                                        ; implicit-def: $vgpr18
	s_delay_alu instid0(VALU_DEP_2) | instskip(NEXT) | instid1(VALU_DEP_2)
	v_add_nc_u32_e32 v19, 6, v24
	v_add_nc_u32_e32 v2, v2, v16
                                        ; implicit-def: $vgpr16_vgpr17
	s_delay_alu instid0(VALU_DEP_2)
	v_cmpx_ne_u32_e32 0, v19
	s_xor_b32 s13, exec_lo, s13
; %bb.4203:                             ;   in Loop: Header=BB4_4181 Depth=3
	s_delay_alu instid0(VALU_DEP_2) | instskip(SKIP_1) | instid1(VALU_DEP_1)
	v_cmp_lt_u64_e32 vcc_lo, 0xffffff, v[2:3]
	v_add_nc_u32_e32 v16, 7, v24
	v_cndmask_b32_e32 v18, v19, v16, vcc_lo
	v_cndmask_b32_e64 v16, 0, 1, vcc_lo
	s_delay_alu instid0(VALU_DEP_1)
	v_lshrrev_b64 v[16:17], v16, v[2:3]
; %bb.4204:                             ;   in Loop: Header=BB4_4181 Depth=3
	s_and_not1_saveexec_b32 s13, s13
; %bb.4205:                             ;   in Loop: Header=BB4_4181 Depth=3
	v_mov_b64_e32 v[16:17], v[2:3]
	v_bfe_u32 v18, v2, 23, 1
; %bb.4206:                             ;   in Loop: Header=BB4_4181 Depth=3
	s_or_b32 exec_lo, exec_lo, s13
	s_delay_alu instid0(VALU_DEP_2) | instskip(NEXT) | instid1(VALU_DEP_2)
	v_lshrrev_b64 v[16:17], 20, v[16:17]
	v_cmp_gt_i32_e32 vcc_lo, 16, v18
	v_cmp_ne_u32_e64 s13, 0, v18
                                        ; implicit-def: $vgpr61
	s_delay_alu instid0(VALU_DEP_3) | instskip(NEXT) | instid1(VALU_DEP_1)
	v_dual_cndmask_b32 v17, 0, v17 :: v_dual_cndmask_b32 v16, 7, v16
	v_cmp_ne_u64_e32 vcc_lo, 0, v[16:17]
	s_or_b32 s13, s13, vcc_lo
	s_delay_alu instid0(SALU_CYCLE_1) | instskip(NEXT) | instid1(SALU_CYCLE_1)
	s_and_saveexec_b32 s76, s13
	s_xor_b32 s13, exec_lo, s76
; %bb.4207:                             ;   in Loop: Header=BB4_4181 Depth=3
	v_min_i32_e32 v2, 15, v18
	s_delay_alu instid0(VALU_DEP_1) | instskip(NEXT) | instid1(VALU_DEP_1)
	v_lshl_or_b32 v2, v2, 3, v72
                                        ; implicit-def: $vgpr72
	v_and_or_b32 v61, v16, 7, v2
; %bb.4208:                             ;   in Loop: Header=BB4_4181 Depth=3
	s_and_not1_saveexec_b32 s13, s13
; %bb.4209:                             ;   in Loop: Header=BB4_4181 Depth=3
	v_mov_b32_e32 v61, v72
; %bb.4210:                             ;   in Loop: Header=BB4_4181 Depth=3
	s_or_b32 exec_lo, exec_lo, s13
.LBB4_4211:                             ;   in Loop: Header=BB4_4181 Depth=3
	s_delay_alu instid0(SALU_CYCLE_1)
	s_or_b32 exec_lo, exec_lo, s75
                                        ; implicit-def: $vgpr72
.LBB4_4212:                             ;   in Loop: Header=BB4_4181 Depth=3
	s_and_not1_saveexec_b32 s13, s74
; %bb.4213:                             ;   in Loop: Header=BB4_4181 Depth=3
	v_or_b32_e32 v61, 0x7e, v72
; %bb.4214:                             ;   in Loop: Header=BB4_4181 Depth=3
	s_or_b32 exec_lo, exec_lo, s13
                                        ; implicit-def: $vgpr17
.LBB4_4215:                             ;   in Loop: Header=BB4_4181 Depth=3
	s_and_not1_saveexec_b32 s13, s45
; %bb.4216:                             ;   in Loop: Header=BB4_4181 Depth=3
	v_or_b32_e32 v61, 0x7f, v17
; %bb.4217:                             ;   in Loop: Header=BB4_4181 Depth=3
	s_or_b32 exec_lo, exec_lo, s13
	v_and_b32_e32 v2, 0xff, v29
	v_dual_mov_b32 v18, 0 :: v_dual_mov_b32 v19, 0
	s_mov_b32 s13, exec_lo
	s_delay_alu instid0(VALU_DEP_2)
	v_cmpx_ne_u16_e32 0, v2
	s_cbranch_execz .LBB4_4225
; %bb.4218:                             ;   in Loop: Header=BB4_4181 Depth=3
	v_bfrev_b32_e32 v19, 1
	s_mov_b32 s45, exec_lo
	v_cmpx_ne_u16_e32 0x80, v2
	s_cbranch_execz .LBB4_4224
; %bb.4219:                             ;   in Loop: Header=BB4_4181 Depth=3
	v_and_b32_e32 v16, 0x7f, v29
	v_mov_b32_e32 v19, 0x7f800001
	s_mov_b32 s74, exec_lo
	s_delay_alu instid0(VALU_DEP_2)
	v_cmpx_ne_u32_e32 0x7f, v16
	s_cbranch_execz .LBB4_4223
; %bb.4220:                             ;   in Loop: Header=BB4_4181 Depth=3
	v_dual_lshrrev_b32 v19, 3, v16 :: v_dual_bitop2_b32 v2, 7, v2 bitop3:0x40
	v_cmp_gt_u32_e32 vcc_lo, 8, v16
	s_delay_alu instid0(VALU_DEP_2)
	v_mov_b64_e32 v[16:17], v[2:3]
	s_and_saveexec_b32 s75, vcc_lo
; %bb.4221:                             ;   in Loop: Header=BB4_4181 Depth=3
	v_clz_i32_u32_e32 v16, v2
	s_delay_alu instid0(VALU_DEP_1) | instskip(NEXT) | instid1(VALU_DEP_1)
	v_min_u32_e32 v19, 32, v16
	v_subrev_nc_u32_e32 v16, 28, v19
	s_delay_alu instid0(VALU_DEP_1) | instskip(NEXT) | instid1(VALU_DEP_1)
	v_lshlrev_b64_e32 v[16:17], v16, v[2:3]
	v_dual_sub_nc_u32 v19, 29, v19 :: v_dual_bitop2_b32 v16, 7, v16 bitop3:0x40
; %bb.4222:                             ;   in Loop: Header=BB4_4181 Depth=3
	s_or_b32 exec_lo, exec_lo, s75
	s_delay_alu instid0(VALU_DEP_1) | instskip(NEXT) | instid1(VALU_DEP_2)
	v_dual_lshlrev_b32 v2, 24, v29 :: v_dual_lshlrev_b32 v16, 20, v16
	v_lshl_add_u32 v17, v19, 23, 0x3c000000
	s_delay_alu instid0(VALU_DEP_2) | instskip(NEXT) | instid1(VALU_DEP_1)
	v_and_b32_e32 v2, 0x80000000, v2
	v_or3_b32 v19, v16, v2, v17
.LBB4_4223:                             ;   in Loop: Header=BB4_4181 Depth=3
	s_or_b32 exec_lo, exec_lo, s74
.LBB4_4224:                             ;   in Loop: Header=BB4_4181 Depth=3
	s_delay_alu instid0(SALU_CYCLE_1)
	s_or_b32 exec_lo, exec_lo, s45
.LBB4_4225:                             ;   in Loop: Header=BB4_4181 Depth=3
	s_delay_alu instid0(SALU_CYCLE_1) | instskip(SKIP_3) | instid1(VALU_DEP_1)
	s_or_b32 exec_lo, exec_lo, s13
	s_wait_loadcnt_dscnt 0xe0e
	v_and_b32_e32 v2, 0xff, v28
	s_mov_b32 s13, exec_lo
	v_cmpx_ne_u16_e32 0, v2
	s_cbranch_execz .LBB4_4233
; %bb.4226:                             ;   in Loop: Header=BB4_4181 Depth=3
	v_bfrev_b32_e32 v18, 1
	s_mov_b32 s45, exec_lo
	v_cmpx_ne_u16_e32 0x80, v2
	s_cbranch_execz .LBB4_4232
; %bb.4227:                             ;   in Loop: Header=BB4_4181 Depth=3
	v_and_b32_e32 v16, 0x7f, v28
	v_mov_b32_e32 v18, 0x7f800001
	s_mov_b32 s74, exec_lo
	s_delay_alu instid0(VALU_DEP_2)
	v_cmpx_ne_u32_e32 0x7f, v16
	s_cbranch_execz .LBB4_4231
; %bb.4228:                             ;   in Loop: Header=BB4_4181 Depth=3
	v_dual_lshrrev_b32 v18, 3, v16 :: v_dual_bitop2_b32 v2, 7, v2 bitop3:0x40
	v_cmp_gt_u32_e32 vcc_lo, 8, v16
	s_delay_alu instid0(VALU_DEP_2)
	v_mov_b64_e32 v[16:17], v[2:3]
	s_and_saveexec_b32 s75, vcc_lo
; %bb.4229:                             ;   in Loop: Header=BB4_4181 Depth=3
	v_clz_i32_u32_e32 v16, v2
	s_delay_alu instid0(VALU_DEP_1) | instskip(NEXT) | instid1(VALU_DEP_1)
	v_min_u32_e32 v18, 32, v16
	v_subrev_nc_u32_e32 v16, 28, v18
	s_delay_alu instid0(VALU_DEP_1) | instskip(NEXT) | instid1(VALU_DEP_1)
	v_lshlrev_b64_e32 v[16:17], v16, v[2:3]
	v_dual_sub_nc_u32 v18, 29, v18 :: v_dual_bitop2_b32 v16, 7, v16 bitop3:0x40
; %bb.4230:                             ;   in Loop: Header=BB4_4181 Depth=3
	s_or_b32 exec_lo, exec_lo, s75
	v_lshlrev_b32_e32 v2, 24, v28
	s_delay_alu instid0(VALU_DEP_2) | instskip(NEXT) | instid1(VALU_DEP_3)
	v_lshlrev_b32_e32 v16, 20, v16
	v_lshl_add_u32 v17, v18, 23, 0x3c000000
	s_delay_alu instid0(VALU_DEP_3) | instskip(NEXT) | instid1(VALU_DEP_1)
	v_and_b32_e32 v2, 0x80000000, v2
	v_or3_b32 v18, v16, v2, v17
.LBB4_4231:                             ;   in Loop: Header=BB4_4181 Depth=3
	s_or_b32 exec_lo, exec_lo, s74
.LBB4_4232:                             ;   in Loop: Header=BB4_4181 Depth=3
	s_delay_alu instid0(SALU_CYCLE_1)
	s_or_b32 exec_lo, exec_lo, s45
.LBB4_4233:                             ;   in Loop: Header=BB4_4181 Depth=3
	s_delay_alu instid0(SALU_CYCLE_1) | instskip(NEXT) | instid1(VALU_DEP_1)
	s_or_b32 exec_lo, exec_lo, s13
	v_add_f32_e32 v16, v19, v18
                                        ; implicit-def: $vgpr72
	s_mov_b32 s13, exec_lo
	s_delay_alu instid0(VALU_DEP_1) | instskip(SKIP_1) | instid1(VALU_DEP_2)
	v_and_b32_e32 v2, 0x7f800000, v16
	v_lshrrev_b32_e32 v17, 24, v16
	v_cmpx_ne_u64_e32 0x7f800000, v[2:3]
	s_xor_b32 s45, exec_lo, s13
	s_cbranch_execz .LBB4_4251
; %bb.4234:                             ;   in Loop: Header=BB4_4181 Depth=3
	v_and_b32_e32 v2, 0x7fffffff, v16
	v_and_b32_e32 v28, 0x80, v17
                                        ; implicit-def: $vgpr72
	s_mov_b32 s13, exec_lo
	s_delay_alu instid0(VALU_DEP_2)
	v_cmpx_gt_u64_e32 0x43e00001, v[2:3]
	s_xor_b32 s74, exec_lo, s13
	s_cbranch_execz .LBB4_4248
; %bb.4235:                             ;   in Loop: Header=BB4_4181 Depth=3
	v_mov_b32_e32 v72, 0
	s_mov_b32 s75, exec_lo
	v_cmpx_ne_u32_e32 0, v16
	s_cbranch_execz .LBB4_4247
; %bb.4236:                             ;   in Loop: Header=BB4_4181 Depth=3
	v_bfe_u32 v24, v16, 23, 8
	v_and_b32_e32 v2, 0x7fffff, v16
	s_delay_alu instid0(VALU_DEP_2) | instskip(SKIP_2) | instid1(VALU_DEP_4)
	v_cmp_gt_u32_e64 s13, 0x7a, v24
	v_sub_nc_u32_e32 v16, 0x79, v24
	v_cmp_eq_u32_e32 vcc_lo, 0, v24
	v_or_b32_e32 v17, 0x800000, v2
	s_delay_alu instid0(VALU_DEP_1) | instskip(NEXT) | instid1(VALU_DEP_1)
	v_dual_cndmask_b32 v16, 0, v16, s13 :: v_dual_cndmask_b32 v2, v17, v2, vcc_lo
	v_cndmask_b32_e64 v25, v16, 0x78, vcc_lo
	s_delay_alu instid0(VALU_DEP_1) | instskip(NEXT) | instid1(VALU_DEP_1)
	v_dual_add_nc_u32 v16, 20, v25 :: v_dual_add_nc_u32 v18, 19, v25
	v_lshlrev_b64_e64 v[16:17], v16, -1
	s_delay_alu instid0(VALU_DEP_2) | instskip(NEXT) | instid1(VALU_DEP_2)
	v_lshlrev_b64_e64 v[18:19], v18, 1
	v_bfi_b32 v17, v17, 0, 0
	s_delay_alu instid0(VALU_DEP_3) | instskip(NEXT) | instid1(VALU_DEP_1)
	v_bfi_b32 v16, v16, 0, v2
	v_cmp_eq_u64_e64 s13, v[16:17], v[18:19]
	v_lshrrev_b64 v[16:17], v25, v[2:3]
	s_delay_alu instid0(VALU_DEP_1)
	v_mov_b64_e32 v[18:19], v[16:17]
	s_and_saveexec_b32 s76, s13
; %bb.4237:                             ;   in Loop: Header=BB4_4181 Depth=3
	v_bfe_u32 v2, v16, 20, 1
	s_delay_alu instid0(VALU_DEP_1) | instskip(NEXT) | instid1(VALU_DEP_1)
	v_add_nc_u64_e32 v[18:19], v[16:17], v[2:3]
	v_add_nc_u64_e32 v[18:19], -1, v[18:19]
; %bb.4238:                             ;   in Loop: Header=BB4_4181 Depth=3
	s_or_b32 exec_lo, exec_lo, s76
	v_add_nc_u32_e32 v2, 0xffffff81, v24
	v_lshrrev_b32_e32 v17, 23, v16
	s_mov_b32 s13, exec_lo
	s_delay_alu instid0(VALU_DEP_2) | instskip(NEXT) | instid1(VALU_DEP_1)
	v_cndmask_b32_e64 v2, v2, 0xffffff82, vcc_lo
	v_add3_u32 v24, v25, v2, v17
	v_and_b32_e32 v2, 0xfffff, v18
                                        ; implicit-def: $vgpr18
	s_delay_alu instid0(VALU_DEP_2) | instskip(NEXT) | instid1(VALU_DEP_2)
	v_add_nc_u32_e32 v19, 6, v24
	v_add_nc_u32_e32 v2, v2, v16
                                        ; implicit-def: $vgpr16_vgpr17
	s_delay_alu instid0(VALU_DEP_2)
	v_cmpx_ne_u32_e32 0, v19
	s_xor_b32 s13, exec_lo, s13
; %bb.4239:                             ;   in Loop: Header=BB4_4181 Depth=3
	s_delay_alu instid0(VALU_DEP_2) | instskip(SKIP_1) | instid1(VALU_DEP_1)
	v_cmp_lt_u64_e32 vcc_lo, 0xffffff, v[2:3]
	v_add_nc_u32_e32 v16, 7, v24
	v_cndmask_b32_e32 v18, v19, v16, vcc_lo
	v_cndmask_b32_e64 v16, 0, 1, vcc_lo
	s_delay_alu instid0(VALU_DEP_1)
	v_lshrrev_b64 v[16:17], v16, v[2:3]
; %bb.4240:                             ;   in Loop: Header=BB4_4181 Depth=3
	s_and_not1_saveexec_b32 s13, s13
; %bb.4241:                             ;   in Loop: Header=BB4_4181 Depth=3
	v_mov_b64_e32 v[16:17], v[2:3]
	v_bfe_u32 v18, v2, 23, 1
; %bb.4242:                             ;   in Loop: Header=BB4_4181 Depth=3
	s_or_b32 exec_lo, exec_lo, s13
	s_delay_alu instid0(VALU_DEP_2) | instskip(NEXT) | instid1(VALU_DEP_2)
	v_lshrrev_b64 v[16:17], 20, v[16:17]
	v_cmp_gt_i32_e32 vcc_lo, 16, v18
	v_cmp_ne_u32_e64 s13, 0, v18
                                        ; implicit-def: $vgpr72
	s_delay_alu instid0(VALU_DEP_3) | instskip(NEXT) | instid1(VALU_DEP_1)
	v_dual_cndmask_b32 v17, 0, v17 :: v_dual_cndmask_b32 v16, 7, v16
	v_cmp_ne_u64_e32 vcc_lo, 0, v[16:17]
	s_or_b32 s13, s13, vcc_lo
	s_delay_alu instid0(SALU_CYCLE_1) | instskip(NEXT) | instid1(SALU_CYCLE_1)
	s_and_saveexec_b32 s76, s13
	s_xor_b32 s13, exec_lo, s76
; %bb.4243:                             ;   in Loop: Header=BB4_4181 Depth=3
	v_min_i32_e32 v2, 15, v18
	s_delay_alu instid0(VALU_DEP_1) | instskip(NEXT) | instid1(VALU_DEP_1)
	v_lshl_or_b32 v2, v2, 3, v28
                                        ; implicit-def: $vgpr28
	v_and_or_b32 v72, v16, 7, v2
; %bb.4244:                             ;   in Loop: Header=BB4_4181 Depth=3
	s_and_not1_saveexec_b32 s13, s13
; %bb.4245:                             ;   in Loop: Header=BB4_4181 Depth=3
	v_mov_b32_e32 v72, v28
; %bb.4246:                             ;   in Loop: Header=BB4_4181 Depth=3
	s_or_b32 exec_lo, exec_lo, s13
.LBB4_4247:                             ;   in Loop: Header=BB4_4181 Depth=3
	s_delay_alu instid0(SALU_CYCLE_1)
	s_or_b32 exec_lo, exec_lo, s75
                                        ; implicit-def: $vgpr28
.LBB4_4248:                             ;   in Loop: Header=BB4_4181 Depth=3
	s_and_not1_saveexec_b32 s13, s74
; %bb.4249:                             ;   in Loop: Header=BB4_4181 Depth=3
	v_or_b32_e32 v72, 0x7e, v28
; %bb.4250:                             ;   in Loop: Header=BB4_4181 Depth=3
	s_or_b32 exec_lo, exec_lo, s13
                                        ; implicit-def: $vgpr17
.LBB4_4251:                             ;   in Loop: Header=BB4_4181 Depth=3
	s_and_not1_saveexec_b32 s13, s45
; %bb.4252:                             ;   in Loop: Header=BB4_4181 Depth=3
	v_or_b32_e32 v72, 0x7f, v17
; %bb.4253:                             ;   in Loop: Header=BB4_4181 Depth=3
	s_or_b32 exec_lo, exec_lo, s13
	v_and_b32_e32 v2, 0xff, v88
	v_dual_mov_b32 v18, 0 :: v_dual_mov_b32 v19, 0
	s_mov_b32 s13, exec_lo
	s_delay_alu instid0(VALU_DEP_2)
	v_cmpx_ne_u16_e32 0, v2
	s_cbranch_execz .LBB4_4261
; %bb.4254:                             ;   in Loop: Header=BB4_4181 Depth=3
	v_bfrev_b32_e32 v19, 1
	s_mov_b32 s45, exec_lo
	v_cmpx_ne_u16_e32 0x80, v2
	s_cbranch_execz .LBB4_4260
; %bb.4255:                             ;   in Loop: Header=BB4_4181 Depth=3
	v_and_b32_e32 v16, 0x7f, v88
	v_mov_b32_e32 v19, 0x7f800001
	s_mov_b32 s74, exec_lo
	s_delay_alu instid0(VALU_DEP_2)
	v_cmpx_ne_u32_e32 0x7f, v16
	s_cbranch_execz .LBB4_4259
; %bb.4256:                             ;   in Loop: Header=BB4_4181 Depth=3
	v_dual_lshrrev_b32 v19, 3, v16 :: v_dual_bitop2_b32 v2, 7, v2 bitop3:0x40
	v_cmp_gt_u32_e32 vcc_lo, 8, v16
	s_delay_alu instid0(VALU_DEP_2)
	v_mov_b64_e32 v[16:17], v[2:3]
	s_and_saveexec_b32 s75, vcc_lo
; %bb.4257:                             ;   in Loop: Header=BB4_4181 Depth=3
	v_clz_i32_u32_e32 v16, v2
	s_delay_alu instid0(VALU_DEP_1) | instskip(NEXT) | instid1(VALU_DEP_1)
	v_min_u32_e32 v19, 32, v16
	v_subrev_nc_u32_e32 v16, 28, v19
	s_delay_alu instid0(VALU_DEP_1) | instskip(NEXT) | instid1(VALU_DEP_1)
	v_lshlrev_b64_e32 v[16:17], v16, v[2:3]
	v_dual_sub_nc_u32 v19, 29, v19 :: v_dual_bitop2_b32 v16, 7, v16 bitop3:0x40
; %bb.4258:                             ;   in Loop: Header=BB4_4181 Depth=3
	s_or_b32 exec_lo, exec_lo, s75
	v_lshlrev_b32_e32 v2, 24, v88
	s_delay_alu instid0(VALU_DEP_2) | instskip(NEXT) | instid1(VALU_DEP_3)
	v_lshlrev_b32_e32 v16, 20, v16
	v_lshl_add_u32 v17, v19, 23, 0x3c000000
	s_delay_alu instid0(VALU_DEP_3) | instskip(NEXT) | instid1(VALU_DEP_1)
	v_and_b32_e32 v2, 0x80000000, v2
	v_or3_b32 v19, v16, v2, v17
.LBB4_4259:                             ;   in Loop: Header=BB4_4181 Depth=3
	s_or_b32 exec_lo, exec_lo, s74
.LBB4_4260:                             ;   in Loop: Header=BB4_4181 Depth=3
	s_delay_alu instid0(SALU_CYCLE_1)
	s_or_b32 exec_lo, exec_lo, s45
.LBB4_4261:                             ;   in Loop: Header=BB4_4181 Depth=3
	s_delay_alu instid0(SALU_CYCLE_1) | instskip(SKIP_3) | instid1(VALU_DEP_1)
	s_or_b32 exec_lo, exec_lo, s13
	s_wait_loadcnt_dscnt 0xd0d
	v_and_b32_e32 v2, 0xff, v75
	s_mov_b32 s13, exec_lo
	v_cmpx_ne_u16_e32 0, v2
	s_cbranch_execz .LBB4_4269
; %bb.4262:                             ;   in Loop: Header=BB4_4181 Depth=3
	v_bfrev_b32_e32 v18, 1
	s_mov_b32 s45, exec_lo
	v_cmpx_ne_u16_e32 0x80, v2
	s_cbranch_execz .LBB4_4268
; %bb.4263:                             ;   in Loop: Header=BB4_4181 Depth=3
	v_and_b32_e32 v16, 0x7f, v75
	v_mov_b32_e32 v18, 0x7f800001
	s_mov_b32 s74, exec_lo
	s_delay_alu instid0(VALU_DEP_2)
	v_cmpx_ne_u32_e32 0x7f, v16
	s_cbranch_execz .LBB4_4267
; %bb.4264:                             ;   in Loop: Header=BB4_4181 Depth=3
	v_dual_lshrrev_b32 v18, 3, v16 :: v_dual_bitop2_b32 v2, 7, v2 bitop3:0x40
	v_cmp_gt_u32_e32 vcc_lo, 8, v16
	s_delay_alu instid0(VALU_DEP_2)
	v_mov_b64_e32 v[16:17], v[2:3]
	s_and_saveexec_b32 s75, vcc_lo
; %bb.4265:                             ;   in Loop: Header=BB4_4181 Depth=3
	v_clz_i32_u32_e32 v16, v2
	s_delay_alu instid0(VALU_DEP_1) | instskip(NEXT) | instid1(VALU_DEP_1)
	v_min_u32_e32 v18, 32, v16
	v_subrev_nc_u32_e32 v16, 28, v18
	s_delay_alu instid0(VALU_DEP_1) | instskip(NEXT) | instid1(VALU_DEP_1)
	v_lshlrev_b64_e32 v[16:17], v16, v[2:3]
	v_dual_sub_nc_u32 v18, 29, v18 :: v_dual_bitop2_b32 v16, 7, v16 bitop3:0x40
; %bb.4266:                             ;   in Loop: Header=BB4_4181 Depth=3
	s_or_b32 exec_lo, exec_lo, s75
	s_delay_alu instid0(VALU_DEP_1) | instskip(NEXT) | instid1(VALU_DEP_2)
	v_dual_lshlrev_b32 v2, 24, v75 :: v_dual_lshlrev_b32 v16, 20, v16
	v_lshl_add_u32 v17, v18, 23, 0x3c000000
	s_delay_alu instid0(VALU_DEP_2) | instskip(NEXT) | instid1(VALU_DEP_1)
	v_and_b32_e32 v2, 0x80000000, v2
	v_or3_b32 v18, v16, v2, v17
.LBB4_4267:                             ;   in Loop: Header=BB4_4181 Depth=3
	s_or_b32 exec_lo, exec_lo, s74
.LBB4_4268:                             ;   in Loop: Header=BB4_4181 Depth=3
	s_delay_alu instid0(SALU_CYCLE_1)
	s_or_b32 exec_lo, exec_lo, s45
.LBB4_4269:                             ;   in Loop: Header=BB4_4181 Depth=3
	s_delay_alu instid0(SALU_CYCLE_1) | instskip(NEXT) | instid1(VALU_DEP_1)
	s_or_b32 exec_lo, exec_lo, s13
	v_add_f32_e32 v16, v19, v18
                                        ; implicit-def: $vgpr75
	s_mov_b32 s13, exec_lo
	s_delay_alu instid0(VALU_DEP_1) | instskip(SKIP_1) | instid1(VALU_DEP_2)
	v_and_b32_e32 v2, 0x7f800000, v16
	v_lshrrev_b32_e32 v17, 24, v16
	v_cmpx_ne_u64_e32 0x7f800000, v[2:3]
	s_xor_b32 s45, exec_lo, s13
	s_cbranch_execz .LBB4_4287
; %bb.4270:                             ;   in Loop: Header=BB4_4181 Depth=3
	v_and_b32_e32 v2, 0x7fffffff, v16
	v_and_b32_e32 v28, 0x80, v17
                                        ; implicit-def: $vgpr75
	s_mov_b32 s13, exec_lo
	s_delay_alu instid0(VALU_DEP_2)
	v_cmpx_gt_u64_e32 0x43e00001, v[2:3]
	s_xor_b32 s74, exec_lo, s13
	s_cbranch_execz .LBB4_4284
; %bb.4271:                             ;   in Loop: Header=BB4_4181 Depth=3
	v_mov_b32_e32 v75, 0
	s_mov_b32 s75, exec_lo
	v_cmpx_ne_u32_e32 0, v16
	s_cbranch_execz .LBB4_4283
; %bb.4272:                             ;   in Loop: Header=BB4_4181 Depth=3
	v_bfe_u32 v24, v16, 23, 8
	v_and_b32_e32 v2, 0x7fffff, v16
	s_delay_alu instid0(VALU_DEP_2) | instskip(SKIP_2) | instid1(VALU_DEP_4)
	v_cmp_gt_u32_e64 s13, 0x7a, v24
	v_sub_nc_u32_e32 v16, 0x79, v24
	v_cmp_eq_u32_e32 vcc_lo, 0, v24
	v_or_b32_e32 v17, 0x800000, v2
	s_delay_alu instid0(VALU_DEP_1) | instskip(NEXT) | instid1(VALU_DEP_1)
	v_dual_cndmask_b32 v16, 0, v16, s13 :: v_dual_cndmask_b32 v2, v17, v2, vcc_lo
	v_cndmask_b32_e64 v25, v16, 0x78, vcc_lo
	s_delay_alu instid0(VALU_DEP_1) | instskip(NEXT) | instid1(VALU_DEP_1)
	v_dual_add_nc_u32 v16, 20, v25 :: v_dual_add_nc_u32 v18, 19, v25
	v_lshlrev_b64_e64 v[16:17], v16, -1
	s_delay_alu instid0(VALU_DEP_2) | instskip(NEXT) | instid1(VALU_DEP_2)
	v_lshlrev_b64_e64 v[18:19], v18, 1
	v_bfi_b32 v17, v17, 0, 0
	s_delay_alu instid0(VALU_DEP_3) | instskip(NEXT) | instid1(VALU_DEP_1)
	v_bfi_b32 v16, v16, 0, v2
	v_cmp_eq_u64_e64 s13, v[16:17], v[18:19]
	v_lshrrev_b64 v[16:17], v25, v[2:3]
	s_delay_alu instid0(VALU_DEP_1)
	v_mov_b64_e32 v[18:19], v[16:17]
	s_and_saveexec_b32 s76, s13
; %bb.4273:                             ;   in Loop: Header=BB4_4181 Depth=3
	v_bfe_u32 v2, v16, 20, 1
	s_delay_alu instid0(VALU_DEP_1) | instskip(NEXT) | instid1(VALU_DEP_1)
	v_add_nc_u64_e32 v[18:19], v[16:17], v[2:3]
	v_add_nc_u64_e32 v[18:19], -1, v[18:19]
; %bb.4274:                             ;   in Loop: Header=BB4_4181 Depth=3
	s_or_b32 exec_lo, exec_lo, s76
	v_add_nc_u32_e32 v2, 0xffffff81, v24
	v_lshrrev_b32_e32 v17, 23, v16
	s_mov_b32 s13, exec_lo
	s_delay_alu instid0(VALU_DEP_2) | instskip(NEXT) | instid1(VALU_DEP_1)
	v_cndmask_b32_e64 v2, v2, 0xffffff82, vcc_lo
	v_add3_u32 v24, v25, v2, v17
	v_and_b32_e32 v2, 0xfffff, v18
                                        ; implicit-def: $vgpr18
	s_delay_alu instid0(VALU_DEP_2) | instskip(NEXT) | instid1(VALU_DEP_2)
	v_add_nc_u32_e32 v19, 6, v24
	v_add_nc_u32_e32 v2, v2, v16
                                        ; implicit-def: $vgpr16_vgpr17
	s_delay_alu instid0(VALU_DEP_2)
	v_cmpx_ne_u32_e32 0, v19
	s_xor_b32 s13, exec_lo, s13
; %bb.4275:                             ;   in Loop: Header=BB4_4181 Depth=3
	s_delay_alu instid0(VALU_DEP_2) | instskip(SKIP_1) | instid1(VALU_DEP_1)
	v_cmp_lt_u64_e32 vcc_lo, 0xffffff, v[2:3]
	v_add_nc_u32_e32 v16, 7, v24
	v_cndmask_b32_e32 v18, v19, v16, vcc_lo
	v_cndmask_b32_e64 v16, 0, 1, vcc_lo
	s_delay_alu instid0(VALU_DEP_1)
	v_lshrrev_b64 v[16:17], v16, v[2:3]
; %bb.4276:                             ;   in Loop: Header=BB4_4181 Depth=3
	s_and_not1_saveexec_b32 s13, s13
; %bb.4277:                             ;   in Loop: Header=BB4_4181 Depth=3
	v_mov_b64_e32 v[16:17], v[2:3]
	v_bfe_u32 v18, v2, 23, 1
; %bb.4278:                             ;   in Loop: Header=BB4_4181 Depth=3
	s_or_b32 exec_lo, exec_lo, s13
	s_delay_alu instid0(VALU_DEP_2) | instskip(NEXT) | instid1(VALU_DEP_2)
	v_lshrrev_b64 v[16:17], 20, v[16:17]
	v_cmp_gt_i32_e32 vcc_lo, 16, v18
	v_cmp_ne_u32_e64 s13, 0, v18
                                        ; implicit-def: $vgpr75
	s_delay_alu instid0(VALU_DEP_3) | instskip(NEXT) | instid1(VALU_DEP_1)
	v_dual_cndmask_b32 v17, 0, v17 :: v_dual_cndmask_b32 v16, 7, v16
	v_cmp_ne_u64_e32 vcc_lo, 0, v[16:17]
	s_or_b32 s13, s13, vcc_lo
	s_delay_alu instid0(SALU_CYCLE_1) | instskip(NEXT) | instid1(SALU_CYCLE_1)
	s_and_saveexec_b32 s76, s13
	s_xor_b32 s13, exec_lo, s76
; %bb.4279:                             ;   in Loop: Header=BB4_4181 Depth=3
	v_min_i32_e32 v2, 15, v18
	s_delay_alu instid0(VALU_DEP_1) | instskip(NEXT) | instid1(VALU_DEP_1)
	v_lshl_or_b32 v2, v2, 3, v28
                                        ; implicit-def: $vgpr28
	v_and_or_b32 v75, v16, 7, v2
; %bb.4280:                             ;   in Loop: Header=BB4_4181 Depth=3
	s_and_not1_saveexec_b32 s13, s13
; %bb.4281:                             ;   in Loop: Header=BB4_4181 Depth=3
	v_mov_b32_e32 v75, v28
; %bb.4282:                             ;   in Loop: Header=BB4_4181 Depth=3
	s_or_b32 exec_lo, exec_lo, s13
.LBB4_4283:                             ;   in Loop: Header=BB4_4181 Depth=3
	s_delay_alu instid0(SALU_CYCLE_1)
	s_or_b32 exec_lo, exec_lo, s75
                                        ; implicit-def: $vgpr28
.LBB4_4284:                             ;   in Loop: Header=BB4_4181 Depth=3
	s_and_not1_saveexec_b32 s13, s74
; %bb.4285:                             ;   in Loop: Header=BB4_4181 Depth=3
	v_or_b32_e32 v75, 0x7e, v28
; %bb.4286:                             ;   in Loop: Header=BB4_4181 Depth=3
	s_or_b32 exec_lo, exec_lo, s13
                                        ; implicit-def: $vgpr17
.LBB4_4287:                             ;   in Loop: Header=BB4_4181 Depth=3
	s_and_not1_saveexec_b32 s13, s45
; %bb.4288:                             ;   in Loop: Header=BB4_4181 Depth=3
	v_or_b32_e32 v75, 0x7f, v17
; %bb.4289:                             ;   in Loop: Header=BB4_4181 Depth=3
	s_or_b32 exec_lo, exec_lo, s13
	v_and_b32_e32 v2, 0xff, v105
	v_dual_mov_b32 v18, 0 :: v_dual_mov_b32 v19, 0
	s_mov_b32 s13, exec_lo
	s_delay_alu instid0(VALU_DEP_2)
	v_cmpx_ne_u16_e32 0, v2
	s_cbranch_execz .LBB4_4297
; %bb.4290:                             ;   in Loop: Header=BB4_4181 Depth=3
	v_bfrev_b32_e32 v19, 1
	s_mov_b32 s45, exec_lo
	v_cmpx_ne_u16_e32 0x80, v2
	s_cbranch_execz .LBB4_4296
; %bb.4291:                             ;   in Loop: Header=BB4_4181 Depth=3
	v_and_b32_e32 v16, 0x7f, v105
	v_mov_b32_e32 v19, 0x7f800001
	s_mov_b32 s74, exec_lo
	s_delay_alu instid0(VALU_DEP_2)
	v_cmpx_ne_u32_e32 0x7f, v16
	s_cbranch_execz .LBB4_4295
; %bb.4292:                             ;   in Loop: Header=BB4_4181 Depth=3
	v_dual_lshrrev_b32 v19, 3, v16 :: v_dual_bitop2_b32 v2, 7, v2 bitop3:0x40
	v_cmp_gt_u32_e32 vcc_lo, 8, v16
	s_delay_alu instid0(VALU_DEP_2)
	v_mov_b64_e32 v[16:17], v[2:3]
	s_and_saveexec_b32 s75, vcc_lo
; %bb.4293:                             ;   in Loop: Header=BB4_4181 Depth=3
	v_clz_i32_u32_e32 v16, v2
	s_delay_alu instid0(VALU_DEP_1) | instskip(NEXT) | instid1(VALU_DEP_1)
	v_min_u32_e32 v19, 32, v16
	v_subrev_nc_u32_e32 v16, 28, v19
	s_delay_alu instid0(VALU_DEP_1) | instskip(NEXT) | instid1(VALU_DEP_1)
	v_lshlrev_b64_e32 v[16:17], v16, v[2:3]
	v_dual_sub_nc_u32 v19, 29, v19 :: v_dual_bitop2_b32 v16, 7, v16 bitop3:0x40
; %bb.4294:                             ;   in Loop: Header=BB4_4181 Depth=3
	s_or_b32 exec_lo, exec_lo, s75
	s_delay_alu instid0(VALU_DEP_1) | instskip(NEXT) | instid1(VALU_DEP_2)
	v_dual_lshlrev_b32 v2, 24, v105 :: v_dual_lshlrev_b32 v16, 20, v16
	v_lshl_add_u32 v17, v19, 23, 0x3c000000
	s_delay_alu instid0(VALU_DEP_2) | instskip(NEXT) | instid1(VALU_DEP_1)
	v_and_b32_e32 v2, 0x80000000, v2
	v_or3_b32 v19, v16, v2, v17
.LBB4_4295:                             ;   in Loop: Header=BB4_4181 Depth=3
	s_or_b32 exec_lo, exec_lo, s74
.LBB4_4296:                             ;   in Loop: Header=BB4_4181 Depth=3
	s_delay_alu instid0(SALU_CYCLE_1)
	s_or_b32 exec_lo, exec_lo, s45
.LBB4_4297:                             ;   in Loop: Header=BB4_4181 Depth=3
	s_delay_alu instid0(SALU_CYCLE_1) | instskip(SKIP_3) | instid1(VALU_DEP_1)
	s_or_b32 exec_lo, exec_lo, s13
	s_wait_loadcnt_dscnt 0xc0c
	v_and_b32_e32 v2, 0xff, v78
	s_mov_b32 s13, exec_lo
	v_cmpx_ne_u16_e32 0, v2
	s_cbranch_execz .LBB4_4305
; %bb.4298:                             ;   in Loop: Header=BB4_4181 Depth=3
	v_bfrev_b32_e32 v18, 1
	s_mov_b32 s45, exec_lo
	v_cmpx_ne_u16_e32 0x80, v2
	s_cbranch_execz .LBB4_4304
; %bb.4299:                             ;   in Loop: Header=BB4_4181 Depth=3
	v_and_b32_e32 v16, 0x7f, v78
	v_mov_b32_e32 v18, 0x7f800001
	s_mov_b32 s74, exec_lo
	s_delay_alu instid0(VALU_DEP_2)
	v_cmpx_ne_u32_e32 0x7f, v16
	s_cbranch_execz .LBB4_4303
; %bb.4300:                             ;   in Loop: Header=BB4_4181 Depth=3
	v_dual_lshrrev_b32 v18, 3, v16 :: v_dual_bitop2_b32 v2, 7, v2 bitop3:0x40
	v_cmp_gt_u32_e32 vcc_lo, 8, v16
	s_delay_alu instid0(VALU_DEP_2)
	v_mov_b64_e32 v[16:17], v[2:3]
	s_and_saveexec_b32 s75, vcc_lo
; %bb.4301:                             ;   in Loop: Header=BB4_4181 Depth=3
	v_clz_i32_u32_e32 v16, v2
	s_delay_alu instid0(VALU_DEP_1) | instskip(NEXT) | instid1(VALU_DEP_1)
	v_min_u32_e32 v18, 32, v16
	v_subrev_nc_u32_e32 v16, 28, v18
	s_delay_alu instid0(VALU_DEP_1) | instskip(NEXT) | instid1(VALU_DEP_1)
	v_lshlrev_b64_e32 v[16:17], v16, v[2:3]
	v_dual_sub_nc_u32 v18, 29, v18 :: v_dual_bitop2_b32 v16, 7, v16 bitop3:0x40
; %bb.4302:                             ;   in Loop: Header=BB4_4181 Depth=3
	s_or_b32 exec_lo, exec_lo, s75
	s_delay_alu instid0(VALU_DEP_1) | instskip(NEXT) | instid1(VALU_DEP_2)
	v_dual_lshlrev_b32 v2, 24, v78 :: v_dual_lshlrev_b32 v16, 20, v16
	v_lshl_add_u32 v17, v18, 23, 0x3c000000
	s_delay_alu instid0(VALU_DEP_2) | instskip(NEXT) | instid1(VALU_DEP_1)
	v_and_b32_e32 v2, 0x80000000, v2
	v_or3_b32 v18, v16, v2, v17
.LBB4_4303:                             ;   in Loop: Header=BB4_4181 Depth=3
	s_or_b32 exec_lo, exec_lo, s74
.LBB4_4304:                             ;   in Loop: Header=BB4_4181 Depth=3
	s_delay_alu instid0(SALU_CYCLE_1)
	s_or_b32 exec_lo, exec_lo, s45
.LBB4_4305:                             ;   in Loop: Header=BB4_4181 Depth=3
	s_delay_alu instid0(SALU_CYCLE_1) | instskip(NEXT) | instid1(VALU_DEP_1)
	s_or_b32 exec_lo, exec_lo, s13
	v_add_f32_e32 v16, v19, v18
                                        ; implicit-def: $vgpr78
	s_mov_b32 s13, exec_lo
	s_delay_alu instid0(VALU_DEP_1) | instskip(SKIP_1) | instid1(VALU_DEP_2)
	v_and_b32_e32 v2, 0x7f800000, v16
	v_lshrrev_b32_e32 v17, 24, v16
	v_cmpx_ne_u64_e32 0x7f800000, v[2:3]
	s_xor_b32 s45, exec_lo, s13
	s_cbranch_execz .LBB4_4323
; %bb.4306:                             ;   in Loop: Header=BB4_4181 Depth=3
	v_and_b32_e32 v2, 0x7fffffff, v16
	v_and_b32_e32 v28, 0x80, v17
                                        ; implicit-def: $vgpr78
	s_mov_b32 s13, exec_lo
	s_delay_alu instid0(VALU_DEP_2)
	v_cmpx_gt_u64_e32 0x43e00001, v[2:3]
	s_xor_b32 s74, exec_lo, s13
	s_cbranch_execz .LBB4_4320
; %bb.4307:                             ;   in Loop: Header=BB4_4181 Depth=3
	v_mov_b32_e32 v78, 0
	s_mov_b32 s75, exec_lo
	v_cmpx_ne_u32_e32 0, v16
	s_cbranch_execz .LBB4_4319
; %bb.4308:                             ;   in Loop: Header=BB4_4181 Depth=3
	v_bfe_u32 v24, v16, 23, 8
	v_and_b32_e32 v2, 0x7fffff, v16
	s_delay_alu instid0(VALU_DEP_2) | instskip(SKIP_2) | instid1(VALU_DEP_4)
	v_cmp_gt_u32_e64 s13, 0x7a, v24
	v_sub_nc_u32_e32 v16, 0x79, v24
	v_cmp_eq_u32_e32 vcc_lo, 0, v24
	v_or_b32_e32 v17, 0x800000, v2
	s_delay_alu instid0(VALU_DEP_1) | instskip(NEXT) | instid1(VALU_DEP_1)
	v_dual_cndmask_b32 v16, 0, v16, s13 :: v_dual_cndmask_b32 v2, v17, v2, vcc_lo
	v_cndmask_b32_e64 v25, v16, 0x78, vcc_lo
	s_delay_alu instid0(VALU_DEP_1) | instskip(NEXT) | instid1(VALU_DEP_1)
	v_dual_add_nc_u32 v16, 20, v25 :: v_dual_add_nc_u32 v18, 19, v25
	v_lshlrev_b64_e64 v[16:17], v16, -1
	s_delay_alu instid0(VALU_DEP_2) | instskip(NEXT) | instid1(VALU_DEP_2)
	v_lshlrev_b64_e64 v[18:19], v18, 1
	v_bfi_b32 v17, v17, 0, 0
	s_delay_alu instid0(VALU_DEP_3) | instskip(NEXT) | instid1(VALU_DEP_1)
	v_bfi_b32 v16, v16, 0, v2
	v_cmp_eq_u64_e64 s13, v[16:17], v[18:19]
	v_lshrrev_b64 v[16:17], v25, v[2:3]
	s_delay_alu instid0(VALU_DEP_1)
	v_mov_b64_e32 v[18:19], v[16:17]
	s_and_saveexec_b32 s76, s13
; %bb.4309:                             ;   in Loop: Header=BB4_4181 Depth=3
	v_bfe_u32 v2, v16, 20, 1
	s_delay_alu instid0(VALU_DEP_1) | instskip(NEXT) | instid1(VALU_DEP_1)
	v_add_nc_u64_e32 v[18:19], v[16:17], v[2:3]
	v_add_nc_u64_e32 v[18:19], -1, v[18:19]
; %bb.4310:                             ;   in Loop: Header=BB4_4181 Depth=3
	s_or_b32 exec_lo, exec_lo, s76
	v_add_nc_u32_e32 v2, 0xffffff81, v24
	v_lshrrev_b32_e32 v17, 23, v16
	s_mov_b32 s13, exec_lo
	s_delay_alu instid0(VALU_DEP_2) | instskip(NEXT) | instid1(VALU_DEP_1)
	v_cndmask_b32_e64 v2, v2, 0xffffff82, vcc_lo
	v_add3_u32 v19, v25, v2, v17
	v_and_b32_e32 v2, 0xfffff, v18
                                        ; implicit-def: $vgpr18
	s_delay_alu instid0(VALU_DEP_1) | instskip(NEXT) | instid1(VALU_DEP_1)
	v_dual_add_nc_u32 v24, 6, v19 :: v_dual_add_nc_u32 v2, v2, v16
                                        ; implicit-def: $vgpr16_vgpr17
	v_cmpx_ne_u32_e32 0, v24
	s_xor_b32 s13, exec_lo, s13
; %bb.4311:                             ;   in Loop: Header=BB4_4181 Depth=3
	s_delay_alu instid0(VALU_DEP_2) | instskip(SKIP_1) | instid1(VALU_DEP_1)
	v_cmp_lt_u64_e32 vcc_lo, 0xffffff, v[2:3]
	v_add_nc_u32_e32 v16, 7, v19
	v_cndmask_b32_e32 v18, v24, v16, vcc_lo
	v_cndmask_b32_e64 v16, 0, 1, vcc_lo
	s_delay_alu instid0(VALU_DEP_1)
	v_lshrrev_b64 v[16:17], v16, v[2:3]
; %bb.4312:                             ;   in Loop: Header=BB4_4181 Depth=3
	s_and_not1_saveexec_b32 s13, s13
; %bb.4313:                             ;   in Loop: Header=BB4_4181 Depth=3
	v_mov_b64_e32 v[16:17], v[2:3]
	v_bfe_u32 v18, v2, 23, 1
; %bb.4314:                             ;   in Loop: Header=BB4_4181 Depth=3
	s_or_b32 exec_lo, exec_lo, s13
	s_delay_alu instid0(VALU_DEP_2) | instskip(NEXT) | instid1(VALU_DEP_2)
	v_lshrrev_b64 v[16:17], 20, v[16:17]
	v_cmp_gt_i32_e32 vcc_lo, 16, v18
	v_cmp_ne_u32_e64 s13, 0, v18
                                        ; implicit-def: $vgpr78
	s_delay_alu instid0(VALU_DEP_3) | instskip(NEXT) | instid1(VALU_DEP_1)
	v_dual_cndmask_b32 v17, 0, v17 :: v_dual_cndmask_b32 v16, 7, v16
	v_cmp_ne_u64_e32 vcc_lo, 0, v[16:17]
	s_or_b32 s13, s13, vcc_lo
	s_delay_alu instid0(SALU_CYCLE_1) | instskip(NEXT) | instid1(SALU_CYCLE_1)
	s_and_saveexec_b32 s76, s13
	s_xor_b32 s13, exec_lo, s76
; %bb.4315:                             ;   in Loop: Header=BB4_4181 Depth=3
	v_min_i32_e32 v2, 15, v18
	s_delay_alu instid0(VALU_DEP_1) | instskip(NEXT) | instid1(VALU_DEP_1)
	v_lshl_or_b32 v2, v2, 3, v28
                                        ; implicit-def: $vgpr28
	v_and_or_b32 v78, v16, 7, v2
; %bb.4316:                             ;   in Loop: Header=BB4_4181 Depth=3
	s_and_not1_saveexec_b32 s13, s13
; %bb.4317:                             ;   in Loop: Header=BB4_4181 Depth=3
	v_mov_b32_e32 v78, v28
; %bb.4318:                             ;   in Loop: Header=BB4_4181 Depth=3
	s_or_b32 exec_lo, exec_lo, s13
.LBB4_4319:                             ;   in Loop: Header=BB4_4181 Depth=3
	s_delay_alu instid0(SALU_CYCLE_1)
	s_or_b32 exec_lo, exec_lo, s75
                                        ; implicit-def: $vgpr28
.LBB4_4320:                             ;   in Loop: Header=BB4_4181 Depth=3
	s_and_not1_saveexec_b32 s13, s74
; %bb.4321:                             ;   in Loop: Header=BB4_4181 Depth=3
	v_or_b32_e32 v78, 0x7e, v28
; %bb.4322:                             ;   in Loop: Header=BB4_4181 Depth=3
	s_or_b32 exec_lo, exec_lo, s13
                                        ; implicit-def: $vgpr17
.LBB4_4323:                             ;   in Loop: Header=BB4_4181 Depth=3
	s_and_not1_saveexec_b32 s13, s45
; %bb.4324:                             ;   in Loop: Header=BB4_4181 Depth=3
	v_or_b32_e32 v78, 0x7f, v17
; %bb.4325:                             ;   in Loop: Header=BB4_4181 Depth=3
	s_or_b32 exec_lo, exec_lo, s13
	v_and_b32_e32 v2, 0xff, v27
	v_dual_mov_b32 v18, 0 :: v_dual_mov_b32 v19, 0
	s_mov_b32 s13, exec_lo
	s_delay_alu instid0(VALU_DEP_2)
	v_cmpx_ne_u16_e32 0, v2
	s_cbranch_execz .LBB4_4333
; %bb.4326:                             ;   in Loop: Header=BB4_4181 Depth=3
	v_bfrev_b32_e32 v19, 1
	s_mov_b32 s45, exec_lo
	v_cmpx_ne_u16_e32 0x80, v2
	s_cbranch_execz .LBB4_4332
; %bb.4327:                             ;   in Loop: Header=BB4_4181 Depth=3
	v_and_b32_e32 v16, 0x7f, v27
	v_mov_b32_e32 v19, 0x7f800001
	s_mov_b32 s74, exec_lo
	s_delay_alu instid0(VALU_DEP_2)
	v_cmpx_ne_u32_e32 0x7f, v16
	s_cbranch_execz .LBB4_4331
; %bb.4328:                             ;   in Loop: Header=BB4_4181 Depth=3
	v_dual_lshrrev_b32 v19, 3, v16 :: v_dual_bitop2_b32 v2, 7, v2 bitop3:0x40
	v_cmp_gt_u32_e32 vcc_lo, 8, v16
	s_delay_alu instid0(VALU_DEP_2)
	v_mov_b64_e32 v[16:17], v[2:3]
	s_and_saveexec_b32 s75, vcc_lo
; %bb.4329:                             ;   in Loop: Header=BB4_4181 Depth=3
	v_clz_i32_u32_e32 v16, v2
	s_delay_alu instid0(VALU_DEP_1) | instskip(NEXT) | instid1(VALU_DEP_1)
	v_min_u32_e32 v19, 32, v16
	v_subrev_nc_u32_e32 v16, 28, v19
	s_delay_alu instid0(VALU_DEP_1) | instskip(NEXT) | instid1(VALU_DEP_1)
	v_lshlrev_b64_e32 v[16:17], v16, v[2:3]
	v_dual_sub_nc_u32 v19, 29, v19 :: v_dual_bitop2_b32 v16, 7, v16 bitop3:0x40
; %bb.4330:                             ;   in Loop: Header=BB4_4181 Depth=3
	s_or_b32 exec_lo, exec_lo, s75
	s_delay_alu instid0(VALU_DEP_1) | instskip(NEXT) | instid1(VALU_DEP_2)
	v_dual_lshlrev_b32 v2, 24, v27 :: v_dual_lshlrev_b32 v16, 20, v16
	v_lshl_add_u32 v17, v19, 23, 0x3c000000
	s_delay_alu instid0(VALU_DEP_2) | instskip(NEXT) | instid1(VALU_DEP_1)
	v_and_b32_e32 v2, 0x80000000, v2
	v_or3_b32 v19, v16, v2, v17
.LBB4_4331:                             ;   in Loop: Header=BB4_4181 Depth=3
	s_or_b32 exec_lo, exec_lo, s74
.LBB4_4332:                             ;   in Loop: Header=BB4_4181 Depth=3
	s_delay_alu instid0(SALU_CYCLE_1)
	s_or_b32 exec_lo, exec_lo, s45
.LBB4_4333:                             ;   in Loop: Header=BB4_4181 Depth=3
	s_delay_alu instid0(SALU_CYCLE_1) | instskip(SKIP_3) | instid1(VALU_DEP_1)
	s_or_b32 exec_lo, exec_lo, s13
	s_wait_loadcnt_dscnt 0xb0b
	v_and_b32_e32 v2, 0xff, v26
	s_mov_b32 s13, exec_lo
	v_cmpx_ne_u16_e32 0, v2
	s_cbranch_execz .LBB4_4341
; %bb.4334:                             ;   in Loop: Header=BB4_4181 Depth=3
	v_bfrev_b32_e32 v18, 1
	s_mov_b32 s45, exec_lo
	v_cmpx_ne_u16_e32 0x80, v2
	s_cbranch_execz .LBB4_4340
; %bb.4335:                             ;   in Loop: Header=BB4_4181 Depth=3
	v_and_b32_e32 v16, 0x7f, v26
	v_mov_b32_e32 v18, 0x7f800001
	s_mov_b32 s74, exec_lo
	s_delay_alu instid0(VALU_DEP_2)
	v_cmpx_ne_u32_e32 0x7f, v16
	s_cbranch_execz .LBB4_4339
; %bb.4336:                             ;   in Loop: Header=BB4_4181 Depth=3
	v_dual_lshrrev_b32 v18, 3, v16 :: v_dual_bitop2_b32 v2, 7, v2 bitop3:0x40
	v_cmp_gt_u32_e32 vcc_lo, 8, v16
	s_delay_alu instid0(VALU_DEP_2)
	v_mov_b64_e32 v[16:17], v[2:3]
	s_and_saveexec_b32 s75, vcc_lo
; %bb.4337:                             ;   in Loop: Header=BB4_4181 Depth=3
	v_clz_i32_u32_e32 v16, v2
	s_delay_alu instid0(VALU_DEP_1) | instskip(NEXT) | instid1(VALU_DEP_1)
	v_min_u32_e32 v18, 32, v16
	v_subrev_nc_u32_e32 v16, 28, v18
	s_delay_alu instid0(VALU_DEP_1) | instskip(NEXT) | instid1(VALU_DEP_1)
	v_lshlrev_b64_e32 v[16:17], v16, v[2:3]
	v_dual_sub_nc_u32 v18, 29, v18 :: v_dual_bitop2_b32 v16, 7, v16 bitop3:0x40
; %bb.4338:                             ;   in Loop: Header=BB4_4181 Depth=3
	s_or_b32 exec_lo, exec_lo, s75
	s_delay_alu instid0(VALU_DEP_1) | instskip(NEXT) | instid1(VALU_DEP_2)
	v_dual_lshlrev_b32 v2, 24, v26 :: v_dual_lshlrev_b32 v16, 20, v16
	v_lshl_add_u32 v17, v18, 23, 0x3c000000
	s_delay_alu instid0(VALU_DEP_2) | instskip(NEXT) | instid1(VALU_DEP_1)
	v_and_b32_e32 v2, 0x80000000, v2
	v_or3_b32 v18, v16, v2, v17
.LBB4_4339:                             ;   in Loop: Header=BB4_4181 Depth=3
	s_or_b32 exec_lo, exec_lo, s74
.LBB4_4340:                             ;   in Loop: Header=BB4_4181 Depth=3
	s_delay_alu instid0(SALU_CYCLE_1)
	s_or_b32 exec_lo, exec_lo, s45
.LBB4_4341:                             ;   in Loop: Header=BB4_4181 Depth=3
	s_delay_alu instid0(SALU_CYCLE_1) | instskip(NEXT) | instid1(VALU_DEP_1)
	s_or_b32 exec_lo, exec_lo, s13
	v_add_f32_e32 v16, v19, v18
                                        ; implicit-def: $vgpr105
	s_mov_b32 s13, exec_lo
	s_delay_alu instid0(VALU_DEP_1) | instskip(SKIP_1) | instid1(VALU_DEP_2)
	v_and_b32_e32 v2, 0x7f800000, v16
	v_lshrrev_b32_e32 v17, 24, v16
	v_cmpx_ne_u64_e32 0x7f800000, v[2:3]
	s_xor_b32 s45, exec_lo, s13
	s_cbranch_execz .LBB4_4359
; %bb.4342:                             ;   in Loop: Header=BB4_4181 Depth=3
	v_and_b32_e32 v2, 0x7fffffff, v16
	v_and_b32_e32 v26, 0x80, v17
                                        ; implicit-def: $vgpr105
	s_mov_b32 s13, exec_lo
	s_delay_alu instid0(VALU_DEP_2)
	v_cmpx_gt_u64_e32 0x43e00001, v[2:3]
	s_xor_b32 s74, exec_lo, s13
	s_cbranch_execz .LBB4_4356
; %bb.4343:                             ;   in Loop: Header=BB4_4181 Depth=3
	v_mov_b32_e32 v105, 0
	s_mov_b32 s75, exec_lo
	v_cmpx_ne_u32_e32 0, v16
	s_cbranch_execz .LBB4_4355
; %bb.4344:                             ;   in Loop: Header=BB4_4181 Depth=3
	v_bfe_u32 v24, v16, 23, 8
	v_and_b32_e32 v2, 0x7fffff, v16
	s_delay_alu instid0(VALU_DEP_2) | instskip(SKIP_2) | instid1(VALU_DEP_4)
	v_cmp_gt_u32_e64 s13, 0x7a, v24
	v_sub_nc_u32_e32 v16, 0x79, v24
	v_cmp_eq_u32_e32 vcc_lo, 0, v24
	v_or_b32_e32 v17, 0x800000, v2
	s_delay_alu instid0(VALU_DEP_1) | instskip(NEXT) | instid1(VALU_DEP_1)
	v_dual_cndmask_b32 v16, 0, v16, s13 :: v_dual_cndmask_b32 v2, v17, v2, vcc_lo
	v_cndmask_b32_e64 v25, v16, 0x78, vcc_lo
	s_delay_alu instid0(VALU_DEP_1) | instskip(NEXT) | instid1(VALU_DEP_1)
	v_dual_add_nc_u32 v16, 20, v25 :: v_dual_add_nc_u32 v18, 19, v25
	v_lshlrev_b64_e64 v[16:17], v16, -1
	s_delay_alu instid0(VALU_DEP_2) | instskip(NEXT) | instid1(VALU_DEP_2)
	v_lshlrev_b64_e64 v[18:19], v18, 1
	v_bfi_b32 v17, v17, 0, 0
	s_delay_alu instid0(VALU_DEP_3) | instskip(NEXT) | instid1(VALU_DEP_1)
	v_bfi_b32 v16, v16, 0, v2
	v_cmp_eq_u64_e64 s13, v[16:17], v[18:19]
	v_lshrrev_b64 v[16:17], v25, v[2:3]
	s_delay_alu instid0(VALU_DEP_1)
	v_mov_b64_e32 v[18:19], v[16:17]
	s_and_saveexec_b32 s76, s13
; %bb.4345:                             ;   in Loop: Header=BB4_4181 Depth=3
	v_bfe_u32 v2, v16, 20, 1
	s_delay_alu instid0(VALU_DEP_1) | instskip(NEXT) | instid1(VALU_DEP_1)
	v_add_nc_u64_e32 v[18:19], v[16:17], v[2:3]
	v_add_nc_u64_e32 v[18:19], -1, v[18:19]
; %bb.4346:                             ;   in Loop: Header=BB4_4181 Depth=3
	s_or_b32 exec_lo, exec_lo, s76
	v_add_nc_u32_e32 v2, 0xffffff81, v24
	v_lshrrev_b32_e32 v17, 23, v16
	s_mov_b32 s13, exec_lo
	s_delay_alu instid0(VALU_DEP_2) | instskip(NEXT) | instid1(VALU_DEP_1)
	v_cndmask_b32_e64 v2, v2, 0xffffff82, vcc_lo
	v_add3_u32 v19, v25, v2, v17
	v_and_b32_e32 v2, 0xfffff, v18
                                        ; implicit-def: $vgpr18
	s_delay_alu instid0(VALU_DEP_1) | instskip(NEXT) | instid1(VALU_DEP_1)
	v_dual_add_nc_u32 v24, 6, v19 :: v_dual_add_nc_u32 v2, v2, v16
                                        ; implicit-def: $vgpr16_vgpr17
	v_cmpx_ne_u32_e32 0, v24
	s_xor_b32 s13, exec_lo, s13
; %bb.4347:                             ;   in Loop: Header=BB4_4181 Depth=3
	s_delay_alu instid0(VALU_DEP_2) | instskip(SKIP_1) | instid1(VALU_DEP_1)
	v_cmp_lt_u64_e32 vcc_lo, 0xffffff, v[2:3]
	v_add_nc_u32_e32 v16, 7, v19
	v_cndmask_b32_e32 v18, v24, v16, vcc_lo
	v_cndmask_b32_e64 v16, 0, 1, vcc_lo
	s_delay_alu instid0(VALU_DEP_1)
	v_lshrrev_b64 v[16:17], v16, v[2:3]
; %bb.4348:                             ;   in Loop: Header=BB4_4181 Depth=3
	s_and_not1_saveexec_b32 s13, s13
; %bb.4349:                             ;   in Loop: Header=BB4_4181 Depth=3
	v_mov_b64_e32 v[16:17], v[2:3]
	v_bfe_u32 v18, v2, 23, 1
; %bb.4350:                             ;   in Loop: Header=BB4_4181 Depth=3
	s_or_b32 exec_lo, exec_lo, s13
	s_delay_alu instid0(VALU_DEP_2) | instskip(NEXT) | instid1(VALU_DEP_2)
	v_lshrrev_b64 v[16:17], 20, v[16:17]
	v_cmp_gt_i32_e32 vcc_lo, 16, v18
	v_cmp_ne_u32_e64 s13, 0, v18
                                        ; implicit-def: $vgpr105
	s_delay_alu instid0(VALU_DEP_3) | instskip(NEXT) | instid1(VALU_DEP_1)
	v_dual_cndmask_b32 v17, 0, v17 :: v_dual_cndmask_b32 v16, 7, v16
	v_cmp_ne_u64_e32 vcc_lo, 0, v[16:17]
	s_or_b32 s13, s13, vcc_lo
	s_delay_alu instid0(SALU_CYCLE_1) | instskip(NEXT) | instid1(SALU_CYCLE_1)
	s_and_saveexec_b32 s76, s13
	s_xor_b32 s13, exec_lo, s76
; %bb.4351:                             ;   in Loop: Header=BB4_4181 Depth=3
	v_min_i32_e32 v2, 15, v18
	s_delay_alu instid0(VALU_DEP_1) | instskip(NEXT) | instid1(VALU_DEP_1)
	v_lshl_or_b32 v2, v2, 3, v26
                                        ; implicit-def: $vgpr26
	v_and_or_b32 v105, v16, 7, v2
; %bb.4352:                             ;   in Loop: Header=BB4_4181 Depth=3
	s_and_not1_saveexec_b32 s13, s13
; %bb.4353:                             ;   in Loop: Header=BB4_4181 Depth=3
	v_mov_b32_e32 v105, v26
; %bb.4354:                             ;   in Loop: Header=BB4_4181 Depth=3
	s_or_b32 exec_lo, exec_lo, s13
.LBB4_4355:                             ;   in Loop: Header=BB4_4181 Depth=3
	s_delay_alu instid0(SALU_CYCLE_1)
	s_or_b32 exec_lo, exec_lo, s75
                                        ; implicit-def: $vgpr26
.LBB4_4356:                             ;   in Loop: Header=BB4_4181 Depth=3
	s_and_not1_saveexec_b32 s13, s74
; %bb.4357:                             ;   in Loop: Header=BB4_4181 Depth=3
	v_or_b32_e32 v105, 0x7e, v26
; %bb.4358:                             ;   in Loop: Header=BB4_4181 Depth=3
	s_or_b32 exec_lo, exec_lo, s13
                                        ; implicit-def: $vgpr17
.LBB4_4359:                             ;   in Loop: Header=BB4_4181 Depth=3
	s_and_not1_saveexec_b32 s13, s45
; %bb.4360:                             ;   in Loop: Header=BB4_4181 Depth=3
	v_or_b32_e32 v105, 0x7f, v17
; %bb.4361:                             ;   in Loop: Header=BB4_4181 Depth=3
	s_or_b32 exec_lo, exec_lo, s13
	v_and_b32_e32 v2, 0xff, v125
	v_dual_mov_b32 v18, 0 :: v_dual_mov_b32 v19, 0
	s_mov_b32 s13, exec_lo
	s_delay_alu instid0(VALU_DEP_2)
	v_cmpx_ne_u16_e32 0, v2
	s_cbranch_execz .LBB4_4369
; %bb.4362:                             ;   in Loop: Header=BB4_4181 Depth=3
	v_bfrev_b32_e32 v19, 1
	s_mov_b32 s45, exec_lo
	v_cmpx_ne_u16_e32 0x80, v2
	s_cbranch_execz .LBB4_4368
; %bb.4363:                             ;   in Loop: Header=BB4_4181 Depth=3
	v_and_b32_e32 v16, 0x7f, v125
	v_mov_b32_e32 v19, 0x7f800001
	s_mov_b32 s74, exec_lo
	s_delay_alu instid0(VALU_DEP_2)
	v_cmpx_ne_u32_e32 0x7f, v16
	s_cbranch_execz .LBB4_4367
; %bb.4364:                             ;   in Loop: Header=BB4_4181 Depth=3
	v_dual_lshrrev_b32 v19, 3, v16 :: v_dual_bitop2_b32 v2, 7, v2 bitop3:0x40
	v_cmp_gt_u32_e32 vcc_lo, 8, v16
	s_delay_alu instid0(VALU_DEP_2)
	v_mov_b64_e32 v[16:17], v[2:3]
	s_and_saveexec_b32 s75, vcc_lo
; %bb.4365:                             ;   in Loop: Header=BB4_4181 Depth=3
	v_clz_i32_u32_e32 v16, v2
	s_delay_alu instid0(VALU_DEP_1) | instskip(NEXT) | instid1(VALU_DEP_1)
	v_min_u32_e32 v19, 32, v16
	v_subrev_nc_u32_e32 v16, 28, v19
	s_delay_alu instid0(VALU_DEP_1) | instskip(NEXT) | instid1(VALU_DEP_1)
	v_lshlrev_b64_e32 v[16:17], v16, v[2:3]
	v_dual_sub_nc_u32 v19, 29, v19 :: v_dual_bitop2_b32 v16, 7, v16 bitop3:0x40
; %bb.4366:                             ;   in Loop: Header=BB4_4181 Depth=3
	s_or_b32 exec_lo, exec_lo, s75
	s_delay_alu instid0(VALU_DEP_1) | instskip(NEXT) | instid1(VALU_DEP_2)
	v_dual_lshlrev_b32 v2, 24, v125 :: v_dual_lshlrev_b32 v16, 20, v16
	v_lshl_add_u32 v17, v19, 23, 0x3c000000
	s_delay_alu instid0(VALU_DEP_2) | instskip(NEXT) | instid1(VALU_DEP_1)
	v_and_b32_e32 v2, 0x80000000, v2
	v_or3_b32 v19, v16, v2, v17
.LBB4_4367:                             ;   in Loop: Header=BB4_4181 Depth=3
	s_or_b32 exec_lo, exec_lo, s74
.LBB4_4368:                             ;   in Loop: Header=BB4_4181 Depth=3
	s_delay_alu instid0(SALU_CYCLE_1)
	s_or_b32 exec_lo, exec_lo, s45
.LBB4_4369:                             ;   in Loop: Header=BB4_4181 Depth=3
	s_delay_alu instid0(SALU_CYCLE_1) | instskip(SKIP_3) | instid1(VALU_DEP_1)
	s_or_b32 exec_lo, exec_lo, s13
	s_wait_loadcnt_dscnt 0xa0a
	v_and_b32_e32 v2, 0xff, v108
	s_mov_b32 s13, exec_lo
	v_cmpx_ne_u16_e32 0, v2
	s_cbranch_execz .LBB4_4377
; %bb.4370:                             ;   in Loop: Header=BB4_4181 Depth=3
	v_bfrev_b32_e32 v18, 1
	s_mov_b32 s45, exec_lo
	v_cmpx_ne_u16_e32 0x80, v2
	s_cbranch_execz .LBB4_4376
; %bb.4371:                             ;   in Loop: Header=BB4_4181 Depth=3
	v_and_b32_e32 v16, 0x7f, v108
	v_mov_b32_e32 v18, 0x7f800001
	s_mov_b32 s74, exec_lo
	s_delay_alu instid0(VALU_DEP_2)
	v_cmpx_ne_u32_e32 0x7f, v16
	s_cbranch_execz .LBB4_4375
; %bb.4372:                             ;   in Loop: Header=BB4_4181 Depth=3
	v_dual_lshrrev_b32 v18, 3, v16 :: v_dual_bitop2_b32 v2, 7, v2 bitop3:0x40
	v_cmp_gt_u32_e32 vcc_lo, 8, v16
	s_delay_alu instid0(VALU_DEP_2)
	v_mov_b64_e32 v[16:17], v[2:3]
	s_and_saveexec_b32 s75, vcc_lo
; %bb.4373:                             ;   in Loop: Header=BB4_4181 Depth=3
	v_clz_i32_u32_e32 v16, v2
	s_delay_alu instid0(VALU_DEP_1) | instskip(NEXT) | instid1(VALU_DEP_1)
	v_min_u32_e32 v18, 32, v16
	v_subrev_nc_u32_e32 v16, 28, v18
	s_delay_alu instid0(VALU_DEP_1) | instskip(NEXT) | instid1(VALU_DEP_1)
	v_lshlrev_b64_e32 v[16:17], v16, v[2:3]
	v_dual_sub_nc_u32 v18, 29, v18 :: v_dual_bitop2_b32 v16, 7, v16 bitop3:0x40
; %bb.4374:                             ;   in Loop: Header=BB4_4181 Depth=3
	s_or_b32 exec_lo, exec_lo, s75
	v_lshlrev_b32_e32 v2, 24, v108
	s_delay_alu instid0(VALU_DEP_2) | instskip(NEXT) | instid1(VALU_DEP_3)
	v_lshlrev_b32_e32 v16, 20, v16
	v_lshl_add_u32 v17, v18, 23, 0x3c000000
	s_delay_alu instid0(VALU_DEP_3) | instskip(NEXT) | instid1(VALU_DEP_1)
	v_and_b32_e32 v2, 0x80000000, v2
	v_or3_b32 v18, v16, v2, v17
.LBB4_4375:                             ;   in Loop: Header=BB4_4181 Depth=3
	s_or_b32 exec_lo, exec_lo, s74
.LBB4_4376:                             ;   in Loop: Header=BB4_4181 Depth=3
	s_delay_alu instid0(SALU_CYCLE_1)
	s_or_b32 exec_lo, exec_lo, s45
.LBB4_4377:                             ;   in Loop: Header=BB4_4181 Depth=3
	s_delay_alu instid0(SALU_CYCLE_1) | instskip(NEXT) | instid1(VALU_DEP_1)
	s_or_b32 exec_lo, exec_lo, s13
	v_add_f32_e32 v16, v19, v18
                                        ; implicit-def: $vgpr108
	s_mov_b32 s13, exec_lo
	s_delay_alu instid0(VALU_DEP_1) | instskip(SKIP_1) | instid1(VALU_DEP_2)
	v_and_b32_e32 v2, 0x7f800000, v16
	v_lshrrev_b32_e32 v17, 24, v16
	v_cmpx_ne_u64_e32 0x7f800000, v[2:3]
	s_xor_b32 s45, exec_lo, s13
	s_cbranch_execz .LBB4_4395
; %bb.4378:                             ;   in Loop: Header=BB4_4181 Depth=3
	v_and_b32_e32 v2, 0x7fffffff, v16
	v_and_b32_e32 v26, 0x80, v17
                                        ; implicit-def: $vgpr108
	s_mov_b32 s13, exec_lo
	s_delay_alu instid0(VALU_DEP_2)
	v_cmpx_gt_u64_e32 0x43e00001, v[2:3]
	s_xor_b32 s74, exec_lo, s13
	s_cbranch_execz .LBB4_4392
; %bb.4379:                             ;   in Loop: Header=BB4_4181 Depth=3
	v_mov_b32_e32 v108, 0
	s_mov_b32 s75, exec_lo
	v_cmpx_ne_u32_e32 0, v16
	s_cbranch_execz .LBB4_4391
; %bb.4380:                             ;   in Loop: Header=BB4_4181 Depth=3
	v_bfe_u32 v24, v16, 23, 8
	v_and_b32_e32 v2, 0x7fffff, v16
	s_delay_alu instid0(VALU_DEP_2) | instskip(SKIP_2) | instid1(VALU_DEP_4)
	v_cmp_gt_u32_e64 s13, 0x7a, v24
	v_sub_nc_u32_e32 v16, 0x79, v24
	v_cmp_eq_u32_e32 vcc_lo, 0, v24
	v_or_b32_e32 v17, 0x800000, v2
	s_delay_alu instid0(VALU_DEP_1) | instskip(NEXT) | instid1(VALU_DEP_1)
	v_dual_cndmask_b32 v16, 0, v16, s13 :: v_dual_cndmask_b32 v2, v17, v2, vcc_lo
	v_cndmask_b32_e64 v25, v16, 0x78, vcc_lo
	s_delay_alu instid0(VALU_DEP_1) | instskip(NEXT) | instid1(VALU_DEP_1)
	v_dual_add_nc_u32 v16, 20, v25 :: v_dual_add_nc_u32 v18, 19, v25
	v_lshlrev_b64_e64 v[16:17], v16, -1
	s_delay_alu instid0(VALU_DEP_2) | instskip(NEXT) | instid1(VALU_DEP_2)
	v_lshlrev_b64_e64 v[18:19], v18, 1
	v_bfi_b32 v17, v17, 0, 0
	s_delay_alu instid0(VALU_DEP_3) | instskip(NEXT) | instid1(VALU_DEP_1)
	v_bfi_b32 v16, v16, 0, v2
	v_cmp_eq_u64_e64 s13, v[16:17], v[18:19]
	v_lshrrev_b64 v[16:17], v25, v[2:3]
	s_delay_alu instid0(VALU_DEP_1)
	v_mov_b64_e32 v[18:19], v[16:17]
	s_and_saveexec_b32 s76, s13
; %bb.4381:                             ;   in Loop: Header=BB4_4181 Depth=3
	v_bfe_u32 v2, v16, 20, 1
	s_delay_alu instid0(VALU_DEP_1) | instskip(NEXT) | instid1(VALU_DEP_1)
	v_add_nc_u64_e32 v[18:19], v[16:17], v[2:3]
	v_add_nc_u64_e32 v[18:19], -1, v[18:19]
; %bb.4382:                             ;   in Loop: Header=BB4_4181 Depth=3
	s_or_b32 exec_lo, exec_lo, s76
	v_add_nc_u32_e32 v2, 0xffffff81, v24
	v_lshrrev_b32_e32 v17, 23, v16
	s_mov_b32 s13, exec_lo
	s_delay_alu instid0(VALU_DEP_2) | instskip(NEXT) | instid1(VALU_DEP_1)
	v_cndmask_b32_e64 v2, v2, 0xffffff82, vcc_lo
	v_add3_u32 v19, v25, v2, v17
	v_and_b32_e32 v2, 0xfffff, v18
                                        ; implicit-def: $vgpr18
	s_delay_alu instid0(VALU_DEP_1) | instskip(NEXT) | instid1(VALU_DEP_1)
	v_dual_add_nc_u32 v24, 6, v19 :: v_dual_add_nc_u32 v2, v2, v16
                                        ; implicit-def: $vgpr16_vgpr17
	v_cmpx_ne_u32_e32 0, v24
	s_xor_b32 s13, exec_lo, s13
; %bb.4383:                             ;   in Loop: Header=BB4_4181 Depth=3
	s_delay_alu instid0(VALU_DEP_2) | instskip(SKIP_1) | instid1(VALU_DEP_1)
	v_cmp_lt_u64_e32 vcc_lo, 0xffffff, v[2:3]
	v_add_nc_u32_e32 v16, 7, v19
	v_cndmask_b32_e32 v18, v24, v16, vcc_lo
	v_cndmask_b32_e64 v16, 0, 1, vcc_lo
	s_delay_alu instid0(VALU_DEP_1)
	v_lshrrev_b64 v[16:17], v16, v[2:3]
; %bb.4384:                             ;   in Loop: Header=BB4_4181 Depth=3
	s_and_not1_saveexec_b32 s13, s13
; %bb.4385:                             ;   in Loop: Header=BB4_4181 Depth=3
	v_mov_b64_e32 v[16:17], v[2:3]
	v_bfe_u32 v18, v2, 23, 1
; %bb.4386:                             ;   in Loop: Header=BB4_4181 Depth=3
	s_or_b32 exec_lo, exec_lo, s13
	s_delay_alu instid0(VALU_DEP_2) | instskip(NEXT) | instid1(VALU_DEP_2)
	v_lshrrev_b64 v[16:17], 20, v[16:17]
	v_cmp_gt_i32_e32 vcc_lo, 16, v18
	v_cmp_ne_u32_e64 s13, 0, v18
                                        ; implicit-def: $vgpr108
	s_delay_alu instid0(VALU_DEP_3) | instskip(NEXT) | instid1(VALU_DEP_1)
	v_dual_cndmask_b32 v17, 0, v17 :: v_dual_cndmask_b32 v16, 7, v16
	v_cmp_ne_u64_e32 vcc_lo, 0, v[16:17]
	s_or_b32 s13, s13, vcc_lo
	s_delay_alu instid0(SALU_CYCLE_1) | instskip(NEXT) | instid1(SALU_CYCLE_1)
	s_and_saveexec_b32 s76, s13
	s_xor_b32 s13, exec_lo, s76
; %bb.4387:                             ;   in Loop: Header=BB4_4181 Depth=3
	v_min_i32_e32 v2, 15, v18
	s_delay_alu instid0(VALU_DEP_1) | instskip(NEXT) | instid1(VALU_DEP_1)
	v_lshl_or_b32 v2, v2, 3, v26
                                        ; implicit-def: $vgpr26
	v_and_or_b32 v108, v16, 7, v2
; %bb.4388:                             ;   in Loop: Header=BB4_4181 Depth=3
	s_and_not1_saveexec_b32 s13, s13
; %bb.4389:                             ;   in Loop: Header=BB4_4181 Depth=3
	v_mov_b32_e32 v108, v26
; %bb.4390:                             ;   in Loop: Header=BB4_4181 Depth=3
	s_or_b32 exec_lo, exec_lo, s13
.LBB4_4391:                             ;   in Loop: Header=BB4_4181 Depth=3
	s_delay_alu instid0(SALU_CYCLE_1)
	s_or_b32 exec_lo, exec_lo, s75
                                        ; implicit-def: $vgpr26
.LBB4_4392:                             ;   in Loop: Header=BB4_4181 Depth=3
	s_and_not1_saveexec_b32 s13, s74
; %bb.4393:                             ;   in Loop: Header=BB4_4181 Depth=3
	v_or_b32_e32 v108, 0x7e, v26
; %bb.4394:                             ;   in Loop: Header=BB4_4181 Depth=3
	s_or_b32 exec_lo, exec_lo, s13
                                        ; implicit-def: $vgpr17
.LBB4_4395:                             ;   in Loop: Header=BB4_4181 Depth=3
	s_and_not1_saveexec_b32 s13, s45
; %bb.4396:                             ;   in Loop: Header=BB4_4181 Depth=3
	v_or_b32_e32 v108, 0x7f, v17
; %bb.4397:                             ;   in Loop: Header=BB4_4181 Depth=3
	s_or_b32 exec_lo, exec_lo, s13
	v_and_b32_e32 v2, 0xff, v124
	v_dual_mov_b32 v18, 0 :: v_dual_mov_b32 v19, 0
	s_mov_b32 s13, exec_lo
	s_delay_alu instid0(VALU_DEP_2)
	v_cmpx_ne_u16_e32 0, v2
	s_cbranch_execz .LBB4_4405
; %bb.4398:                             ;   in Loop: Header=BB4_4181 Depth=3
	v_bfrev_b32_e32 v19, 1
	s_mov_b32 s45, exec_lo
	v_cmpx_ne_u16_e32 0x80, v2
	s_cbranch_execz .LBB4_4404
; %bb.4399:                             ;   in Loop: Header=BB4_4181 Depth=3
	v_and_b32_e32 v16, 0x7f, v124
	v_mov_b32_e32 v19, 0x7f800001
	s_mov_b32 s74, exec_lo
	s_delay_alu instid0(VALU_DEP_2)
	v_cmpx_ne_u32_e32 0x7f, v16
	s_cbranch_execz .LBB4_4403
; %bb.4400:                             ;   in Loop: Header=BB4_4181 Depth=3
	v_dual_lshrrev_b32 v19, 3, v16 :: v_dual_bitop2_b32 v2, 7, v2 bitop3:0x40
	v_cmp_gt_u32_e32 vcc_lo, 8, v16
	s_delay_alu instid0(VALU_DEP_2)
	v_mov_b64_e32 v[16:17], v[2:3]
	s_and_saveexec_b32 s75, vcc_lo
; %bb.4401:                             ;   in Loop: Header=BB4_4181 Depth=3
	v_clz_i32_u32_e32 v16, v2
	s_delay_alu instid0(VALU_DEP_1) | instskip(NEXT) | instid1(VALU_DEP_1)
	v_min_u32_e32 v19, 32, v16
	v_subrev_nc_u32_e32 v16, 28, v19
	s_delay_alu instid0(VALU_DEP_1) | instskip(NEXT) | instid1(VALU_DEP_1)
	v_lshlrev_b64_e32 v[16:17], v16, v[2:3]
	v_dual_sub_nc_u32 v19, 29, v19 :: v_dual_bitop2_b32 v16, 7, v16 bitop3:0x40
; %bb.4402:                             ;   in Loop: Header=BB4_4181 Depth=3
	s_or_b32 exec_lo, exec_lo, s75
	v_lshlrev_b32_e32 v2, 24, v124
	s_delay_alu instid0(VALU_DEP_2) | instskip(NEXT) | instid1(VALU_DEP_3)
	v_lshlrev_b32_e32 v16, 20, v16
	v_lshl_add_u32 v17, v19, 23, 0x3c000000
	s_delay_alu instid0(VALU_DEP_3) | instskip(NEXT) | instid1(VALU_DEP_1)
	v_and_b32_e32 v2, 0x80000000, v2
	v_or3_b32 v19, v16, v2, v17
.LBB4_4403:                             ;   in Loop: Header=BB4_4181 Depth=3
	s_or_b32 exec_lo, exec_lo, s74
.LBB4_4404:                             ;   in Loop: Header=BB4_4181 Depth=3
	s_delay_alu instid0(SALU_CYCLE_1)
	s_or_b32 exec_lo, exec_lo, s45
.LBB4_4405:                             ;   in Loop: Header=BB4_4181 Depth=3
	s_delay_alu instid0(SALU_CYCLE_1) | instskip(SKIP_3) | instid1(VALU_DEP_1)
	s_or_b32 exec_lo, exec_lo, s13
	s_wait_loadcnt_dscnt 0x909
	v_and_b32_e32 v2, 0xff, v111
	s_mov_b32 s13, exec_lo
	v_cmpx_ne_u16_e32 0, v2
	s_cbranch_execz .LBB4_4413
; %bb.4406:                             ;   in Loop: Header=BB4_4181 Depth=3
	v_bfrev_b32_e32 v18, 1
	s_mov_b32 s45, exec_lo
	v_cmpx_ne_u16_e32 0x80, v2
	s_cbranch_execz .LBB4_4412
; %bb.4407:                             ;   in Loop: Header=BB4_4181 Depth=3
	v_and_b32_e32 v16, 0x7f, v111
	v_mov_b32_e32 v18, 0x7f800001
	s_mov_b32 s74, exec_lo
	s_delay_alu instid0(VALU_DEP_2)
	v_cmpx_ne_u32_e32 0x7f, v16
	s_cbranch_execz .LBB4_4411
; %bb.4408:                             ;   in Loop: Header=BB4_4181 Depth=3
	v_dual_lshrrev_b32 v18, 3, v16 :: v_dual_bitop2_b32 v2, 7, v2 bitop3:0x40
	v_cmp_gt_u32_e32 vcc_lo, 8, v16
	s_delay_alu instid0(VALU_DEP_2)
	v_mov_b64_e32 v[16:17], v[2:3]
	s_and_saveexec_b32 s75, vcc_lo
; %bb.4409:                             ;   in Loop: Header=BB4_4181 Depth=3
	v_clz_i32_u32_e32 v16, v2
	s_delay_alu instid0(VALU_DEP_1) | instskip(NEXT) | instid1(VALU_DEP_1)
	v_min_u32_e32 v18, 32, v16
	v_subrev_nc_u32_e32 v16, 28, v18
	s_delay_alu instid0(VALU_DEP_1) | instskip(NEXT) | instid1(VALU_DEP_1)
	v_lshlrev_b64_e32 v[16:17], v16, v[2:3]
	v_dual_sub_nc_u32 v18, 29, v18 :: v_dual_bitop2_b32 v16, 7, v16 bitop3:0x40
; %bb.4410:                             ;   in Loop: Header=BB4_4181 Depth=3
	s_or_b32 exec_lo, exec_lo, s75
	s_delay_alu instid0(VALU_DEP_1) | instskip(NEXT) | instid1(VALU_DEP_2)
	v_dual_lshlrev_b32 v2, 24, v111 :: v_dual_lshlrev_b32 v16, 20, v16
	v_lshl_add_u32 v17, v18, 23, 0x3c000000
	s_delay_alu instid0(VALU_DEP_2) | instskip(NEXT) | instid1(VALU_DEP_1)
	v_and_b32_e32 v2, 0x80000000, v2
	v_or3_b32 v18, v16, v2, v17
.LBB4_4411:                             ;   in Loop: Header=BB4_4181 Depth=3
	s_or_b32 exec_lo, exec_lo, s74
.LBB4_4412:                             ;   in Loop: Header=BB4_4181 Depth=3
	s_delay_alu instid0(SALU_CYCLE_1)
	s_or_b32 exec_lo, exec_lo, s45
.LBB4_4413:                             ;   in Loop: Header=BB4_4181 Depth=3
	s_delay_alu instid0(SALU_CYCLE_1) | instskip(NEXT) | instid1(VALU_DEP_1)
	s_or_b32 exec_lo, exec_lo, s13
	v_add_f32_e32 v16, v19, v18
                                        ; implicit-def: $vgpr111
	s_mov_b32 s13, exec_lo
	s_delay_alu instid0(VALU_DEP_1) | instskip(SKIP_1) | instid1(VALU_DEP_2)
	v_and_b32_e32 v2, 0x7f800000, v16
	v_lshrrev_b32_e32 v17, 24, v16
	v_cmpx_ne_u64_e32 0x7f800000, v[2:3]
	s_xor_b32 s45, exec_lo, s13
	s_cbranch_execz .LBB4_4431
; %bb.4414:                             ;   in Loop: Header=BB4_4181 Depth=3
	v_and_b32_e32 v2, 0x7fffffff, v16
	v_and_b32_e32 v26, 0x80, v17
                                        ; implicit-def: $vgpr111
	s_mov_b32 s13, exec_lo
	s_delay_alu instid0(VALU_DEP_2)
	v_cmpx_gt_u64_e32 0x43e00001, v[2:3]
	s_xor_b32 s74, exec_lo, s13
	s_cbranch_execz .LBB4_4428
; %bb.4415:                             ;   in Loop: Header=BB4_4181 Depth=3
	v_mov_b32_e32 v111, 0
	s_mov_b32 s75, exec_lo
	v_cmpx_ne_u32_e32 0, v16
	s_cbranch_execz .LBB4_4427
; %bb.4416:                             ;   in Loop: Header=BB4_4181 Depth=3
	v_bfe_u32 v24, v16, 23, 8
	v_and_b32_e32 v2, 0x7fffff, v16
	s_delay_alu instid0(VALU_DEP_2) | instskip(SKIP_2) | instid1(VALU_DEP_4)
	v_cmp_gt_u32_e64 s13, 0x7a, v24
	v_sub_nc_u32_e32 v16, 0x79, v24
	v_cmp_eq_u32_e32 vcc_lo, 0, v24
	v_or_b32_e32 v17, 0x800000, v2
	s_delay_alu instid0(VALU_DEP_1) | instskip(NEXT) | instid1(VALU_DEP_1)
	v_dual_cndmask_b32 v16, 0, v16, s13 :: v_dual_cndmask_b32 v2, v17, v2, vcc_lo
	v_cndmask_b32_e64 v25, v16, 0x78, vcc_lo
	s_delay_alu instid0(VALU_DEP_1) | instskip(NEXT) | instid1(VALU_DEP_1)
	v_dual_add_nc_u32 v16, 20, v25 :: v_dual_add_nc_u32 v18, 19, v25
	v_lshlrev_b64_e64 v[16:17], v16, -1
	s_delay_alu instid0(VALU_DEP_2) | instskip(NEXT) | instid1(VALU_DEP_2)
	v_lshlrev_b64_e64 v[18:19], v18, 1
	v_bfi_b32 v17, v17, 0, 0
	s_delay_alu instid0(VALU_DEP_3) | instskip(NEXT) | instid1(VALU_DEP_1)
	v_bfi_b32 v16, v16, 0, v2
	v_cmp_eq_u64_e64 s13, v[16:17], v[18:19]
	v_lshrrev_b64 v[16:17], v25, v[2:3]
	s_delay_alu instid0(VALU_DEP_1)
	v_mov_b64_e32 v[18:19], v[16:17]
	s_and_saveexec_b32 s76, s13
; %bb.4417:                             ;   in Loop: Header=BB4_4181 Depth=3
	v_bfe_u32 v2, v16, 20, 1
	s_delay_alu instid0(VALU_DEP_1) | instskip(NEXT) | instid1(VALU_DEP_1)
	v_add_nc_u64_e32 v[18:19], v[16:17], v[2:3]
	v_add_nc_u64_e32 v[18:19], -1, v[18:19]
; %bb.4418:                             ;   in Loop: Header=BB4_4181 Depth=3
	s_or_b32 exec_lo, exec_lo, s76
	v_add_nc_u32_e32 v2, 0xffffff81, v24
	v_lshrrev_b32_e32 v17, 23, v16
	s_mov_b32 s13, exec_lo
	s_delay_alu instid0(VALU_DEP_2) | instskip(NEXT) | instid1(VALU_DEP_1)
	v_cndmask_b32_e64 v2, v2, 0xffffff82, vcc_lo
	v_add3_u32 v19, v25, v2, v17
	v_and_b32_e32 v2, 0xfffff, v18
                                        ; implicit-def: $vgpr18
	s_delay_alu instid0(VALU_DEP_1) | instskip(NEXT) | instid1(VALU_DEP_1)
	v_dual_add_nc_u32 v24, 6, v19 :: v_dual_add_nc_u32 v2, v2, v16
                                        ; implicit-def: $vgpr16_vgpr17
	v_cmpx_ne_u32_e32 0, v24
	s_xor_b32 s13, exec_lo, s13
; %bb.4419:                             ;   in Loop: Header=BB4_4181 Depth=3
	s_delay_alu instid0(VALU_DEP_2) | instskip(SKIP_1) | instid1(VALU_DEP_1)
	v_cmp_lt_u64_e32 vcc_lo, 0xffffff, v[2:3]
	v_add_nc_u32_e32 v16, 7, v19
	v_cndmask_b32_e32 v18, v24, v16, vcc_lo
	v_cndmask_b32_e64 v16, 0, 1, vcc_lo
	s_delay_alu instid0(VALU_DEP_1)
	v_lshrrev_b64 v[16:17], v16, v[2:3]
; %bb.4420:                             ;   in Loop: Header=BB4_4181 Depth=3
	s_and_not1_saveexec_b32 s13, s13
; %bb.4421:                             ;   in Loop: Header=BB4_4181 Depth=3
	v_mov_b64_e32 v[16:17], v[2:3]
	v_bfe_u32 v18, v2, 23, 1
; %bb.4422:                             ;   in Loop: Header=BB4_4181 Depth=3
	s_or_b32 exec_lo, exec_lo, s13
	s_delay_alu instid0(VALU_DEP_2) | instskip(NEXT) | instid1(VALU_DEP_2)
	v_lshrrev_b64 v[16:17], 20, v[16:17]
	v_cmp_gt_i32_e32 vcc_lo, 16, v18
	v_cmp_ne_u32_e64 s13, 0, v18
                                        ; implicit-def: $vgpr111
	s_delay_alu instid0(VALU_DEP_3) | instskip(NEXT) | instid1(VALU_DEP_1)
	v_dual_cndmask_b32 v17, 0, v17 :: v_dual_cndmask_b32 v16, 7, v16
	v_cmp_ne_u64_e32 vcc_lo, 0, v[16:17]
	s_or_b32 s13, s13, vcc_lo
	s_delay_alu instid0(SALU_CYCLE_1) | instskip(NEXT) | instid1(SALU_CYCLE_1)
	s_and_saveexec_b32 s76, s13
	s_xor_b32 s13, exec_lo, s76
; %bb.4423:                             ;   in Loop: Header=BB4_4181 Depth=3
	v_min_i32_e32 v2, 15, v18
	s_delay_alu instid0(VALU_DEP_1) | instskip(NEXT) | instid1(VALU_DEP_1)
	v_lshl_or_b32 v2, v2, 3, v26
                                        ; implicit-def: $vgpr26
	v_and_or_b32 v111, v16, 7, v2
; %bb.4424:                             ;   in Loop: Header=BB4_4181 Depth=3
	s_and_not1_saveexec_b32 s13, s13
; %bb.4425:                             ;   in Loop: Header=BB4_4181 Depth=3
	v_mov_b32_e32 v111, v26
; %bb.4426:                             ;   in Loop: Header=BB4_4181 Depth=3
	s_or_b32 exec_lo, exec_lo, s13
.LBB4_4427:                             ;   in Loop: Header=BB4_4181 Depth=3
	s_delay_alu instid0(SALU_CYCLE_1)
	s_or_b32 exec_lo, exec_lo, s75
                                        ; implicit-def: $vgpr26
.LBB4_4428:                             ;   in Loop: Header=BB4_4181 Depth=3
	s_and_not1_saveexec_b32 s13, s74
; %bb.4429:                             ;   in Loop: Header=BB4_4181 Depth=3
	v_or_b32_e32 v111, 0x7e, v26
; %bb.4430:                             ;   in Loop: Header=BB4_4181 Depth=3
	s_or_b32 exec_lo, exec_lo, s13
                                        ; implicit-def: $vgpr17
.LBB4_4431:                             ;   in Loop: Header=BB4_4181 Depth=3
	s_and_not1_saveexec_b32 s13, s45
; %bb.4432:                             ;   in Loop: Header=BB4_4181 Depth=3
	v_or_b32_e32 v111, 0x7f, v17
; %bb.4433:                             ;   in Loop: Header=BB4_4181 Depth=3
	s_or_b32 exec_lo, exec_lo, s13
	v_and_b32_e32 v2, 0xff, v123
	v_dual_mov_b32 v18, 0 :: v_dual_mov_b32 v19, 0
	s_mov_b32 s13, exec_lo
	s_delay_alu instid0(VALU_DEP_2)
	v_cmpx_ne_u16_e32 0, v2
	s_cbranch_execz .LBB4_4441
; %bb.4434:                             ;   in Loop: Header=BB4_4181 Depth=3
	v_bfrev_b32_e32 v19, 1
	s_mov_b32 s45, exec_lo
	v_cmpx_ne_u16_e32 0x80, v2
	s_cbranch_execz .LBB4_4440
; %bb.4435:                             ;   in Loop: Header=BB4_4181 Depth=3
	v_and_b32_e32 v16, 0x7f, v123
	v_mov_b32_e32 v19, 0x7f800001
	s_mov_b32 s74, exec_lo
	s_delay_alu instid0(VALU_DEP_2)
	v_cmpx_ne_u32_e32 0x7f, v16
	s_cbranch_execz .LBB4_4439
; %bb.4436:                             ;   in Loop: Header=BB4_4181 Depth=3
	v_dual_lshrrev_b32 v19, 3, v16 :: v_dual_bitop2_b32 v2, 7, v2 bitop3:0x40
	v_cmp_gt_u32_e32 vcc_lo, 8, v16
	s_delay_alu instid0(VALU_DEP_2)
	v_mov_b64_e32 v[16:17], v[2:3]
	s_and_saveexec_b32 s75, vcc_lo
; %bb.4437:                             ;   in Loop: Header=BB4_4181 Depth=3
	v_clz_i32_u32_e32 v16, v2
	s_delay_alu instid0(VALU_DEP_1) | instskip(NEXT) | instid1(VALU_DEP_1)
	v_min_u32_e32 v19, 32, v16
	v_subrev_nc_u32_e32 v16, 28, v19
	s_delay_alu instid0(VALU_DEP_1) | instskip(NEXT) | instid1(VALU_DEP_1)
	v_lshlrev_b64_e32 v[16:17], v16, v[2:3]
	v_dual_sub_nc_u32 v19, 29, v19 :: v_dual_bitop2_b32 v16, 7, v16 bitop3:0x40
; %bb.4438:                             ;   in Loop: Header=BB4_4181 Depth=3
	s_or_b32 exec_lo, exec_lo, s75
	s_delay_alu instid0(VALU_DEP_1) | instskip(NEXT) | instid1(VALU_DEP_2)
	v_dual_lshlrev_b32 v2, 24, v123 :: v_dual_lshlrev_b32 v16, 20, v16
	v_lshl_add_u32 v17, v19, 23, 0x3c000000
	s_delay_alu instid0(VALU_DEP_2) | instskip(NEXT) | instid1(VALU_DEP_1)
	v_and_b32_e32 v2, 0x80000000, v2
	v_or3_b32 v19, v16, v2, v17
.LBB4_4439:                             ;   in Loop: Header=BB4_4181 Depth=3
	s_or_b32 exec_lo, exec_lo, s74
.LBB4_4440:                             ;   in Loop: Header=BB4_4181 Depth=3
	s_delay_alu instid0(SALU_CYCLE_1)
	s_or_b32 exec_lo, exec_lo, s45
.LBB4_4441:                             ;   in Loop: Header=BB4_4181 Depth=3
	s_delay_alu instid0(SALU_CYCLE_1) | instskip(SKIP_3) | instid1(VALU_DEP_1)
	s_or_b32 exec_lo, exec_lo, s13
	s_wait_loadcnt_dscnt 0x808
	v_and_b32_e32 v2, 0xff, v122
	s_mov_b32 s13, exec_lo
	v_cmpx_ne_u16_e32 0, v2
	s_cbranch_execz .LBB4_4449
; %bb.4442:                             ;   in Loop: Header=BB4_4181 Depth=3
	v_bfrev_b32_e32 v18, 1
	s_mov_b32 s45, exec_lo
	v_cmpx_ne_u16_e32 0x80, v2
	s_cbranch_execz .LBB4_4448
; %bb.4443:                             ;   in Loop: Header=BB4_4181 Depth=3
	v_and_b32_e32 v16, 0x7f, v122
	v_mov_b32_e32 v18, 0x7f800001
	s_mov_b32 s74, exec_lo
	s_delay_alu instid0(VALU_DEP_2)
	v_cmpx_ne_u32_e32 0x7f, v16
	s_cbranch_execz .LBB4_4447
; %bb.4444:                             ;   in Loop: Header=BB4_4181 Depth=3
	v_dual_lshrrev_b32 v18, 3, v16 :: v_dual_bitop2_b32 v2, 7, v2 bitop3:0x40
	v_cmp_gt_u32_e32 vcc_lo, 8, v16
	s_delay_alu instid0(VALU_DEP_2)
	v_mov_b64_e32 v[16:17], v[2:3]
	s_and_saveexec_b32 s75, vcc_lo
; %bb.4445:                             ;   in Loop: Header=BB4_4181 Depth=3
	v_clz_i32_u32_e32 v16, v2
	s_delay_alu instid0(VALU_DEP_1) | instskip(NEXT) | instid1(VALU_DEP_1)
	v_min_u32_e32 v18, 32, v16
	v_subrev_nc_u32_e32 v16, 28, v18
	s_delay_alu instid0(VALU_DEP_1) | instskip(NEXT) | instid1(VALU_DEP_1)
	v_lshlrev_b64_e32 v[16:17], v16, v[2:3]
	v_dual_sub_nc_u32 v18, 29, v18 :: v_dual_bitop2_b32 v16, 7, v16 bitop3:0x40
; %bb.4446:                             ;   in Loop: Header=BB4_4181 Depth=3
	s_or_b32 exec_lo, exec_lo, s75
	s_delay_alu instid0(VALU_DEP_1) | instskip(NEXT) | instid1(VALU_DEP_2)
	v_dual_lshlrev_b32 v2, 24, v122 :: v_dual_lshlrev_b32 v16, 20, v16
	v_lshl_add_u32 v17, v18, 23, 0x3c000000
	s_delay_alu instid0(VALU_DEP_2) | instskip(NEXT) | instid1(VALU_DEP_1)
	v_and_b32_e32 v2, 0x80000000, v2
	v_or3_b32 v18, v16, v2, v17
.LBB4_4447:                             ;   in Loop: Header=BB4_4181 Depth=3
	s_or_b32 exec_lo, exec_lo, s74
.LBB4_4448:                             ;   in Loop: Header=BB4_4181 Depth=3
	s_delay_alu instid0(SALU_CYCLE_1)
	s_or_b32 exec_lo, exec_lo, s45
.LBB4_4449:                             ;   in Loop: Header=BB4_4181 Depth=3
	s_delay_alu instid0(SALU_CYCLE_1) | instskip(NEXT) | instid1(VALU_DEP_1)
	s_or_b32 exec_lo, exec_lo, s13
	v_add_f32_e32 v16, v19, v18
                                        ; implicit-def: $vgpr122
	s_mov_b32 s13, exec_lo
	s_delay_alu instid0(VALU_DEP_1) | instskip(SKIP_1) | instid1(VALU_DEP_2)
	v_and_b32_e32 v2, 0x7f800000, v16
	v_lshrrev_b32_e32 v17, 24, v16
	v_cmpx_ne_u64_e32 0x7f800000, v[2:3]
	s_xor_b32 s45, exec_lo, s13
	s_cbranch_execz .LBB4_4467
; %bb.4450:                             ;   in Loop: Header=BB4_4181 Depth=3
	v_and_b32_e32 v2, 0x7fffffff, v16
	v_and_b32_e32 v26, 0x80, v17
                                        ; implicit-def: $vgpr122
	s_mov_b32 s13, exec_lo
	s_delay_alu instid0(VALU_DEP_2)
	v_cmpx_gt_u64_e32 0x43e00001, v[2:3]
	s_xor_b32 s74, exec_lo, s13
	s_cbranch_execz .LBB4_4464
; %bb.4451:                             ;   in Loop: Header=BB4_4181 Depth=3
	v_mov_b32_e32 v122, 0
	s_mov_b32 s75, exec_lo
	v_cmpx_ne_u32_e32 0, v16
	s_cbranch_execz .LBB4_4463
; %bb.4452:                             ;   in Loop: Header=BB4_4181 Depth=3
	v_bfe_u32 v24, v16, 23, 8
	s_delay_alu instid0(VALU_DEP_1) | instskip(SKIP_1) | instid1(VALU_DEP_2)
	v_sub_nc_u32_e32 v2, 0x79, v24
	v_cmp_gt_u32_e32 vcc_lo, 0x7a, v24
	v_cndmask_b32_e32 v2, 0, v2, vcc_lo
	v_cmp_eq_u32_e32 vcc_lo, 0, v24
	s_delay_alu instid0(VALU_DEP_2) | instskip(SKIP_1) | instid1(VALU_DEP_2)
	v_cndmask_b32_e64 v25, v2, 0x78, vcc_lo
	v_and_b32_e32 v2, 0x7fffff, v16
	v_add_nc_u32_e32 v16, 20, v25
	s_delay_alu instid0(VALU_DEP_2) | instskip(SKIP_1) | instid1(VALU_DEP_3)
	v_or_b32_e32 v18, 0x800000, v2
	v_add_nc_u32_e32 v19, 19, v25
	v_lshlrev_b64_e64 v[16:17], v16, -1
	s_delay_alu instid0(VALU_DEP_3) | instskip(NEXT) | instid1(VALU_DEP_3)
	v_cndmask_b32_e32 v2, v18, v2, vcc_lo
	v_lshlrev_b64_e64 v[18:19], v19, 1
	s_delay_alu instid0(VALU_DEP_3) | instskip(NEXT) | instid1(VALU_DEP_3)
	v_bfi_b32 v29, v17, 0, 0
	v_bfi_b32 v28, v16, 0, v2
	v_lshrrev_b64 v[16:17], v25, v[2:3]
	s_delay_alu instid0(VALU_DEP_2) | instskip(NEXT) | instid1(VALU_DEP_2)
	v_cmp_eq_u64_e64 s13, v[28:29], v[18:19]
	v_mov_b64_e32 v[18:19], v[16:17]
	s_and_saveexec_b32 s76, s13
; %bb.4453:                             ;   in Loop: Header=BB4_4181 Depth=3
	v_bfe_u32 v2, v16, 20, 1
	s_delay_alu instid0(VALU_DEP_1) | instskip(NEXT) | instid1(VALU_DEP_1)
	v_add_nc_u64_e32 v[18:19], v[16:17], v[2:3]
	v_add_nc_u64_e32 v[18:19], -1, v[18:19]
; %bb.4454:                             ;   in Loop: Header=BB4_4181 Depth=3
	s_or_b32 exec_lo, exec_lo, s76
	v_add_nc_u32_e32 v2, 0xffffff81, v24
	v_lshrrev_b32_e32 v17, 23, v16
	s_mov_b32 s13, exec_lo
	s_delay_alu instid0(VALU_DEP_2) | instskip(NEXT) | instid1(VALU_DEP_1)
	v_cndmask_b32_e64 v2, v2, 0xffffff82, vcc_lo
	v_add3_u32 v19, v25, v2, v17
	v_and_b32_e32 v2, 0xfffff, v18
                                        ; implicit-def: $vgpr18
	s_delay_alu instid0(VALU_DEP_1) | instskip(NEXT) | instid1(VALU_DEP_1)
	v_dual_add_nc_u32 v24, 6, v19 :: v_dual_add_nc_u32 v2, v2, v16
                                        ; implicit-def: $vgpr16_vgpr17
	v_cmpx_ne_u32_e32 0, v24
	s_xor_b32 s13, exec_lo, s13
; %bb.4455:                             ;   in Loop: Header=BB4_4181 Depth=3
	s_delay_alu instid0(VALU_DEP_2) | instskip(SKIP_1) | instid1(VALU_DEP_1)
	v_cmp_lt_u64_e32 vcc_lo, 0xffffff, v[2:3]
	v_add_nc_u32_e32 v16, 7, v19
	v_cndmask_b32_e32 v18, v24, v16, vcc_lo
	v_cndmask_b32_e64 v16, 0, 1, vcc_lo
	s_delay_alu instid0(VALU_DEP_1)
	v_lshrrev_b64 v[16:17], v16, v[2:3]
; %bb.4456:                             ;   in Loop: Header=BB4_4181 Depth=3
	s_and_not1_saveexec_b32 s13, s13
; %bb.4457:                             ;   in Loop: Header=BB4_4181 Depth=3
	v_mov_b64_e32 v[16:17], v[2:3]
	v_bfe_u32 v18, v2, 23, 1
; %bb.4458:                             ;   in Loop: Header=BB4_4181 Depth=3
	s_or_b32 exec_lo, exec_lo, s13
	s_delay_alu instid0(VALU_DEP_2) | instskip(NEXT) | instid1(VALU_DEP_2)
	v_lshrrev_b64 v[16:17], 20, v[16:17]
	v_cmp_gt_i32_e32 vcc_lo, 16, v18
	v_cmp_ne_u32_e64 s13, 0, v18
                                        ; implicit-def: $vgpr122
	s_delay_alu instid0(VALU_DEP_3) | instskip(NEXT) | instid1(VALU_DEP_1)
	v_dual_cndmask_b32 v17, 0, v17 :: v_dual_cndmask_b32 v16, 7, v16
	v_cmp_ne_u64_e32 vcc_lo, 0, v[16:17]
	s_or_b32 s13, s13, vcc_lo
	s_delay_alu instid0(SALU_CYCLE_1) | instskip(NEXT) | instid1(SALU_CYCLE_1)
	s_and_saveexec_b32 s76, s13
	s_xor_b32 s13, exec_lo, s76
; %bb.4459:                             ;   in Loop: Header=BB4_4181 Depth=3
	v_min_i32_e32 v2, 15, v18
	s_delay_alu instid0(VALU_DEP_1) | instskip(NEXT) | instid1(VALU_DEP_1)
	v_lshl_or_b32 v2, v2, 3, v26
                                        ; implicit-def: $vgpr26
	v_and_or_b32 v122, v16, 7, v2
; %bb.4460:                             ;   in Loop: Header=BB4_4181 Depth=3
	s_and_not1_saveexec_b32 s13, s13
; %bb.4461:                             ;   in Loop: Header=BB4_4181 Depth=3
	v_mov_b32_e32 v122, v26
; %bb.4462:                             ;   in Loop: Header=BB4_4181 Depth=3
	s_or_b32 exec_lo, exec_lo, s13
.LBB4_4463:                             ;   in Loop: Header=BB4_4181 Depth=3
	s_delay_alu instid0(SALU_CYCLE_1)
	s_or_b32 exec_lo, exec_lo, s75
                                        ; implicit-def: $vgpr26
.LBB4_4464:                             ;   in Loop: Header=BB4_4181 Depth=3
	s_and_not1_saveexec_b32 s13, s74
; %bb.4465:                             ;   in Loop: Header=BB4_4181 Depth=3
	v_or_b32_e32 v122, 0x7e, v26
; %bb.4466:                             ;   in Loop: Header=BB4_4181 Depth=3
	s_or_b32 exec_lo, exec_lo, s13
                                        ; implicit-def: $vgpr17
.LBB4_4467:                             ;   in Loop: Header=BB4_4181 Depth=3
	s_and_not1_saveexec_b32 s13, s45
; %bb.4468:                             ;   in Loop: Header=BB4_4181 Depth=3
	v_or_b32_e32 v122, 0x7f, v17
; %bb.4469:                             ;   in Loop: Header=BB4_4181 Depth=3
	s_or_b32 exec_lo, exec_lo, s13
	v_and_b32_e32 v2, 0xff, v121
	v_dual_mov_b32 v18, 0 :: v_dual_mov_b32 v19, 0
	s_mov_b32 s13, exec_lo
	s_delay_alu instid0(VALU_DEP_2)
	v_cmpx_ne_u16_e32 0, v2
	s_cbranch_execz .LBB4_4477
; %bb.4470:                             ;   in Loop: Header=BB4_4181 Depth=3
	v_bfrev_b32_e32 v19, 1
	s_mov_b32 s45, exec_lo
	v_cmpx_ne_u16_e32 0x80, v2
	s_cbranch_execz .LBB4_4476
; %bb.4471:                             ;   in Loop: Header=BB4_4181 Depth=3
	v_and_b32_e32 v16, 0x7f, v121
	v_mov_b32_e32 v19, 0x7f800001
	s_mov_b32 s74, exec_lo
	s_delay_alu instid0(VALU_DEP_2)
	v_cmpx_ne_u32_e32 0x7f, v16
	s_cbranch_execz .LBB4_4475
; %bb.4472:                             ;   in Loop: Header=BB4_4181 Depth=3
	v_dual_lshrrev_b32 v19, 3, v16 :: v_dual_bitop2_b32 v2, 7, v2 bitop3:0x40
	v_cmp_gt_u32_e32 vcc_lo, 8, v16
	s_delay_alu instid0(VALU_DEP_2)
	v_mov_b64_e32 v[16:17], v[2:3]
	s_and_saveexec_b32 s75, vcc_lo
; %bb.4473:                             ;   in Loop: Header=BB4_4181 Depth=3
	v_clz_i32_u32_e32 v16, v2
	s_delay_alu instid0(VALU_DEP_1) | instskip(NEXT) | instid1(VALU_DEP_1)
	v_min_u32_e32 v19, 32, v16
	v_subrev_nc_u32_e32 v16, 28, v19
	s_delay_alu instid0(VALU_DEP_1) | instskip(NEXT) | instid1(VALU_DEP_1)
	v_lshlrev_b64_e32 v[16:17], v16, v[2:3]
	v_dual_sub_nc_u32 v19, 29, v19 :: v_dual_bitop2_b32 v16, 7, v16 bitop3:0x40
; %bb.4474:                             ;   in Loop: Header=BB4_4181 Depth=3
	s_or_b32 exec_lo, exec_lo, s75
	s_delay_alu instid0(VALU_DEP_1) | instskip(NEXT) | instid1(VALU_DEP_2)
	v_dual_lshlrev_b32 v2, 24, v121 :: v_dual_lshlrev_b32 v16, 20, v16
	v_lshl_add_u32 v17, v19, 23, 0x3c000000
	s_delay_alu instid0(VALU_DEP_2) | instskip(NEXT) | instid1(VALU_DEP_1)
	v_and_b32_e32 v2, 0x80000000, v2
	v_or3_b32 v19, v16, v2, v17
.LBB4_4475:                             ;   in Loop: Header=BB4_4181 Depth=3
	s_or_b32 exec_lo, exec_lo, s74
.LBB4_4476:                             ;   in Loop: Header=BB4_4181 Depth=3
	s_delay_alu instid0(SALU_CYCLE_1)
	s_or_b32 exec_lo, exec_lo, s45
.LBB4_4477:                             ;   in Loop: Header=BB4_4181 Depth=3
	s_delay_alu instid0(SALU_CYCLE_1) | instskip(SKIP_3) | instid1(VALU_DEP_1)
	s_or_b32 exec_lo, exec_lo, s13
	s_wait_loadcnt_dscnt 0x707
	v_and_b32_e32 v2, 0xff, v120
	s_mov_b32 s13, exec_lo
	v_cmpx_ne_u16_e32 0, v2
	s_cbranch_execz .LBB4_4485
; %bb.4478:                             ;   in Loop: Header=BB4_4181 Depth=3
	v_bfrev_b32_e32 v18, 1
	s_mov_b32 s45, exec_lo
	v_cmpx_ne_u16_e32 0x80, v2
	s_cbranch_execz .LBB4_4484
; %bb.4479:                             ;   in Loop: Header=BB4_4181 Depth=3
	v_and_b32_e32 v16, 0x7f, v120
	v_mov_b32_e32 v18, 0x7f800001
	s_mov_b32 s74, exec_lo
	s_delay_alu instid0(VALU_DEP_2)
	v_cmpx_ne_u32_e32 0x7f, v16
	s_cbranch_execz .LBB4_4483
; %bb.4480:                             ;   in Loop: Header=BB4_4181 Depth=3
	v_dual_lshrrev_b32 v18, 3, v16 :: v_dual_bitop2_b32 v2, 7, v2 bitop3:0x40
	v_cmp_gt_u32_e32 vcc_lo, 8, v16
	s_delay_alu instid0(VALU_DEP_2)
	v_mov_b64_e32 v[16:17], v[2:3]
	s_and_saveexec_b32 s75, vcc_lo
; %bb.4481:                             ;   in Loop: Header=BB4_4181 Depth=3
	v_clz_i32_u32_e32 v16, v2
	s_delay_alu instid0(VALU_DEP_1) | instskip(NEXT) | instid1(VALU_DEP_1)
	v_min_u32_e32 v18, 32, v16
	v_subrev_nc_u32_e32 v16, 28, v18
	s_delay_alu instid0(VALU_DEP_1) | instskip(NEXT) | instid1(VALU_DEP_1)
	v_lshlrev_b64_e32 v[16:17], v16, v[2:3]
	v_dual_sub_nc_u32 v18, 29, v18 :: v_dual_bitop2_b32 v16, 7, v16 bitop3:0x40
; %bb.4482:                             ;   in Loop: Header=BB4_4181 Depth=3
	s_or_b32 exec_lo, exec_lo, s75
	v_lshlrev_b32_e32 v2, 24, v120
	s_delay_alu instid0(VALU_DEP_2) | instskip(NEXT) | instid1(VALU_DEP_3)
	v_lshlrev_b32_e32 v16, 20, v16
	v_lshl_add_u32 v17, v18, 23, 0x3c000000
	s_delay_alu instid0(VALU_DEP_3) | instskip(NEXT) | instid1(VALU_DEP_1)
	v_and_b32_e32 v2, 0x80000000, v2
	v_or3_b32 v18, v16, v2, v17
.LBB4_4483:                             ;   in Loop: Header=BB4_4181 Depth=3
	s_or_b32 exec_lo, exec_lo, s74
.LBB4_4484:                             ;   in Loop: Header=BB4_4181 Depth=3
	s_delay_alu instid0(SALU_CYCLE_1)
	s_or_b32 exec_lo, exec_lo, s45
.LBB4_4485:                             ;   in Loop: Header=BB4_4181 Depth=3
	s_delay_alu instid0(SALU_CYCLE_1) | instskip(NEXT) | instid1(VALU_DEP_1)
	s_or_b32 exec_lo, exec_lo, s13
	v_add_f32_e32 v16, v19, v18
                                        ; implicit-def: $vgpr120
	s_mov_b32 s13, exec_lo
	s_delay_alu instid0(VALU_DEP_1) | instskip(SKIP_1) | instid1(VALU_DEP_2)
	v_and_b32_e32 v2, 0x7f800000, v16
	v_lshrrev_b32_e32 v17, 24, v16
	v_cmpx_ne_u64_e32 0x7f800000, v[2:3]
	s_xor_b32 s45, exec_lo, s13
	s_cbranch_execz .LBB4_4503
; %bb.4486:                             ;   in Loop: Header=BB4_4181 Depth=3
	v_and_b32_e32 v2, 0x7fffffff, v16
	v_and_b32_e32 v26, 0x80, v17
                                        ; implicit-def: $vgpr120
	s_mov_b32 s13, exec_lo
	s_delay_alu instid0(VALU_DEP_2)
	v_cmpx_gt_u64_e32 0x43e00001, v[2:3]
	s_xor_b32 s74, exec_lo, s13
	s_cbranch_execz .LBB4_4500
; %bb.4487:                             ;   in Loop: Header=BB4_4181 Depth=3
	v_mov_b32_e32 v120, 0
	s_mov_b32 s75, exec_lo
	v_cmpx_ne_u32_e32 0, v16
	s_cbranch_execz .LBB4_4499
; %bb.4488:                             ;   in Loop: Header=BB4_4181 Depth=3
	v_bfe_u32 v24, v16, 23, 8
	s_delay_alu instid0(VALU_DEP_1) | instskip(SKIP_1) | instid1(VALU_DEP_2)
	v_sub_nc_u32_e32 v2, 0x79, v24
	v_cmp_gt_u32_e32 vcc_lo, 0x7a, v24
	v_cndmask_b32_e32 v2, 0, v2, vcc_lo
	v_cmp_eq_u32_e32 vcc_lo, 0, v24
	s_delay_alu instid0(VALU_DEP_2) | instskip(SKIP_1) | instid1(VALU_DEP_2)
	v_cndmask_b32_e64 v25, v2, 0x78, vcc_lo
	v_and_b32_e32 v2, 0x7fffff, v16
	v_add_nc_u32_e32 v16, 20, v25
	s_delay_alu instid0(VALU_DEP_2) | instskip(SKIP_1) | instid1(VALU_DEP_3)
	v_or_b32_e32 v18, 0x800000, v2
	v_add_nc_u32_e32 v19, 19, v25
	v_lshlrev_b64_e64 v[16:17], v16, -1
	s_delay_alu instid0(VALU_DEP_3) | instskip(NEXT) | instid1(VALU_DEP_3)
	v_cndmask_b32_e32 v2, v18, v2, vcc_lo
	v_lshlrev_b64_e64 v[18:19], v19, 1
	s_delay_alu instid0(VALU_DEP_3) | instskip(NEXT) | instid1(VALU_DEP_3)
	v_bfi_b32 v29, v17, 0, 0
	v_bfi_b32 v28, v16, 0, v2
	v_lshrrev_b64 v[16:17], v25, v[2:3]
	s_delay_alu instid0(VALU_DEP_2) | instskip(NEXT) | instid1(VALU_DEP_2)
	v_cmp_eq_u64_e64 s13, v[28:29], v[18:19]
	v_mov_b64_e32 v[18:19], v[16:17]
	s_and_saveexec_b32 s76, s13
; %bb.4489:                             ;   in Loop: Header=BB4_4181 Depth=3
	v_bfe_u32 v2, v16, 20, 1
	s_delay_alu instid0(VALU_DEP_1) | instskip(NEXT) | instid1(VALU_DEP_1)
	v_add_nc_u64_e32 v[18:19], v[16:17], v[2:3]
	v_add_nc_u64_e32 v[18:19], -1, v[18:19]
; %bb.4490:                             ;   in Loop: Header=BB4_4181 Depth=3
	s_or_b32 exec_lo, exec_lo, s76
	v_add_nc_u32_e32 v2, 0xffffff81, v24
	v_lshrrev_b32_e32 v17, 23, v16
	s_mov_b32 s13, exec_lo
	s_delay_alu instid0(VALU_DEP_2) | instskip(NEXT) | instid1(VALU_DEP_1)
	v_cndmask_b32_e64 v2, v2, 0xffffff82, vcc_lo
	v_add3_u32 v19, v25, v2, v17
	v_and_b32_e32 v2, 0xfffff, v18
                                        ; implicit-def: $vgpr18
	s_delay_alu instid0(VALU_DEP_1) | instskip(NEXT) | instid1(VALU_DEP_1)
	v_dual_add_nc_u32 v24, 6, v19 :: v_dual_add_nc_u32 v2, v2, v16
                                        ; implicit-def: $vgpr16_vgpr17
	v_cmpx_ne_u32_e32 0, v24
	s_xor_b32 s13, exec_lo, s13
; %bb.4491:                             ;   in Loop: Header=BB4_4181 Depth=3
	s_delay_alu instid0(VALU_DEP_2) | instskip(SKIP_1) | instid1(VALU_DEP_1)
	v_cmp_lt_u64_e32 vcc_lo, 0xffffff, v[2:3]
	v_add_nc_u32_e32 v16, 7, v19
	v_cndmask_b32_e32 v18, v24, v16, vcc_lo
	v_cndmask_b32_e64 v16, 0, 1, vcc_lo
	s_delay_alu instid0(VALU_DEP_1)
	v_lshrrev_b64 v[16:17], v16, v[2:3]
; %bb.4492:                             ;   in Loop: Header=BB4_4181 Depth=3
	s_and_not1_saveexec_b32 s13, s13
; %bb.4493:                             ;   in Loop: Header=BB4_4181 Depth=3
	v_mov_b64_e32 v[16:17], v[2:3]
	v_bfe_u32 v18, v2, 23, 1
; %bb.4494:                             ;   in Loop: Header=BB4_4181 Depth=3
	s_or_b32 exec_lo, exec_lo, s13
	s_delay_alu instid0(VALU_DEP_2) | instskip(NEXT) | instid1(VALU_DEP_2)
	v_lshrrev_b64 v[16:17], 20, v[16:17]
	v_cmp_gt_i32_e32 vcc_lo, 16, v18
	v_cmp_ne_u32_e64 s13, 0, v18
                                        ; implicit-def: $vgpr120
	s_delay_alu instid0(VALU_DEP_3) | instskip(NEXT) | instid1(VALU_DEP_1)
	v_dual_cndmask_b32 v17, 0, v17 :: v_dual_cndmask_b32 v16, 7, v16
	v_cmp_ne_u64_e32 vcc_lo, 0, v[16:17]
	s_or_b32 s13, s13, vcc_lo
	s_delay_alu instid0(SALU_CYCLE_1) | instskip(NEXT) | instid1(SALU_CYCLE_1)
	s_and_saveexec_b32 s76, s13
	s_xor_b32 s13, exec_lo, s76
; %bb.4495:                             ;   in Loop: Header=BB4_4181 Depth=3
	v_min_i32_e32 v2, 15, v18
	s_delay_alu instid0(VALU_DEP_1) | instskip(NEXT) | instid1(VALU_DEP_1)
	v_lshl_or_b32 v2, v2, 3, v26
                                        ; implicit-def: $vgpr26
	v_and_or_b32 v120, v16, 7, v2
; %bb.4496:                             ;   in Loop: Header=BB4_4181 Depth=3
	s_and_not1_saveexec_b32 s13, s13
; %bb.4497:                             ;   in Loop: Header=BB4_4181 Depth=3
	v_mov_b32_e32 v120, v26
; %bb.4498:                             ;   in Loop: Header=BB4_4181 Depth=3
	s_or_b32 exec_lo, exec_lo, s13
.LBB4_4499:                             ;   in Loop: Header=BB4_4181 Depth=3
	s_delay_alu instid0(SALU_CYCLE_1)
	s_or_b32 exec_lo, exec_lo, s75
                                        ; implicit-def: $vgpr26
.LBB4_4500:                             ;   in Loop: Header=BB4_4181 Depth=3
	s_and_not1_saveexec_b32 s13, s74
; %bb.4501:                             ;   in Loop: Header=BB4_4181 Depth=3
	v_or_b32_e32 v120, 0x7e, v26
; %bb.4502:                             ;   in Loop: Header=BB4_4181 Depth=3
	s_or_b32 exec_lo, exec_lo, s13
                                        ; implicit-def: $vgpr17
.LBB4_4503:                             ;   in Loop: Header=BB4_4181 Depth=3
	s_and_not1_saveexec_b32 s13, s45
; %bb.4504:                             ;   in Loop: Header=BB4_4181 Depth=3
	v_or_b32_e32 v120, 0x7f, v17
; %bb.4505:                             ;   in Loop: Header=BB4_4181 Depth=3
	s_or_b32 exec_lo, exec_lo, s13
	v_and_b32_e32 v2, 0xff, v110
	v_dual_mov_b32 v18, 0 :: v_dual_mov_b32 v19, 0
	s_mov_b32 s13, exec_lo
	s_delay_alu instid0(VALU_DEP_2)
	v_cmpx_ne_u16_e32 0, v2
	s_cbranch_execz .LBB4_4513
; %bb.4506:                             ;   in Loop: Header=BB4_4181 Depth=3
	v_bfrev_b32_e32 v19, 1
	s_mov_b32 s45, exec_lo
	v_cmpx_ne_u16_e32 0x80, v2
	s_cbranch_execz .LBB4_4512
; %bb.4507:                             ;   in Loop: Header=BB4_4181 Depth=3
	v_and_b32_e32 v16, 0x7f, v110
	v_mov_b32_e32 v19, 0x7f800001
	s_mov_b32 s74, exec_lo
	s_delay_alu instid0(VALU_DEP_2)
	v_cmpx_ne_u32_e32 0x7f, v16
	s_cbranch_execz .LBB4_4511
; %bb.4508:                             ;   in Loop: Header=BB4_4181 Depth=3
	v_dual_lshrrev_b32 v19, 3, v16 :: v_dual_bitop2_b32 v2, 7, v2 bitop3:0x40
	v_cmp_gt_u32_e32 vcc_lo, 8, v16
	s_delay_alu instid0(VALU_DEP_2)
	v_mov_b64_e32 v[16:17], v[2:3]
	s_and_saveexec_b32 s75, vcc_lo
; %bb.4509:                             ;   in Loop: Header=BB4_4181 Depth=3
	v_clz_i32_u32_e32 v16, v2
	s_delay_alu instid0(VALU_DEP_1) | instskip(NEXT) | instid1(VALU_DEP_1)
	v_min_u32_e32 v19, 32, v16
	v_subrev_nc_u32_e32 v16, 28, v19
	s_delay_alu instid0(VALU_DEP_1) | instskip(NEXT) | instid1(VALU_DEP_1)
	v_lshlrev_b64_e32 v[16:17], v16, v[2:3]
	v_dual_sub_nc_u32 v19, 29, v19 :: v_dual_bitop2_b32 v16, 7, v16 bitop3:0x40
; %bb.4510:                             ;   in Loop: Header=BB4_4181 Depth=3
	s_or_b32 exec_lo, exec_lo, s75
	s_delay_alu instid0(VALU_DEP_1) | instskip(NEXT) | instid1(VALU_DEP_2)
	v_dual_lshlrev_b32 v2, 24, v110 :: v_dual_lshlrev_b32 v16, 20, v16
	v_lshl_add_u32 v17, v19, 23, 0x3c000000
	s_delay_alu instid0(VALU_DEP_2) | instskip(NEXT) | instid1(VALU_DEP_1)
	v_and_b32_e32 v2, 0x80000000, v2
	v_or3_b32 v19, v16, v2, v17
.LBB4_4511:                             ;   in Loop: Header=BB4_4181 Depth=3
	s_or_b32 exec_lo, exec_lo, s74
.LBB4_4512:                             ;   in Loop: Header=BB4_4181 Depth=3
	s_delay_alu instid0(SALU_CYCLE_1)
	s_or_b32 exec_lo, exec_lo, s45
.LBB4_4513:                             ;   in Loop: Header=BB4_4181 Depth=3
	s_delay_alu instid0(SALU_CYCLE_1) | instskip(SKIP_3) | instid1(VALU_DEP_1)
	s_or_b32 exec_lo, exec_lo, s13
	s_wait_loadcnt_dscnt 0x606
	v_and_b32_e32 v2, 0xff, v109
	s_mov_b32 s13, exec_lo
	v_cmpx_ne_u16_e32 0, v2
	s_cbranch_execz .LBB4_4521
; %bb.4514:                             ;   in Loop: Header=BB4_4181 Depth=3
	v_bfrev_b32_e32 v18, 1
	s_mov_b32 s45, exec_lo
	v_cmpx_ne_u16_e32 0x80, v2
	s_cbranch_execz .LBB4_4520
; %bb.4515:                             ;   in Loop: Header=BB4_4181 Depth=3
	v_and_b32_e32 v16, 0x7f, v109
	v_mov_b32_e32 v18, 0x7f800001
	s_mov_b32 s74, exec_lo
	s_delay_alu instid0(VALU_DEP_2)
	v_cmpx_ne_u32_e32 0x7f, v16
	s_cbranch_execz .LBB4_4519
; %bb.4516:                             ;   in Loop: Header=BB4_4181 Depth=3
	v_dual_lshrrev_b32 v18, 3, v16 :: v_dual_bitop2_b32 v2, 7, v2 bitop3:0x40
	v_cmp_gt_u32_e32 vcc_lo, 8, v16
	s_delay_alu instid0(VALU_DEP_2)
	v_mov_b64_e32 v[16:17], v[2:3]
	s_and_saveexec_b32 s75, vcc_lo
; %bb.4517:                             ;   in Loop: Header=BB4_4181 Depth=3
	v_clz_i32_u32_e32 v16, v2
	s_delay_alu instid0(VALU_DEP_1) | instskip(NEXT) | instid1(VALU_DEP_1)
	v_min_u32_e32 v18, 32, v16
	v_subrev_nc_u32_e32 v16, 28, v18
	s_delay_alu instid0(VALU_DEP_1) | instskip(NEXT) | instid1(VALU_DEP_1)
	v_lshlrev_b64_e32 v[16:17], v16, v[2:3]
	v_dual_sub_nc_u32 v18, 29, v18 :: v_dual_bitop2_b32 v16, 7, v16 bitop3:0x40
; %bb.4518:                             ;   in Loop: Header=BB4_4181 Depth=3
	s_or_b32 exec_lo, exec_lo, s75
	s_delay_alu instid0(VALU_DEP_1) | instskip(NEXT) | instid1(VALU_DEP_2)
	v_dual_lshlrev_b32 v2, 24, v109 :: v_dual_lshlrev_b32 v16, 20, v16
	v_lshl_add_u32 v17, v18, 23, 0x3c000000
	s_delay_alu instid0(VALU_DEP_2) | instskip(NEXT) | instid1(VALU_DEP_1)
	v_and_b32_e32 v2, 0x80000000, v2
	v_or3_b32 v18, v16, v2, v17
.LBB4_4519:                             ;   in Loop: Header=BB4_4181 Depth=3
	s_or_b32 exec_lo, exec_lo, s74
.LBB4_4520:                             ;   in Loop: Header=BB4_4181 Depth=3
	s_delay_alu instid0(SALU_CYCLE_1)
	s_or_b32 exec_lo, exec_lo, s45
.LBB4_4521:                             ;   in Loop: Header=BB4_4181 Depth=3
	s_delay_alu instid0(SALU_CYCLE_1) | instskip(NEXT) | instid1(VALU_DEP_1)
	s_or_b32 exec_lo, exec_lo, s13
	v_add_f32_e32 v16, v19, v18
                                        ; implicit-def: $vgpr109
	s_mov_b32 s13, exec_lo
	s_delay_alu instid0(VALU_DEP_1) | instskip(SKIP_1) | instid1(VALU_DEP_2)
	v_and_b32_e32 v2, 0x7f800000, v16
	v_lshrrev_b32_e32 v17, 24, v16
	v_cmpx_ne_u64_e32 0x7f800000, v[2:3]
	s_xor_b32 s45, exec_lo, s13
	s_cbranch_execz .LBB4_4539
; %bb.4522:                             ;   in Loop: Header=BB4_4181 Depth=3
	v_and_b32_e32 v2, 0x7fffffff, v16
	v_and_b32_e32 v26, 0x80, v17
                                        ; implicit-def: $vgpr109
	s_mov_b32 s13, exec_lo
	s_delay_alu instid0(VALU_DEP_2)
	v_cmpx_gt_u64_e32 0x43e00001, v[2:3]
	s_xor_b32 s74, exec_lo, s13
	s_cbranch_execz .LBB4_4536
; %bb.4523:                             ;   in Loop: Header=BB4_4181 Depth=3
	v_mov_b32_e32 v109, 0
	s_mov_b32 s75, exec_lo
	v_cmpx_ne_u32_e32 0, v16
	s_cbranch_execz .LBB4_4535
; %bb.4524:                             ;   in Loop: Header=BB4_4181 Depth=3
	v_bfe_u32 v24, v16, 23, 8
	s_delay_alu instid0(VALU_DEP_1) | instskip(SKIP_1) | instid1(VALU_DEP_2)
	v_sub_nc_u32_e32 v2, 0x79, v24
	v_cmp_gt_u32_e32 vcc_lo, 0x7a, v24
	v_cndmask_b32_e32 v2, 0, v2, vcc_lo
	v_cmp_eq_u32_e32 vcc_lo, 0, v24
	s_delay_alu instid0(VALU_DEP_2) | instskip(SKIP_1) | instid1(VALU_DEP_2)
	v_cndmask_b32_e64 v25, v2, 0x78, vcc_lo
	v_and_b32_e32 v2, 0x7fffff, v16
	v_add_nc_u32_e32 v16, 20, v25
	s_delay_alu instid0(VALU_DEP_2) | instskip(SKIP_1) | instid1(VALU_DEP_3)
	v_or_b32_e32 v18, 0x800000, v2
	v_add_nc_u32_e32 v19, 19, v25
	v_lshlrev_b64_e64 v[16:17], v16, -1
	s_delay_alu instid0(VALU_DEP_3) | instskip(NEXT) | instid1(VALU_DEP_3)
	v_cndmask_b32_e32 v2, v18, v2, vcc_lo
	v_lshlrev_b64_e64 v[18:19], v19, 1
	s_delay_alu instid0(VALU_DEP_3) | instskip(NEXT) | instid1(VALU_DEP_3)
	v_bfi_b32 v29, v17, 0, 0
	v_bfi_b32 v28, v16, 0, v2
	v_lshrrev_b64 v[16:17], v25, v[2:3]
	s_delay_alu instid0(VALU_DEP_2) | instskip(NEXT) | instid1(VALU_DEP_2)
	v_cmp_eq_u64_e64 s13, v[28:29], v[18:19]
	v_mov_b64_e32 v[18:19], v[16:17]
	s_and_saveexec_b32 s76, s13
; %bb.4525:                             ;   in Loop: Header=BB4_4181 Depth=3
	v_bfe_u32 v2, v16, 20, 1
	s_delay_alu instid0(VALU_DEP_1) | instskip(NEXT) | instid1(VALU_DEP_1)
	v_add_nc_u64_e32 v[18:19], v[16:17], v[2:3]
	v_add_nc_u64_e32 v[18:19], -1, v[18:19]
; %bb.4526:                             ;   in Loop: Header=BB4_4181 Depth=3
	s_or_b32 exec_lo, exec_lo, s76
	v_add_nc_u32_e32 v2, 0xffffff81, v24
	v_lshrrev_b32_e32 v17, 23, v16
	s_mov_b32 s13, exec_lo
	s_delay_alu instid0(VALU_DEP_2) | instskip(NEXT) | instid1(VALU_DEP_1)
	v_cndmask_b32_e64 v2, v2, 0xffffff82, vcc_lo
	v_add3_u32 v19, v25, v2, v17
	v_and_b32_e32 v2, 0xfffff, v18
                                        ; implicit-def: $vgpr18
	s_delay_alu instid0(VALU_DEP_1) | instskip(NEXT) | instid1(VALU_DEP_1)
	v_dual_add_nc_u32 v24, 6, v19 :: v_dual_add_nc_u32 v2, v2, v16
                                        ; implicit-def: $vgpr16_vgpr17
	v_cmpx_ne_u32_e32 0, v24
	s_xor_b32 s13, exec_lo, s13
; %bb.4527:                             ;   in Loop: Header=BB4_4181 Depth=3
	s_delay_alu instid0(VALU_DEP_2) | instskip(SKIP_1) | instid1(VALU_DEP_1)
	v_cmp_lt_u64_e32 vcc_lo, 0xffffff, v[2:3]
	v_add_nc_u32_e32 v16, 7, v19
	v_cndmask_b32_e32 v18, v24, v16, vcc_lo
	v_cndmask_b32_e64 v16, 0, 1, vcc_lo
	s_delay_alu instid0(VALU_DEP_1)
	v_lshrrev_b64 v[16:17], v16, v[2:3]
; %bb.4528:                             ;   in Loop: Header=BB4_4181 Depth=3
	s_and_not1_saveexec_b32 s13, s13
; %bb.4529:                             ;   in Loop: Header=BB4_4181 Depth=3
	v_mov_b64_e32 v[16:17], v[2:3]
	v_bfe_u32 v18, v2, 23, 1
; %bb.4530:                             ;   in Loop: Header=BB4_4181 Depth=3
	s_or_b32 exec_lo, exec_lo, s13
	s_delay_alu instid0(VALU_DEP_2) | instskip(NEXT) | instid1(VALU_DEP_2)
	v_lshrrev_b64 v[16:17], 20, v[16:17]
	v_cmp_gt_i32_e32 vcc_lo, 16, v18
	v_cmp_ne_u32_e64 s13, 0, v18
                                        ; implicit-def: $vgpr109
	s_delay_alu instid0(VALU_DEP_3) | instskip(NEXT) | instid1(VALU_DEP_1)
	v_dual_cndmask_b32 v17, 0, v17 :: v_dual_cndmask_b32 v16, 7, v16
	v_cmp_ne_u64_e32 vcc_lo, 0, v[16:17]
	s_or_b32 s13, s13, vcc_lo
	s_delay_alu instid0(SALU_CYCLE_1) | instskip(NEXT) | instid1(SALU_CYCLE_1)
	s_and_saveexec_b32 s76, s13
	s_xor_b32 s13, exec_lo, s76
; %bb.4531:                             ;   in Loop: Header=BB4_4181 Depth=3
	v_min_i32_e32 v2, 15, v18
	s_delay_alu instid0(VALU_DEP_1) | instskip(NEXT) | instid1(VALU_DEP_1)
	v_lshl_or_b32 v2, v2, 3, v26
                                        ; implicit-def: $vgpr26
	v_and_or_b32 v109, v16, 7, v2
; %bb.4532:                             ;   in Loop: Header=BB4_4181 Depth=3
	s_and_not1_saveexec_b32 s13, s13
; %bb.4533:                             ;   in Loop: Header=BB4_4181 Depth=3
	v_mov_b32_e32 v109, v26
; %bb.4534:                             ;   in Loop: Header=BB4_4181 Depth=3
	s_or_b32 exec_lo, exec_lo, s13
.LBB4_4535:                             ;   in Loop: Header=BB4_4181 Depth=3
	s_delay_alu instid0(SALU_CYCLE_1)
	s_or_b32 exec_lo, exec_lo, s75
                                        ; implicit-def: $vgpr26
.LBB4_4536:                             ;   in Loop: Header=BB4_4181 Depth=3
	s_and_not1_saveexec_b32 s13, s74
; %bb.4537:                             ;   in Loop: Header=BB4_4181 Depth=3
	v_or_b32_e32 v109, 0x7e, v26
; %bb.4538:                             ;   in Loop: Header=BB4_4181 Depth=3
	s_or_b32 exec_lo, exec_lo, s13
                                        ; implicit-def: $vgpr17
.LBB4_4539:                             ;   in Loop: Header=BB4_4181 Depth=3
	s_and_not1_saveexec_b32 s13, s45
; %bb.4540:                             ;   in Loop: Header=BB4_4181 Depth=3
	v_or_b32_e32 v109, 0x7f, v17
; %bb.4541:                             ;   in Loop: Header=BB4_4181 Depth=3
	s_or_b32 exec_lo, exec_lo, s13
	v_and_b32_e32 v2, 0xff, v107
	v_dual_mov_b32 v18, 0 :: v_dual_mov_b32 v19, 0
	s_mov_b32 s13, exec_lo
	s_delay_alu instid0(VALU_DEP_2)
	v_cmpx_ne_u16_e32 0, v2
	s_cbranch_execz .LBB4_4549
; %bb.4542:                             ;   in Loop: Header=BB4_4181 Depth=3
	v_bfrev_b32_e32 v19, 1
	s_mov_b32 s45, exec_lo
	v_cmpx_ne_u16_e32 0x80, v2
	s_cbranch_execz .LBB4_4548
; %bb.4543:                             ;   in Loop: Header=BB4_4181 Depth=3
	v_and_b32_e32 v16, 0x7f, v107
	v_mov_b32_e32 v19, 0x7f800001
	s_mov_b32 s74, exec_lo
	s_delay_alu instid0(VALU_DEP_2)
	v_cmpx_ne_u32_e32 0x7f, v16
	s_cbranch_execz .LBB4_4547
; %bb.4544:                             ;   in Loop: Header=BB4_4181 Depth=3
	v_dual_lshrrev_b32 v19, 3, v16 :: v_dual_bitop2_b32 v2, 7, v2 bitop3:0x40
	v_cmp_gt_u32_e32 vcc_lo, 8, v16
	s_delay_alu instid0(VALU_DEP_2)
	v_mov_b64_e32 v[16:17], v[2:3]
	s_and_saveexec_b32 s75, vcc_lo
; %bb.4545:                             ;   in Loop: Header=BB4_4181 Depth=3
	v_clz_i32_u32_e32 v16, v2
	s_delay_alu instid0(VALU_DEP_1) | instskip(NEXT) | instid1(VALU_DEP_1)
	v_min_u32_e32 v19, 32, v16
	v_subrev_nc_u32_e32 v16, 28, v19
	s_delay_alu instid0(VALU_DEP_1) | instskip(NEXT) | instid1(VALU_DEP_1)
	v_lshlrev_b64_e32 v[16:17], v16, v[2:3]
	v_dual_sub_nc_u32 v19, 29, v19 :: v_dual_bitop2_b32 v16, 7, v16 bitop3:0x40
; %bb.4546:                             ;   in Loop: Header=BB4_4181 Depth=3
	s_or_b32 exec_lo, exec_lo, s75
	s_delay_alu instid0(VALU_DEP_1) | instskip(NEXT) | instid1(VALU_DEP_2)
	v_dual_lshlrev_b32 v2, 24, v107 :: v_dual_lshlrev_b32 v16, 20, v16
	v_lshl_add_u32 v17, v19, 23, 0x3c000000
	s_delay_alu instid0(VALU_DEP_2) | instskip(NEXT) | instid1(VALU_DEP_1)
	v_and_b32_e32 v2, 0x80000000, v2
	v_or3_b32 v19, v16, v2, v17
.LBB4_4547:                             ;   in Loop: Header=BB4_4181 Depth=3
	s_or_b32 exec_lo, exec_lo, s74
.LBB4_4548:                             ;   in Loop: Header=BB4_4181 Depth=3
	s_delay_alu instid0(SALU_CYCLE_1)
	s_or_b32 exec_lo, exec_lo, s45
.LBB4_4549:                             ;   in Loop: Header=BB4_4181 Depth=3
	s_delay_alu instid0(SALU_CYCLE_1) | instskip(SKIP_3) | instid1(VALU_DEP_1)
	s_or_b32 exec_lo, exec_lo, s13
	s_wait_loadcnt_dscnt 0x505
	v_and_b32_e32 v2, 0xff, v106
	s_mov_b32 s13, exec_lo
	v_cmpx_ne_u16_e32 0, v2
	s_cbranch_execz .LBB4_4557
; %bb.4550:                             ;   in Loop: Header=BB4_4181 Depth=3
	v_bfrev_b32_e32 v18, 1
	s_mov_b32 s45, exec_lo
	v_cmpx_ne_u16_e32 0x80, v2
	s_cbranch_execz .LBB4_4556
; %bb.4551:                             ;   in Loop: Header=BB4_4181 Depth=3
	v_and_b32_e32 v16, 0x7f, v106
	v_mov_b32_e32 v18, 0x7f800001
	s_mov_b32 s74, exec_lo
	s_delay_alu instid0(VALU_DEP_2)
	v_cmpx_ne_u32_e32 0x7f, v16
	s_cbranch_execz .LBB4_4555
; %bb.4552:                             ;   in Loop: Header=BB4_4181 Depth=3
	v_dual_lshrrev_b32 v18, 3, v16 :: v_dual_bitop2_b32 v2, 7, v2 bitop3:0x40
	v_cmp_gt_u32_e32 vcc_lo, 8, v16
	s_delay_alu instid0(VALU_DEP_2)
	v_mov_b64_e32 v[16:17], v[2:3]
	s_and_saveexec_b32 s75, vcc_lo
; %bb.4553:                             ;   in Loop: Header=BB4_4181 Depth=3
	v_clz_i32_u32_e32 v16, v2
	s_delay_alu instid0(VALU_DEP_1) | instskip(NEXT) | instid1(VALU_DEP_1)
	v_min_u32_e32 v18, 32, v16
	v_subrev_nc_u32_e32 v16, 28, v18
	s_delay_alu instid0(VALU_DEP_1) | instskip(NEXT) | instid1(VALU_DEP_1)
	v_lshlrev_b64_e32 v[16:17], v16, v[2:3]
	v_dual_sub_nc_u32 v18, 29, v18 :: v_dual_bitop2_b32 v16, 7, v16 bitop3:0x40
; %bb.4554:                             ;   in Loop: Header=BB4_4181 Depth=3
	s_or_b32 exec_lo, exec_lo, s75
	s_delay_alu instid0(VALU_DEP_1) | instskip(NEXT) | instid1(VALU_DEP_2)
	v_dual_lshlrev_b32 v2, 24, v106 :: v_dual_lshlrev_b32 v16, 20, v16
	v_lshl_add_u32 v17, v18, 23, 0x3c000000
	s_delay_alu instid0(VALU_DEP_2) | instskip(NEXT) | instid1(VALU_DEP_1)
	v_and_b32_e32 v2, 0x80000000, v2
	v_or3_b32 v18, v16, v2, v17
.LBB4_4555:                             ;   in Loop: Header=BB4_4181 Depth=3
	s_or_b32 exec_lo, exec_lo, s74
.LBB4_4556:                             ;   in Loop: Header=BB4_4181 Depth=3
	s_delay_alu instid0(SALU_CYCLE_1)
	s_or_b32 exec_lo, exec_lo, s45
.LBB4_4557:                             ;   in Loop: Header=BB4_4181 Depth=3
	s_delay_alu instid0(SALU_CYCLE_1) | instskip(NEXT) | instid1(VALU_DEP_1)
	s_or_b32 exec_lo, exec_lo, s13
	v_add_f32_e32 v16, v19, v18
                                        ; implicit-def: $vgpr26
	s_mov_b32 s13, exec_lo
	s_delay_alu instid0(VALU_DEP_1) | instskip(SKIP_1) | instid1(VALU_DEP_2)
	v_and_b32_e32 v2, 0x7f800000, v16
	v_lshrrev_b32_e32 v17, 24, v16
	v_cmpx_ne_u64_e32 0x7f800000, v[2:3]
	s_xor_b32 s45, exec_lo, s13
	s_cbranch_execz .LBB4_4575
; %bb.4558:                             ;   in Loop: Header=BB4_4181 Depth=3
	v_and_b32_e32 v2, 0x7fffffff, v16
	v_and_b32_e32 v27, 0x80, v17
                                        ; implicit-def: $vgpr26
	s_mov_b32 s13, exec_lo
	s_delay_alu instid0(VALU_DEP_2)
	v_cmpx_gt_u64_e32 0x43e00001, v[2:3]
	s_xor_b32 s74, exec_lo, s13
	s_cbranch_execz .LBB4_4572
; %bb.4559:                             ;   in Loop: Header=BB4_4181 Depth=3
	v_mov_b32_e32 v26, 0
	s_mov_b32 s75, exec_lo
	v_cmpx_ne_u32_e32 0, v16
	s_cbranch_execz .LBB4_4571
; %bb.4560:                             ;   in Loop: Header=BB4_4181 Depth=3
	v_bfe_u32 v24, v16, 23, 8
	s_delay_alu instid0(VALU_DEP_1) | instskip(SKIP_1) | instid1(VALU_DEP_2)
	v_sub_nc_u32_e32 v2, 0x79, v24
	v_cmp_gt_u32_e32 vcc_lo, 0x7a, v24
	v_cndmask_b32_e32 v2, 0, v2, vcc_lo
	v_cmp_eq_u32_e32 vcc_lo, 0, v24
	s_delay_alu instid0(VALU_DEP_2) | instskip(SKIP_1) | instid1(VALU_DEP_2)
	v_cndmask_b32_e64 v25, v2, 0x78, vcc_lo
	v_and_b32_e32 v2, 0x7fffff, v16
	v_add_nc_u32_e32 v16, 20, v25
	s_delay_alu instid0(VALU_DEP_2) | instskip(SKIP_1) | instid1(VALU_DEP_3)
	v_or_b32_e32 v18, 0x800000, v2
	v_add_nc_u32_e32 v19, 19, v25
	v_lshlrev_b64_e64 v[16:17], v16, -1
	s_delay_alu instid0(VALU_DEP_3) | instskip(NEXT) | instid1(VALU_DEP_3)
	v_cndmask_b32_e32 v2, v18, v2, vcc_lo
	v_lshlrev_b64_e64 v[18:19], v19, 1
	s_delay_alu instid0(VALU_DEP_3) | instskip(NEXT) | instid1(VALU_DEP_3)
	v_bfi_b32 v29, v17, 0, 0
	v_bfi_b32 v28, v16, 0, v2
	v_lshrrev_b64 v[16:17], v25, v[2:3]
	s_delay_alu instid0(VALU_DEP_2) | instskip(NEXT) | instid1(VALU_DEP_2)
	v_cmp_eq_u64_e64 s13, v[28:29], v[18:19]
	v_mov_b64_e32 v[18:19], v[16:17]
	s_and_saveexec_b32 s76, s13
; %bb.4561:                             ;   in Loop: Header=BB4_4181 Depth=3
	v_bfe_u32 v2, v16, 20, 1
	s_delay_alu instid0(VALU_DEP_1) | instskip(NEXT) | instid1(VALU_DEP_1)
	v_add_nc_u64_e32 v[18:19], v[16:17], v[2:3]
	v_add_nc_u64_e32 v[18:19], -1, v[18:19]
; %bb.4562:                             ;   in Loop: Header=BB4_4181 Depth=3
	s_or_b32 exec_lo, exec_lo, s76
	v_add_nc_u32_e32 v2, 0xffffff81, v24
	v_lshrrev_b32_e32 v17, 23, v16
	s_mov_b32 s13, exec_lo
	s_delay_alu instid0(VALU_DEP_2) | instskip(NEXT) | instid1(VALU_DEP_1)
	v_cndmask_b32_e64 v2, v2, 0xffffff82, vcc_lo
	v_add3_u32 v19, v25, v2, v17
	v_and_b32_e32 v2, 0xfffff, v18
                                        ; implicit-def: $vgpr18
	s_delay_alu instid0(VALU_DEP_1) | instskip(NEXT) | instid1(VALU_DEP_1)
	v_dual_add_nc_u32 v24, 6, v19 :: v_dual_add_nc_u32 v2, v2, v16
                                        ; implicit-def: $vgpr16_vgpr17
	v_cmpx_ne_u32_e32 0, v24
	s_xor_b32 s13, exec_lo, s13
; %bb.4563:                             ;   in Loop: Header=BB4_4181 Depth=3
	s_delay_alu instid0(VALU_DEP_2) | instskip(SKIP_1) | instid1(VALU_DEP_1)
	v_cmp_lt_u64_e32 vcc_lo, 0xffffff, v[2:3]
	v_add_nc_u32_e32 v16, 7, v19
	v_cndmask_b32_e32 v18, v24, v16, vcc_lo
	v_cndmask_b32_e64 v16, 0, 1, vcc_lo
	s_delay_alu instid0(VALU_DEP_1)
	v_lshrrev_b64 v[16:17], v16, v[2:3]
; %bb.4564:                             ;   in Loop: Header=BB4_4181 Depth=3
	s_and_not1_saveexec_b32 s13, s13
; %bb.4565:                             ;   in Loop: Header=BB4_4181 Depth=3
	v_mov_b64_e32 v[16:17], v[2:3]
	v_bfe_u32 v18, v2, 23, 1
; %bb.4566:                             ;   in Loop: Header=BB4_4181 Depth=3
	s_or_b32 exec_lo, exec_lo, s13
	s_delay_alu instid0(VALU_DEP_2) | instskip(NEXT) | instid1(VALU_DEP_2)
	v_lshrrev_b64 v[16:17], 20, v[16:17]
	v_cmp_gt_i32_e32 vcc_lo, 16, v18
	v_cmp_ne_u32_e64 s13, 0, v18
                                        ; implicit-def: $vgpr26
	s_delay_alu instid0(VALU_DEP_3) | instskip(NEXT) | instid1(VALU_DEP_1)
	v_dual_cndmask_b32 v17, 0, v17 :: v_dual_cndmask_b32 v16, 7, v16
	v_cmp_ne_u64_e32 vcc_lo, 0, v[16:17]
	s_or_b32 s13, s13, vcc_lo
	s_delay_alu instid0(SALU_CYCLE_1) | instskip(NEXT) | instid1(SALU_CYCLE_1)
	s_and_saveexec_b32 s76, s13
	s_xor_b32 s13, exec_lo, s76
; %bb.4567:                             ;   in Loop: Header=BB4_4181 Depth=3
	v_min_i32_e32 v2, 15, v18
	s_delay_alu instid0(VALU_DEP_1) | instskip(NEXT) | instid1(VALU_DEP_1)
	v_lshl_or_b32 v2, v2, 3, v27
                                        ; implicit-def: $vgpr27
	v_and_or_b32 v26, v16, 7, v2
; %bb.4568:                             ;   in Loop: Header=BB4_4181 Depth=3
	s_and_not1_saveexec_b32 s13, s13
; %bb.4569:                             ;   in Loop: Header=BB4_4181 Depth=3
	v_mov_b32_e32 v26, v27
; %bb.4570:                             ;   in Loop: Header=BB4_4181 Depth=3
	s_or_b32 exec_lo, exec_lo, s13
.LBB4_4571:                             ;   in Loop: Header=BB4_4181 Depth=3
	s_delay_alu instid0(SALU_CYCLE_1)
	s_or_b32 exec_lo, exec_lo, s75
                                        ; implicit-def: $vgpr27
.LBB4_4572:                             ;   in Loop: Header=BB4_4181 Depth=3
	s_and_not1_saveexec_b32 s13, s74
; %bb.4573:                             ;   in Loop: Header=BB4_4181 Depth=3
	v_or_b32_e32 v26, 0x7e, v27
; %bb.4574:                             ;   in Loop: Header=BB4_4181 Depth=3
	s_or_b32 exec_lo, exec_lo, s13
                                        ; implicit-def: $vgpr17
.LBB4_4575:                             ;   in Loop: Header=BB4_4181 Depth=3
	s_and_not1_saveexec_b32 s13, s45
; %bb.4576:                             ;   in Loop: Header=BB4_4181 Depth=3
	v_or_b32_e32 v26, 0x7f, v17
; %bb.4577:                             ;   in Loop: Header=BB4_4181 Depth=3
	s_or_b32 exec_lo, exec_lo, s13
	v_and_b32_e32 v2, 0xff, v104
	v_dual_mov_b32 v18, 0 :: v_dual_mov_b32 v19, 0
	s_mov_b32 s13, exec_lo
	s_delay_alu instid0(VALU_DEP_2)
	v_cmpx_ne_u16_e32 0, v2
	s_cbranch_execz .LBB4_4585
; %bb.4578:                             ;   in Loop: Header=BB4_4181 Depth=3
	v_bfrev_b32_e32 v19, 1
	s_mov_b32 s45, exec_lo
	v_cmpx_ne_u16_e32 0x80, v2
	s_cbranch_execz .LBB4_4584
; %bb.4579:                             ;   in Loop: Header=BB4_4181 Depth=3
	v_and_b32_e32 v16, 0x7f, v104
	v_mov_b32_e32 v19, 0x7f800001
	s_mov_b32 s74, exec_lo
	s_delay_alu instid0(VALU_DEP_2)
	v_cmpx_ne_u32_e32 0x7f, v16
	s_cbranch_execz .LBB4_4583
; %bb.4580:                             ;   in Loop: Header=BB4_4181 Depth=3
	v_dual_lshrrev_b32 v19, 3, v16 :: v_dual_bitop2_b32 v2, 7, v2 bitop3:0x40
	v_cmp_gt_u32_e32 vcc_lo, 8, v16
	s_delay_alu instid0(VALU_DEP_2)
	v_mov_b64_e32 v[16:17], v[2:3]
	s_and_saveexec_b32 s75, vcc_lo
; %bb.4581:                             ;   in Loop: Header=BB4_4181 Depth=3
	v_clz_i32_u32_e32 v16, v2
	s_delay_alu instid0(VALU_DEP_1) | instskip(NEXT) | instid1(VALU_DEP_1)
	v_min_u32_e32 v19, 32, v16
	v_subrev_nc_u32_e32 v16, 28, v19
	s_delay_alu instid0(VALU_DEP_1) | instskip(NEXT) | instid1(VALU_DEP_1)
	v_lshlrev_b64_e32 v[16:17], v16, v[2:3]
	v_dual_sub_nc_u32 v19, 29, v19 :: v_dual_bitop2_b32 v16, 7, v16 bitop3:0x40
; %bb.4582:                             ;   in Loop: Header=BB4_4181 Depth=3
	s_or_b32 exec_lo, exec_lo, s75
	v_lshlrev_b32_e32 v2, 24, v104
	s_delay_alu instid0(VALU_DEP_2) | instskip(NEXT) | instid1(VALU_DEP_3)
	v_lshlrev_b32_e32 v16, 20, v16
	v_lshl_add_u32 v17, v19, 23, 0x3c000000
	s_delay_alu instid0(VALU_DEP_3) | instskip(NEXT) | instid1(VALU_DEP_1)
	v_and_b32_e32 v2, 0x80000000, v2
	v_or3_b32 v19, v16, v2, v17
.LBB4_4583:                             ;   in Loop: Header=BB4_4181 Depth=3
	s_or_b32 exec_lo, exec_lo, s74
.LBB4_4584:                             ;   in Loop: Header=BB4_4181 Depth=3
	s_delay_alu instid0(SALU_CYCLE_1)
	s_or_b32 exec_lo, exec_lo, s45
.LBB4_4585:                             ;   in Loop: Header=BB4_4181 Depth=3
	s_delay_alu instid0(SALU_CYCLE_1) | instskip(SKIP_3) | instid1(VALU_DEP_1)
	s_or_b32 exec_lo, exec_lo, s13
	s_wait_loadcnt_dscnt 0x404
	v_and_b32_e32 v2, 0xff, v79
	s_mov_b32 s13, exec_lo
	v_cmpx_ne_u16_e32 0, v2
	s_cbranch_execz .LBB4_4593
; %bb.4586:                             ;   in Loop: Header=BB4_4181 Depth=3
	v_bfrev_b32_e32 v18, 1
	s_mov_b32 s45, exec_lo
	v_cmpx_ne_u16_e32 0x80, v2
	s_cbranch_execz .LBB4_4592
; %bb.4587:                             ;   in Loop: Header=BB4_4181 Depth=3
	v_and_b32_e32 v16, 0x7f, v79
	v_mov_b32_e32 v18, 0x7f800001
	s_mov_b32 s74, exec_lo
	s_delay_alu instid0(VALU_DEP_2)
	v_cmpx_ne_u32_e32 0x7f, v16
	s_cbranch_execz .LBB4_4591
; %bb.4588:                             ;   in Loop: Header=BB4_4181 Depth=3
	v_dual_lshrrev_b32 v18, 3, v16 :: v_dual_bitop2_b32 v2, 7, v2 bitop3:0x40
	v_cmp_gt_u32_e32 vcc_lo, 8, v16
	s_delay_alu instid0(VALU_DEP_2)
	v_mov_b64_e32 v[16:17], v[2:3]
	s_and_saveexec_b32 s75, vcc_lo
; %bb.4589:                             ;   in Loop: Header=BB4_4181 Depth=3
	v_clz_i32_u32_e32 v16, v2
	s_delay_alu instid0(VALU_DEP_1) | instskip(NEXT) | instid1(VALU_DEP_1)
	v_min_u32_e32 v18, 32, v16
	v_subrev_nc_u32_e32 v16, 28, v18
	s_delay_alu instid0(VALU_DEP_1) | instskip(NEXT) | instid1(VALU_DEP_1)
	v_lshlrev_b64_e32 v[16:17], v16, v[2:3]
	v_dual_sub_nc_u32 v18, 29, v18 :: v_dual_bitop2_b32 v16, 7, v16 bitop3:0x40
; %bb.4590:                             ;   in Loop: Header=BB4_4181 Depth=3
	s_or_b32 exec_lo, exec_lo, s75
	s_delay_alu instid0(VALU_DEP_1) | instskip(NEXT) | instid1(VALU_DEP_2)
	v_dual_lshlrev_b32 v2, 24, v79 :: v_dual_lshlrev_b32 v16, 20, v16
	v_lshl_add_u32 v17, v18, 23, 0x3c000000
	s_delay_alu instid0(VALU_DEP_2) | instskip(NEXT) | instid1(VALU_DEP_1)
	v_and_b32_e32 v2, 0x80000000, v2
	v_or3_b32 v18, v16, v2, v17
.LBB4_4591:                             ;   in Loop: Header=BB4_4181 Depth=3
	s_or_b32 exec_lo, exec_lo, s74
.LBB4_4592:                             ;   in Loop: Header=BB4_4181 Depth=3
	s_delay_alu instid0(SALU_CYCLE_1)
	s_or_b32 exec_lo, exec_lo, s45
.LBB4_4593:                             ;   in Loop: Header=BB4_4181 Depth=3
	s_delay_alu instid0(SALU_CYCLE_1) | instskip(NEXT) | instid1(VALU_DEP_1)
	s_or_b32 exec_lo, exec_lo, s13
	v_add_f32_e32 v16, v19, v18
                                        ; implicit-def: $vgpr27
	s_mov_b32 s13, exec_lo
	s_delay_alu instid0(VALU_DEP_1) | instskip(SKIP_1) | instid1(VALU_DEP_2)
	v_and_b32_e32 v2, 0x7f800000, v16
	v_lshrrev_b32_e32 v17, 24, v16
	v_cmpx_ne_u64_e32 0x7f800000, v[2:3]
	s_xor_b32 s45, exec_lo, s13
	s_cbranch_execz .LBB4_4611
; %bb.4594:                             ;   in Loop: Header=BB4_4181 Depth=3
	v_and_b32_e32 v2, 0x7fffffff, v16
	v_and_b32_e32 v28, 0x80, v17
                                        ; implicit-def: $vgpr27
	s_mov_b32 s13, exec_lo
	s_delay_alu instid0(VALU_DEP_2)
	v_cmpx_gt_u64_e32 0x43e00001, v[2:3]
	s_xor_b32 s74, exec_lo, s13
	s_cbranch_execz .LBB4_4608
; %bb.4595:                             ;   in Loop: Header=BB4_4181 Depth=3
	v_mov_b32_e32 v27, 0
	s_mov_b32 s75, exec_lo
	v_cmpx_ne_u32_e32 0, v16
	s_cbranch_execz .LBB4_4607
; %bb.4596:                             ;   in Loop: Header=BB4_4181 Depth=3
	v_bfe_u32 v24, v16, 23, 8
	s_delay_alu instid0(VALU_DEP_1) | instskip(SKIP_1) | instid1(VALU_DEP_2)
	v_sub_nc_u32_e32 v2, 0x79, v24
	v_cmp_gt_u32_e32 vcc_lo, 0x7a, v24
	v_cndmask_b32_e32 v2, 0, v2, vcc_lo
	v_cmp_eq_u32_e32 vcc_lo, 0, v24
	s_delay_alu instid0(VALU_DEP_2) | instskip(SKIP_1) | instid1(VALU_DEP_2)
	v_cndmask_b32_e64 v25, v2, 0x78, vcc_lo
	v_and_b32_e32 v2, 0x7fffff, v16
	v_add_nc_u32_e32 v16, 20, v25
	s_delay_alu instid0(VALU_DEP_2) | instskip(SKIP_1) | instid1(VALU_DEP_3)
	v_or_b32_e32 v18, 0x800000, v2
	v_add_nc_u32_e32 v19, 19, v25
	v_lshlrev_b64_e64 v[16:17], v16, -1
	s_delay_alu instid0(VALU_DEP_3) | instskip(NEXT) | instid1(VALU_DEP_3)
	v_cndmask_b32_e32 v2, v18, v2, vcc_lo
	v_lshlrev_b64_e64 v[18:19], v19, 1
	s_delay_alu instid0(VALU_DEP_3) | instskip(NEXT) | instid1(VALU_DEP_3)
	v_bfi_b32 v69, v17, 0, 0
	v_bfi_b32 v68, v16, 0, v2
	v_lshrrev_b64 v[16:17], v25, v[2:3]
	s_delay_alu instid0(VALU_DEP_2) | instskip(NEXT) | instid1(VALU_DEP_2)
	v_cmp_eq_u64_e64 s13, v[68:69], v[18:19]
	v_mov_b64_e32 v[18:19], v[16:17]
	s_and_saveexec_b32 s76, s13
; %bb.4597:                             ;   in Loop: Header=BB4_4181 Depth=3
	v_bfe_u32 v2, v16, 20, 1
	s_delay_alu instid0(VALU_DEP_1) | instskip(NEXT) | instid1(VALU_DEP_1)
	v_add_nc_u64_e32 v[18:19], v[16:17], v[2:3]
	v_add_nc_u64_e32 v[18:19], -1, v[18:19]
; %bb.4598:                             ;   in Loop: Header=BB4_4181 Depth=3
	s_or_b32 exec_lo, exec_lo, s76
	v_add_nc_u32_e32 v2, 0xffffff81, v24
	v_lshrrev_b32_e32 v17, 23, v16
	s_mov_b32 s13, exec_lo
	s_delay_alu instid0(VALU_DEP_2) | instskip(NEXT) | instid1(VALU_DEP_1)
	v_cndmask_b32_e64 v2, v2, 0xffffff82, vcc_lo
	v_add3_u32 v19, v25, v2, v17
	v_and_b32_e32 v2, 0xfffff, v18
                                        ; implicit-def: $vgpr18
	s_delay_alu instid0(VALU_DEP_1) | instskip(NEXT) | instid1(VALU_DEP_1)
	v_dual_add_nc_u32 v24, 6, v19 :: v_dual_add_nc_u32 v2, v2, v16
                                        ; implicit-def: $vgpr16_vgpr17
	v_cmpx_ne_u32_e32 0, v24
	s_xor_b32 s13, exec_lo, s13
; %bb.4599:                             ;   in Loop: Header=BB4_4181 Depth=3
	s_delay_alu instid0(VALU_DEP_2) | instskip(SKIP_1) | instid1(VALU_DEP_1)
	v_cmp_lt_u64_e32 vcc_lo, 0xffffff, v[2:3]
	v_add_nc_u32_e32 v16, 7, v19
	v_cndmask_b32_e32 v18, v24, v16, vcc_lo
	v_cndmask_b32_e64 v16, 0, 1, vcc_lo
	s_delay_alu instid0(VALU_DEP_1)
	v_lshrrev_b64 v[16:17], v16, v[2:3]
; %bb.4600:                             ;   in Loop: Header=BB4_4181 Depth=3
	s_and_not1_saveexec_b32 s13, s13
; %bb.4601:                             ;   in Loop: Header=BB4_4181 Depth=3
	v_mov_b64_e32 v[16:17], v[2:3]
	v_bfe_u32 v18, v2, 23, 1
; %bb.4602:                             ;   in Loop: Header=BB4_4181 Depth=3
	s_or_b32 exec_lo, exec_lo, s13
	s_delay_alu instid0(VALU_DEP_2) | instskip(NEXT) | instid1(VALU_DEP_2)
	v_lshrrev_b64 v[16:17], 20, v[16:17]
	v_cmp_gt_i32_e32 vcc_lo, 16, v18
	v_cmp_ne_u32_e64 s13, 0, v18
                                        ; implicit-def: $vgpr27
	s_delay_alu instid0(VALU_DEP_3) | instskip(NEXT) | instid1(VALU_DEP_1)
	v_dual_cndmask_b32 v17, 0, v17 :: v_dual_cndmask_b32 v16, 7, v16
	v_cmp_ne_u64_e32 vcc_lo, 0, v[16:17]
	s_or_b32 s13, s13, vcc_lo
	s_delay_alu instid0(SALU_CYCLE_1) | instskip(NEXT) | instid1(SALU_CYCLE_1)
	s_and_saveexec_b32 s76, s13
	s_xor_b32 s13, exec_lo, s76
; %bb.4603:                             ;   in Loop: Header=BB4_4181 Depth=3
	v_min_i32_e32 v2, 15, v18
	s_delay_alu instid0(VALU_DEP_1) | instskip(NEXT) | instid1(VALU_DEP_1)
	v_lshl_or_b32 v2, v2, 3, v28
                                        ; implicit-def: $vgpr28
	v_and_or_b32 v27, v16, 7, v2
; %bb.4604:                             ;   in Loop: Header=BB4_4181 Depth=3
	s_and_not1_saveexec_b32 s13, s13
; %bb.4605:                             ;   in Loop: Header=BB4_4181 Depth=3
	v_mov_b32_e32 v27, v28
; %bb.4606:                             ;   in Loop: Header=BB4_4181 Depth=3
	s_or_b32 exec_lo, exec_lo, s13
.LBB4_4607:                             ;   in Loop: Header=BB4_4181 Depth=3
	s_delay_alu instid0(SALU_CYCLE_1)
	s_or_b32 exec_lo, exec_lo, s75
                                        ; implicit-def: $vgpr28
.LBB4_4608:                             ;   in Loop: Header=BB4_4181 Depth=3
	s_and_not1_saveexec_b32 s13, s74
; %bb.4609:                             ;   in Loop: Header=BB4_4181 Depth=3
	v_or_b32_e32 v27, 0x7e, v28
; %bb.4610:                             ;   in Loop: Header=BB4_4181 Depth=3
	s_or_b32 exec_lo, exec_lo, s13
                                        ; implicit-def: $vgpr17
.LBB4_4611:                             ;   in Loop: Header=BB4_4181 Depth=3
	s_and_not1_saveexec_b32 s13, s45
; %bb.4612:                             ;   in Loop: Header=BB4_4181 Depth=3
	v_or_b32_e32 v27, 0x7f, v17
; %bb.4613:                             ;   in Loop: Header=BB4_4181 Depth=3
	s_or_b32 exec_lo, exec_lo, s13
	v_and_b32_e32 v2, 0xff, v77
	v_dual_mov_b32 v18, 0 :: v_dual_mov_b32 v19, 0
	s_mov_b32 s13, exec_lo
	s_delay_alu instid0(VALU_DEP_2)
	v_cmpx_ne_u16_e32 0, v2
	s_cbranch_execz .LBB4_4621
; %bb.4614:                             ;   in Loop: Header=BB4_4181 Depth=3
	v_bfrev_b32_e32 v19, 1
	s_mov_b32 s45, exec_lo
	v_cmpx_ne_u16_e32 0x80, v2
	s_cbranch_execz .LBB4_4620
; %bb.4615:                             ;   in Loop: Header=BB4_4181 Depth=3
	v_and_b32_e32 v16, 0x7f, v77
	v_mov_b32_e32 v19, 0x7f800001
	s_mov_b32 s74, exec_lo
	s_delay_alu instid0(VALU_DEP_2)
	v_cmpx_ne_u32_e32 0x7f, v16
	s_cbranch_execz .LBB4_4619
; %bb.4616:                             ;   in Loop: Header=BB4_4181 Depth=3
	v_dual_lshrrev_b32 v19, 3, v16 :: v_dual_bitop2_b32 v2, 7, v2 bitop3:0x40
	v_cmp_gt_u32_e32 vcc_lo, 8, v16
	s_delay_alu instid0(VALU_DEP_2)
	v_mov_b64_e32 v[16:17], v[2:3]
	s_and_saveexec_b32 s75, vcc_lo
; %bb.4617:                             ;   in Loop: Header=BB4_4181 Depth=3
	v_clz_i32_u32_e32 v16, v2
	s_delay_alu instid0(VALU_DEP_1) | instskip(NEXT) | instid1(VALU_DEP_1)
	v_min_u32_e32 v19, 32, v16
	v_subrev_nc_u32_e32 v16, 28, v19
	s_delay_alu instid0(VALU_DEP_1) | instskip(NEXT) | instid1(VALU_DEP_1)
	v_lshlrev_b64_e32 v[16:17], v16, v[2:3]
	v_dual_sub_nc_u32 v19, 29, v19 :: v_dual_bitop2_b32 v16, 7, v16 bitop3:0x40
; %bb.4618:                             ;   in Loop: Header=BB4_4181 Depth=3
	s_or_b32 exec_lo, exec_lo, s75
	s_delay_alu instid0(VALU_DEP_1) | instskip(NEXT) | instid1(VALU_DEP_2)
	v_dual_lshlrev_b32 v2, 24, v77 :: v_dual_lshlrev_b32 v16, 20, v16
	v_lshl_add_u32 v17, v19, 23, 0x3c000000
	s_delay_alu instid0(VALU_DEP_2) | instskip(NEXT) | instid1(VALU_DEP_1)
	v_and_b32_e32 v2, 0x80000000, v2
	v_or3_b32 v19, v16, v2, v17
.LBB4_4619:                             ;   in Loop: Header=BB4_4181 Depth=3
	s_or_b32 exec_lo, exec_lo, s74
.LBB4_4620:                             ;   in Loop: Header=BB4_4181 Depth=3
	s_delay_alu instid0(SALU_CYCLE_1)
	s_or_b32 exec_lo, exec_lo, s45
.LBB4_4621:                             ;   in Loop: Header=BB4_4181 Depth=3
	s_delay_alu instid0(SALU_CYCLE_1) | instskip(SKIP_3) | instid1(VALU_DEP_1)
	s_or_b32 exec_lo, exec_lo, s13
	s_wait_loadcnt_dscnt 0x303
	v_and_b32_e32 v2, 0xff, v76
	s_mov_b32 s13, exec_lo
	v_cmpx_ne_u16_e32 0, v2
	s_cbranch_execz .LBB4_4629
; %bb.4622:                             ;   in Loop: Header=BB4_4181 Depth=3
	v_bfrev_b32_e32 v18, 1
	s_mov_b32 s45, exec_lo
	v_cmpx_ne_u16_e32 0x80, v2
	s_cbranch_execz .LBB4_4628
; %bb.4623:                             ;   in Loop: Header=BB4_4181 Depth=3
	v_and_b32_e32 v16, 0x7f, v76
	v_mov_b32_e32 v18, 0x7f800001
	s_mov_b32 s74, exec_lo
	s_delay_alu instid0(VALU_DEP_2)
	v_cmpx_ne_u32_e32 0x7f, v16
	s_cbranch_execz .LBB4_4627
; %bb.4624:                             ;   in Loop: Header=BB4_4181 Depth=3
	v_dual_lshrrev_b32 v18, 3, v16 :: v_dual_bitop2_b32 v2, 7, v2 bitop3:0x40
	v_cmp_gt_u32_e32 vcc_lo, 8, v16
	s_delay_alu instid0(VALU_DEP_2)
	v_mov_b64_e32 v[16:17], v[2:3]
	s_and_saveexec_b32 s75, vcc_lo
; %bb.4625:                             ;   in Loop: Header=BB4_4181 Depth=3
	v_clz_i32_u32_e32 v16, v2
	s_delay_alu instid0(VALU_DEP_1) | instskip(NEXT) | instid1(VALU_DEP_1)
	v_min_u32_e32 v18, 32, v16
	v_subrev_nc_u32_e32 v16, 28, v18
	s_delay_alu instid0(VALU_DEP_1) | instskip(NEXT) | instid1(VALU_DEP_1)
	v_lshlrev_b64_e32 v[16:17], v16, v[2:3]
	v_dual_sub_nc_u32 v18, 29, v18 :: v_dual_bitop2_b32 v16, 7, v16 bitop3:0x40
; %bb.4626:                             ;   in Loop: Header=BB4_4181 Depth=3
	s_or_b32 exec_lo, exec_lo, s75
	v_lshlrev_b32_e32 v2, 24, v76
	s_delay_alu instid0(VALU_DEP_2) | instskip(NEXT) | instid1(VALU_DEP_3)
	v_lshlrev_b32_e32 v16, 20, v16
	v_lshl_add_u32 v17, v18, 23, 0x3c000000
	s_delay_alu instid0(VALU_DEP_3) | instskip(NEXT) | instid1(VALU_DEP_1)
	v_and_b32_e32 v2, 0x80000000, v2
	v_or3_b32 v18, v16, v2, v17
.LBB4_4627:                             ;   in Loop: Header=BB4_4181 Depth=3
	s_or_b32 exec_lo, exec_lo, s74
.LBB4_4628:                             ;   in Loop: Header=BB4_4181 Depth=3
	s_delay_alu instid0(SALU_CYCLE_1)
	s_or_b32 exec_lo, exec_lo, s45
.LBB4_4629:                             ;   in Loop: Header=BB4_4181 Depth=3
	s_delay_alu instid0(SALU_CYCLE_1) | instskip(NEXT) | instid1(VALU_DEP_1)
	s_or_b32 exec_lo, exec_lo, s13
	v_add_f32_e32 v16, v19, v18
                                        ; implicit-def: $vgpr76
	s_mov_b32 s13, exec_lo
	s_delay_alu instid0(VALU_DEP_1) | instskip(SKIP_1) | instid1(VALU_DEP_2)
	v_and_b32_e32 v2, 0x7f800000, v16
	v_lshrrev_b32_e32 v17, 24, v16
	v_cmpx_ne_u64_e32 0x7f800000, v[2:3]
	s_xor_b32 s45, exec_lo, s13
	s_cbranch_execz .LBB4_4647
; %bb.4630:                             ;   in Loop: Header=BB4_4181 Depth=3
	v_and_b32_e32 v2, 0x7fffffff, v16
	v_and_b32_e32 v28, 0x80, v17
                                        ; implicit-def: $vgpr76
	s_mov_b32 s13, exec_lo
	s_delay_alu instid0(VALU_DEP_2)
	v_cmpx_gt_u64_e32 0x43e00001, v[2:3]
	s_xor_b32 s74, exec_lo, s13
	s_cbranch_execz .LBB4_4644
; %bb.4631:                             ;   in Loop: Header=BB4_4181 Depth=3
	v_mov_b32_e32 v76, 0
	s_mov_b32 s75, exec_lo
	v_cmpx_ne_u32_e32 0, v16
	s_cbranch_execz .LBB4_4643
; %bb.4632:                             ;   in Loop: Header=BB4_4181 Depth=3
	v_bfe_u32 v24, v16, 23, 8
	s_delay_alu instid0(VALU_DEP_1) | instskip(SKIP_1) | instid1(VALU_DEP_2)
	v_sub_nc_u32_e32 v2, 0x79, v24
	v_cmp_gt_u32_e32 vcc_lo, 0x7a, v24
	v_cndmask_b32_e32 v2, 0, v2, vcc_lo
	v_cmp_eq_u32_e32 vcc_lo, 0, v24
	s_delay_alu instid0(VALU_DEP_2) | instskip(SKIP_1) | instid1(VALU_DEP_2)
	v_cndmask_b32_e64 v25, v2, 0x78, vcc_lo
	v_and_b32_e32 v2, 0x7fffff, v16
	v_add_nc_u32_e32 v16, 20, v25
	s_delay_alu instid0(VALU_DEP_2) | instskip(SKIP_1) | instid1(VALU_DEP_3)
	v_or_b32_e32 v18, 0x800000, v2
	v_add_nc_u32_e32 v19, 19, v25
	v_lshlrev_b64_e64 v[16:17], v16, -1
	s_delay_alu instid0(VALU_DEP_3) | instskip(NEXT) | instid1(VALU_DEP_3)
	v_cndmask_b32_e32 v2, v18, v2, vcc_lo
	v_lshlrev_b64_e64 v[18:19], v19, 1
	s_delay_alu instid0(VALU_DEP_3) | instskip(NEXT) | instid1(VALU_DEP_3)
	v_bfi_b32 v69, v17, 0, 0
	v_bfi_b32 v68, v16, 0, v2
	v_lshrrev_b64 v[16:17], v25, v[2:3]
	s_delay_alu instid0(VALU_DEP_2) | instskip(NEXT) | instid1(VALU_DEP_2)
	v_cmp_eq_u64_e64 s13, v[68:69], v[18:19]
	v_mov_b64_e32 v[18:19], v[16:17]
	s_and_saveexec_b32 s76, s13
; %bb.4633:                             ;   in Loop: Header=BB4_4181 Depth=3
	v_bfe_u32 v2, v16, 20, 1
	s_delay_alu instid0(VALU_DEP_1) | instskip(NEXT) | instid1(VALU_DEP_1)
	v_add_nc_u64_e32 v[18:19], v[16:17], v[2:3]
	v_add_nc_u64_e32 v[18:19], -1, v[18:19]
; %bb.4634:                             ;   in Loop: Header=BB4_4181 Depth=3
	s_or_b32 exec_lo, exec_lo, s76
	v_add_nc_u32_e32 v2, 0xffffff81, v24
	v_lshrrev_b32_e32 v17, 23, v16
	s_mov_b32 s13, exec_lo
	s_delay_alu instid0(VALU_DEP_2) | instskip(NEXT) | instid1(VALU_DEP_1)
	v_cndmask_b32_e64 v2, v2, 0xffffff82, vcc_lo
	v_add3_u32 v19, v25, v2, v17
	v_and_b32_e32 v2, 0xfffff, v18
                                        ; implicit-def: $vgpr18
	s_delay_alu instid0(VALU_DEP_1) | instskip(NEXT) | instid1(VALU_DEP_1)
	v_dual_add_nc_u32 v24, 6, v19 :: v_dual_add_nc_u32 v2, v2, v16
                                        ; implicit-def: $vgpr16_vgpr17
	v_cmpx_ne_u32_e32 0, v24
	s_xor_b32 s13, exec_lo, s13
; %bb.4635:                             ;   in Loop: Header=BB4_4181 Depth=3
	s_delay_alu instid0(VALU_DEP_2) | instskip(SKIP_1) | instid1(VALU_DEP_1)
	v_cmp_lt_u64_e32 vcc_lo, 0xffffff, v[2:3]
	v_add_nc_u32_e32 v16, 7, v19
	v_cndmask_b32_e32 v18, v24, v16, vcc_lo
	v_cndmask_b32_e64 v16, 0, 1, vcc_lo
	s_delay_alu instid0(VALU_DEP_1)
	v_lshrrev_b64 v[16:17], v16, v[2:3]
; %bb.4636:                             ;   in Loop: Header=BB4_4181 Depth=3
	s_and_not1_saveexec_b32 s13, s13
; %bb.4637:                             ;   in Loop: Header=BB4_4181 Depth=3
	v_mov_b64_e32 v[16:17], v[2:3]
	v_bfe_u32 v18, v2, 23, 1
; %bb.4638:                             ;   in Loop: Header=BB4_4181 Depth=3
	s_or_b32 exec_lo, exec_lo, s13
	s_delay_alu instid0(VALU_DEP_2) | instskip(NEXT) | instid1(VALU_DEP_2)
	v_lshrrev_b64 v[16:17], 20, v[16:17]
	v_cmp_gt_i32_e32 vcc_lo, 16, v18
	v_cmp_ne_u32_e64 s13, 0, v18
                                        ; implicit-def: $vgpr76
	s_delay_alu instid0(VALU_DEP_3) | instskip(NEXT) | instid1(VALU_DEP_1)
	v_dual_cndmask_b32 v17, 0, v17 :: v_dual_cndmask_b32 v16, 7, v16
	v_cmp_ne_u64_e32 vcc_lo, 0, v[16:17]
	s_or_b32 s13, s13, vcc_lo
	s_delay_alu instid0(SALU_CYCLE_1) | instskip(NEXT) | instid1(SALU_CYCLE_1)
	s_and_saveexec_b32 s76, s13
	s_xor_b32 s13, exec_lo, s76
; %bb.4639:                             ;   in Loop: Header=BB4_4181 Depth=3
	v_min_i32_e32 v2, 15, v18
	s_delay_alu instid0(VALU_DEP_1) | instskip(NEXT) | instid1(VALU_DEP_1)
	v_lshl_or_b32 v2, v2, 3, v28
                                        ; implicit-def: $vgpr28
	v_and_or_b32 v76, v16, 7, v2
; %bb.4640:                             ;   in Loop: Header=BB4_4181 Depth=3
	s_and_not1_saveexec_b32 s13, s13
; %bb.4641:                             ;   in Loop: Header=BB4_4181 Depth=3
	v_mov_b32_e32 v76, v28
; %bb.4642:                             ;   in Loop: Header=BB4_4181 Depth=3
	s_or_b32 exec_lo, exec_lo, s13
.LBB4_4643:                             ;   in Loop: Header=BB4_4181 Depth=3
	s_delay_alu instid0(SALU_CYCLE_1)
	s_or_b32 exec_lo, exec_lo, s75
                                        ; implicit-def: $vgpr28
.LBB4_4644:                             ;   in Loop: Header=BB4_4181 Depth=3
	s_and_not1_saveexec_b32 s13, s74
; %bb.4645:                             ;   in Loop: Header=BB4_4181 Depth=3
	v_or_b32_e32 v76, 0x7e, v28
; %bb.4646:                             ;   in Loop: Header=BB4_4181 Depth=3
	s_or_b32 exec_lo, exec_lo, s13
                                        ; implicit-def: $vgpr17
.LBB4_4647:                             ;   in Loop: Header=BB4_4181 Depth=3
	s_and_not1_saveexec_b32 s13, s45
; %bb.4648:                             ;   in Loop: Header=BB4_4181 Depth=3
	v_or_b32_e32 v76, 0x7f, v17
; %bb.4649:                             ;   in Loop: Header=BB4_4181 Depth=3
	s_or_b32 exec_lo, exec_lo, s13
	v_and_b32_e32 v2, 0xff, v74
	v_dual_mov_b32 v18, 0 :: v_dual_mov_b32 v19, 0
	s_mov_b32 s13, exec_lo
	s_delay_alu instid0(VALU_DEP_2)
	v_cmpx_ne_u16_e32 0, v2
	s_cbranch_execz .LBB4_4657
; %bb.4650:                             ;   in Loop: Header=BB4_4181 Depth=3
	v_bfrev_b32_e32 v19, 1
	s_mov_b32 s45, exec_lo
	v_cmpx_ne_u16_e32 0x80, v2
	s_cbranch_execz .LBB4_4656
; %bb.4651:                             ;   in Loop: Header=BB4_4181 Depth=3
	v_and_b32_e32 v16, 0x7f, v74
	v_mov_b32_e32 v19, 0x7f800001
	s_mov_b32 s74, exec_lo
	s_delay_alu instid0(VALU_DEP_2)
	v_cmpx_ne_u32_e32 0x7f, v16
	s_cbranch_execz .LBB4_4655
; %bb.4652:                             ;   in Loop: Header=BB4_4181 Depth=3
	v_dual_lshrrev_b32 v19, 3, v16 :: v_dual_bitop2_b32 v2, 7, v2 bitop3:0x40
	v_cmp_gt_u32_e32 vcc_lo, 8, v16
	s_delay_alu instid0(VALU_DEP_2)
	v_mov_b64_e32 v[16:17], v[2:3]
	s_and_saveexec_b32 s75, vcc_lo
; %bb.4653:                             ;   in Loop: Header=BB4_4181 Depth=3
	v_clz_i32_u32_e32 v16, v2
	s_delay_alu instid0(VALU_DEP_1) | instskip(NEXT) | instid1(VALU_DEP_1)
	v_min_u32_e32 v19, 32, v16
	v_subrev_nc_u32_e32 v16, 28, v19
	s_delay_alu instid0(VALU_DEP_1) | instskip(NEXT) | instid1(VALU_DEP_1)
	v_lshlrev_b64_e32 v[16:17], v16, v[2:3]
	v_dual_sub_nc_u32 v19, 29, v19 :: v_dual_bitop2_b32 v16, 7, v16 bitop3:0x40
; %bb.4654:                             ;   in Loop: Header=BB4_4181 Depth=3
	s_or_b32 exec_lo, exec_lo, s75
	s_delay_alu instid0(VALU_DEP_1) | instskip(NEXT) | instid1(VALU_DEP_2)
	v_dual_lshlrev_b32 v2, 24, v74 :: v_dual_lshlrev_b32 v16, 20, v16
	v_lshl_add_u32 v17, v19, 23, 0x3c000000
	s_delay_alu instid0(VALU_DEP_2) | instskip(NEXT) | instid1(VALU_DEP_1)
	v_and_b32_e32 v2, 0x80000000, v2
	v_or3_b32 v19, v16, v2, v17
.LBB4_4655:                             ;   in Loop: Header=BB4_4181 Depth=3
	s_or_b32 exec_lo, exec_lo, s74
.LBB4_4656:                             ;   in Loop: Header=BB4_4181 Depth=3
	s_delay_alu instid0(SALU_CYCLE_1)
	s_or_b32 exec_lo, exec_lo, s45
.LBB4_4657:                             ;   in Loop: Header=BB4_4181 Depth=3
	s_delay_alu instid0(SALU_CYCLE_1) | instskip(SKIP_3) | instid1(VALU_DEP_1)
	s_or_b32 exec_lo, exec_lo, s13
	s_wait_loadcnt_dscnt 0x202
	v_and_b32_e32 v2, 0xff, v73
	s_mov_b32 s13, exec_lo
	v_cmpx_ne_u16_e32 0, v2
	s_cbranch_execz .LBB4_4665
; %bb.4658:                             ;   in Loop: Header=BB4_4181 Depth=3
	v_bfrev_b32_e32 v18, 1
	s_mov_b32 s45, exec_lo
	v_cmpx_ne_u16_e32 0x80, v2
	s_cbranch_execz .LBB4_4664
; %bb.4659:                             ;   in Loop: Header=BB4_4181 Depth=3
	v_and_b32_e32 v16, 0x7f, v73
	v_mov_b32_e32 v18, 0x7f800001
	s_mov_b32 s74, exec_lo
	s_delay_alu instid0(VALU_DEP_2)
	v_cmpx_ne_u32_e32 0x7f, v16
	s_cbranch_execz .LBB4_4663
; %bb.4660:                             ;   in Loop: Header=BB4_4181 Depth=3
	v_dual_lshrrev_b32 v18, 3, v16 :: v_dual_bitop2_b32 v2, 7, v2 bitop3:0x40
	v_cmp_gt_u32_e32 vcc_lo, 8, v16
	s_delay_alu instid0(VALU_DEP_2)
	v_mov_b64_e32 v[16:17], v[2:3]
	s_and_saveexec_b32 s75, vcc_lo
; %bb.4661:                             ;   in Loop: Header=BB4_4181 Depth=3
	v_clz_i32_u32_e32 v16, v2
	s_delay_alu instid0(VALU_DEP_1) | instskip(NEXT) | instid1(VALU_DEP_1)
	v_min_u32_e32 v18, 32, v16
	v_subrev_nc_u32_e32 v16, 28, v18
	s_delay_alu instid0(VALU_DEP_1) | instskip(NEXT) | instid1(VALU_DEP_1)
	v_lshlrev_b64_e32 v[16:17], v16, v[2:3]
	v_dual_sub_nc_u32 v18, 29, v18 :: v_dual_bitop2_b32 v16, 7, v16 bitop3:0x40
; %bb.4662:                             ;   in Loop: Header=BB4_4181 Depth=3
	s_or_b32 exec_lo, exec_lo, s75
	s_delay_alu instid0(VALU_DEP_1) | instskip(NEXT) | instid1(VALU_DEP_2)
	v_dual_lshlrev_b32 v2, 24, v73 :: v_dual_lshlrev_b32 v16, 20, v16
	v_lshl_add_u32 v17, v18, 23, 0x3c000000
	s_delay_alu instid0(VALU_DEP_2) | instskip(NEXT) | instid1(VALU_DEP_1)
	v_and_b32_e32 v2, 0x80000000, v2
	v_or3_b32 v18, v16, v2, v17
.LBB4_4663:                             ;   in Loop: Header=BB4_4181 Depth=3
	s_or_b32 exec_lo, exec_lo, s74
.LBB4_4664:                             ;   in Loop: Header=BB4_4181 Depth=3
	s_delay_alu instid0(SALU_CYCLE_1)
	s_or_b32 exec_lo, exec_lo, s45
.LBB4_4665:                             ;   in Loop: Header=BB4_4181 Depth=3
	s_delay_alu instid0(SALU_CYCLE_1) | instskip(NEXT) | instid1(VALU_DEP_1)
	s_or_b32 exec_lo, exec_lo, s13
	v_add_f32_e32 v16, v19, v18
                                        ; implicit-def: $vgpr28
	s_mov_b32 s13, exec_lo
	s_delay_alu instid0(VALU_DEP_1) | instskip(SKIP_1) | instid1(VALU_DEP_2)
	v_and_b32_e32 v2, 0x7f800000, v16
	v_lshrrev_b32_e32 v17, 24, v16
	v_cmpx_ne_u64_e32 0x7f800000, v[2:3]
	s_xor_b32 s45, exec_lo, s13
	s_cbranch_execz .LBB4_4683
; %bb.4666:                             ;   in Loop: Header=BB4_4181 Depth=3
	v_and_b32_e32 v2, 0x7fffffff, v16
	v_and_b32_e32 v29, 0x80, v17
                                        ; implicit-def: $vgpr28
	s_mov_b32 s13, exec_lo
	s_delay_alu instid0(VALU_DEP_2)
	v_cmpx_gt_u64_e32 0x43e00001, v[2:3]
	s_xor_b32 s74, exec_lo, s13
	s_cbranch_execz .LBB4_4680
; %bb.4667:                             ;   in Loop: Header=BB4_4181 Depth=3
	v_mov_b32_e32 v28, 0
	s_mov_b32 s75, exec_lo
	v_cmpx_ne_u32_e32 0, v16
	s_cbranch_execz .LBB4_4679
; %bb.4668:                             ;   in Loop: Header=BB4_4181 Depth=3
	v_bfe_u32 v24, v16, 23, 8
	s_delay_alu instid0(VALU_DEP_1) | instskip(SKIP_1) | instid1(VALU_DEP_2)
	v_sub_nc_u32_e32 v2, 0x79, v24
	v_cmp_gt_u32_e32 vcc_lo, 0x7a, v24
	v_cndmask_b32_e32 v2, 0, v2, vcc_lo
	v_cmp_eq_u32_e32 vcc_lo, 0, v24
	s_delay_alu instid0(VALU_DEP_2) | instskip(SKIP_1) | instid1(VALU_DEP_2)
	v_cndmask_b32_e64 v25, v2, 0x78, vcc_lo
	v_and_b32_e32 v2, 0x7fffff, v16
	v_add_nc_u32_e32 v16, 20, v25
	s_delay_alu instid0(VALU_DEP_2) | instskip(SKIP_1) | instid1(VALU_DEP_3)
	v_or_b32_e32 v18, 0x800000, v2
	v_add_nc_u32_e32 v19, 19, v25
	v_lshlrev_b64_e64 v[16:17], v16, -1
	s_delay_alu instid0(VALU_DEP_3) | instskip(NEXT) | instid1(VALU_DEP_3)
	v_cndmask_b32_e32 v2, v18, v2, vcc_lo
	v_lshlrev_b64_e64 v[18:19], v19, 1
	s_delay_alu instid0(VALU_DEP_3) | instskip(NEXT) | instid1(VALU_DEP_3)
	v_bfi_b32 v69, v17, 0, 0
	v_bfi_b32 v68, v16, 0, v2
	v_lshrrev_b64 v[16:17], v25, v[2:3]
	s_delay_alu instid0(VALU_DEP_2) | instskip(NEXT) | instid1(VALU_DEP_2)
	v_cmp_eq_u64_e64 s13, v[68:69], v[18:19]
	v_mov_b64_e32 v[18:19], v[16:17]
	s_and_saveexec_b32 s76, s13
; %bb.4669:                             ;   in Loop: Header=BB4_4181 Depth=3
	v_bfe_u32 v2, v16, 20, 1
	s_delay_alu instid0(VALU_DEP_1) | instskip(NEXT) | instid1(VALU_DEP_1)
	v_add_nc_u64_e32 v[18:19], v[16:17], v[2:3]
	v_add_nc_u64_e32 v[18:19], -1, v[18:19]
; %bb.4670:                             ;   in Loop: Header=BB4_4181 Depth=3
	s_or_b32 exec_lo, exec_lo, s76
	v_add_nc_u32_e32 v2, 0xffffff81, v24
	v_lshrrev_b32_e32 v17, 23, v16
	s_mov_b32 s13, exec_lo
	s_delay_alu instid0(VALU_DEP_2) | instskip(NEXT) | instid1(VALU_DEP_1)
	v_cndmask_b32_e64 v2, v2, 0xffffff82, vcc_lo
	v_add3_u32 v19, v25, v2, v17
	v_and_b32_e32 v2, 0xfffff, v18
                                        ; implicit-def: $vgpr18
	s_delay_alu instid0(VALU_DEP_1) | instskip(NEXT) | instid1(VALU_DEP_1)
	v_dual_add_nc_u32 v24, 6, v19 :: v_dual_add_nc_u32 v2, v2, v16
                                        ; implicit-def: $vgpr16_vgpr17
	v_cmpx_ne_u32_e32 0, v24
	s_xor_b32 s13, exec_lo, s13
; %bb.4671:                             ;   in Loop: Header=BB4_4181 Depth=3
	s_delay_alu instid0(VALU_DEP_2) | instskip(SKIP_1) | instid1(VALU_DEP_1)
	v_cmp_lt_u64_e32 vcc_lo, 0xffffff, v[2:3]
	v_add_nc_u32_e32 v16, 7, v19
	v_cndmask_b32_e32 v18, v24, v16, vcc_lo
	v_cndmask_b32_e64 v16, 0, 1, vcc_lo
	s_delay_alu instid0(VALU_DEP_1)
	v_lshrrev_b64 v[16:17], v16, v[2:3]
; %bb.4672:                             ;   in Loop: Header=BB4_4181 Depth=3
	s_and_not1_saveexec_b32 s13, s13
; %bb.4673:                             ;   in Loop: Header=BB4_4181 Depth=3
	v_mov_b64_e32 v[16:17], v[2:3]
	v_bfe_u32 v18, v2, 23, 1
; %bb.4674:                             ;   in Loop: Header=BB4_4181 Depth=3
	s_or_b32 exec_lo, exec_lo, s13
	s_delay_alu instid0(VALU_DEP_2) | instskip(NEXT) | instid1(VALU_DEP_2)
	v_lshrrev_b64 v[16:17], 20, v[16:17]
	v_cmp_gt_i32_e32 vcc_lo, 16, v18
	v_cmp_ne_u32_e64 s13, 0, v18
                                        ; implicit-def: $vgpr28
	s_delay_alu instid0(VALU_DEP_3) | instskip(NEXT) | instid1(VALU_DEP_1)
	v_dual_cndmask_b32 v17, 0, v17 :: v_dual_cndmask_b32 v16, 7, v16
	v_cmp_ne_u64_e32 vcc_lo, 0, v[16:17]
	s_or_b32 s13, s13, vcc_lo
	s_delay_alu instid0(SALU_CYCLE_1) | instskip(NEXT) | instid1(SALU_CYCLE_1)
	s_and_saveexec_b32 s76, s13
	s_xor_b32 s13, exec_lo, s76
; %bb.4675:                             ;   in Loop: Header=BB4_4181 Depth=3
	v_min_i32_e32 v2, 15, v18
	s_delay_alu instid0(VALU_DEP_1) | instskip(NEXT) | instid1(VALU_DEP_1)
	v_lshl_or_b32 v2, v2, 3, v29
                                        ; implicit-def: $vgpr29
	v_and_or_b32 v28, v16, 7, v2
; %bb.4676:                             ;   in Loop: Header=BB4_4181 Depth=3
	s_and_not1_saveexec_b32 s13, s13
; %bb.4677:                             ;   in Loop: Header=BB4_4181 Depth=3
	v_mov_b32_e32 v28, v29
; %bb.4678:                             ;   in Loop: Header=BB4_4181 Depth=3
	s_or_b32 exec_lo, exec_lo, s13
.LBB4_4679:                             ;   in Loop: Header=BB4_4181 Depth=3
	s_delay_alu instid0(SALU_CYCLE_1)
	s_or_b32 exec_lo, exec_lo, s75
                                        ; implicit-def: $vgpr29
.LBB4_4680:                             ;   in Loop: Header=BB4_4181 Depth=3
	s_and_not1_saveexec_b32 s13, s74
; %bb.4681:                             ;   in Loop: Header=BB4_4181 Depth=3
	v_or_b32_e32 v28, 0x7e, v29
; %bb.4682:                             ;   in Loop: Header=BB4_4181 Depth=3
	s_or_b32 exec_lo, exec_lo, s13
                                        ; implicit-def: $vgpr17
.LBB4_4683:                             ;   in Loop: Header=BB4_4181 Depth=3
	s_and_not1_saveexec_b32 s13, s45
; %bb.4684:                             ;   in Loop: Header=BB4_4181 Depth=3
	v_or_b32_e32 v28, 0x7f, v17
; %bb.4685:                             ;   in Loop: Header=BB4_4181 Depth=3
	s_or_b32 exec_lo, exec_lo, s13
	v_and_b32_e32 v2, 0xff, v63
	v_dual_mov_b32 v18, 0 :: v_dual_mov_b32 v19, 0
	s_mov_b32 s13, exec_lo
	s_delay_alu instid0(VALU_DEP_2)
	v_cmpx_ne_u16_e32 0, v2
	s_cbranch_execz .LBB4_4693
; %bb.4686:                             ;   in Loop: Header=BB4_4181 Depth=3
	v_bfrev_b32_e32 v19, 1
	s_mov_b32 s45, exec_lo
	v_cmpx_ne_u16_e32 0x80, v2
	s_cbranch_execz .LBB4_4692
; %bb.4687:                             ;   in Loop: Header=BB4_4181 Depth=3
	v_and_b32_e32 v16, 0x7f, v63
	v_mov_b32_e32 v19, 0x7f800001
	s_mov_b32 s74, exec_lo
	s_delay_alu instid0(VALU_DEP_2)
	v_cmpx_ne_u32_e32 0x7f, v16
	s_cbranch_execz .LBB4_4691
; %bb.4688:                             ;   in Loop: Header=BB4_4181 Depth=3
	v_dual_lshrrev_b32 v19, 3, v16 :: v_dual_bitop2_b32 v2, 7, v2 bitop3:0x40
	v_cmp_gt_u32_e32 vcc_lo, 8, v16
	s_delay_alu instid0(VALU_DEP_2)
	v_mov_b64_e32 v[16:17], v[2:3]
	s_and_saveexec_b32 s75, vcc_lo
; %bb.4689:                             ;   in Loop: Header=BB4_4181 Depth=3
	v_clz_i32_u32_e32 v16, v2
	s_delay_alu instid0(VALU_DEP_1) | instskip(NEXT) | instid1(VALU_DEP_1)
	v_min_u32_e32 v19, 32, v16
	v_subrev_nc_u32_e32 v16, 28, v19
	s_delay_alu instid0(VALU_DEP_1) | instskip(NEXT) | instid1(VALU_DEP_1)
	v_lshlrev_b64_e32 v[16:17], v16, v[2:3]
	v_dual_sub_nc_u32 v19, 29, v19 :: v_dual_bitop2_b32 v16, 7, v16 bitop3:0x40
; %bb.4690:                             ;   in Loop: Header=BB4_4181 Depth=3
	s_or_b32 exec_lo, exec_lo, s75
	s_delay_alu instid0(VALU_DEP_1) | instskip(NEXT) | instid1(VALU_DEP_2)
	v_dual_lshlrev_b32 v2, 24, v63 :: v_dual_lshlrev_b32 v16, 20, v16
	v_lshl_add_u32 v17, v19, 23, 0x3c000000
	s_delay_alu instid0(VALU_DEP_2) | instskip(NEXT) | instid1(VALU_DEP_1)
	v_and_b32_e32 v2, 0x80000000, v2
	v_or3_b32 v19, v16, v2, v17
.LBB4_4691:                             ;   in Loop: Header=BB4_4181 Depth=3
	s_or_b32 exec_lo, exec_lo, s74
.LBB4_4692:                             ;   in Loop: Header=BB4_4181 Depth=3
	s_delay_alu instid0(SALU_CYCLE_1)
	s_or_b32 exec_lo, exec_lo, s45
.LBB4_4693:                             ;   in Loop: Header=BB4_4181 Depth=3
	s_delay_alu instid0(SALU_CYCLE_1) | instskip(SKIP_3) | instid1(VALU_DEP_1)
	s_or_b32 exec_lo, exec_lo, s13
	s_wait_loadcnt_dscnt 0x101
	v_and_b32_e32 v2, 0xff, v62
	s_mov_b32 s13, exec_lo
	v_cmpx_ne_u16_e32 0, v2
	s_cbranch_execz .LBB4_4701
; %bb.4694:                             ;   in Loop: Header=BB4_4181 Depth=3
	v_bfrev_b32_e32 v18, 1
	s_mov_b32 s45, exec_lo
	v_cmpx_ne_u16_e32 0x80, v2
	s_cbranch_execz .LBB4_4700
; %bb.4695:                             ;   in Loop: Header=BB4_4181 Depth=3
	v_and_b32_e32 v16, 0x7f, v62
	v_mov_b32_e32 v18, 0x7f800001
	s_mov_b32 s74, exec_lo
	s_delay_alu instid0(VALU_DEP_2)
	v_cmpx_ne_u32_e32 0x7f, v16
	s_cbranch_execz .LBB4_4699
; %bb.4696:                             ;   in Loop: Header=BB4_4181 Depth=3
	v_dual_lshrrev_b32 v18, 3, v16 :: v_dual_bitop2_b32 v2, 7, v2 bitop3:0x40
	v_cmp_gt_u32_e32 vcc_lo, 8, v16
	s_delay_alu instid0(VALU_DEP_2)
	v_mov_b64_e32 v[16:17], v[2:3]
	s_and_saveexec_b32 s75, vcc_lo
; %bb.4697:                             ;   in Loop: Header=BB4_4181 Depth=3
	v_clz_i32_u32_e32 v16, v2
	s_delay_alu instid0(VALU_DEP_1) | instskip(NEXT) | instid1(VALU_DEP_1)
	v_min_u32_e32 v18, 32, v16
	v_subrev_nc_u32_e32 v16, 28, v18
	s_delay_alu instid0(VALU_DEP_1) | instskip(NEXT) | instid1(VALU_DEP_1)
	v_lshlrev_b64_e32 v[16:17], v16, v[2:3]
	v_dual_sub_nc_u32 v18, 29, v18 :: v_dual_bitop2_b32 v16, 7, v16 bitop3:0x40
; %bb.4698:                             ;   in Loop: Header=BB4_4181 Depth=3
	s_or_b32 exec_lo, exec_lo, s75
	s_delay_alu instid0(VALU_DEP_1) | instskip(NEXT) | instid1(VALU_DEP_2)
	v_dual_lshlrev_b32 v2, 24, v62 :: v_dual_lshlrev_b32 v16, 20, v16
	v_lshl_add_u32 v17, v18, 23, 0x3c000000
	s_delay_alu instid0(VALU_DEP_2) | instskip(NEXT) | instid1(VALU_DEP_1)
	v_and_b32_e32 v2, 0x80000000, v2
	v_or3_b32 v18, v16, v2, v17
.LBB4_4699:                             ;   in Loop: Header=BB4_4181 Depth=3
	s_or_b32 exec_lo, exec_lo, s74
.LBB4_4700:                             ;   in Loop: Header=BB4_4181 Depth=3
	s_delay_alu instid0(SALU_CYCLE_1)
	s_or_b32 exec_lo, exec_lo, s45
.LBB4_4701:                             ;   in Loop: Header=BB4_4181 Depth=3
	s_delay_alu instid0(SALU_CYCLE_1) | instskip(NEXT) | instid1(VALU_DEP_1)
	s_or_b32 exec_lo, exec_lo, s13
	v_add_f32_e32 v16, v19, v18
                                        ; implicit-def: $vgpr29
	s_mov_b32 s13, exec_lo
	s_delay_alu instid0(VALU_DEP_1) | instskip(SKIP_1) | instid1(VALU_DEP_2)
	v_and_b32_e32 v2, 0x7f800000, v16
	v_lshrrev_b32_e32 v17, 24, v16
	v_cmpx_ne_u64_e32 0x7f800000, v[2:3]
	s_xor_b32 s45, exec_lo, s13
	s_cbranch_execz .LBB4_4719
; %bb.4702:                             ;   in Loop: Header=BB4_4181 Depth=3
	v_and_b32_e32 v2, 0x7fffffff, v16
	v_and_b32_e32 v62, 0x80, v17
                                        ; implicit-def: $vgpr29
	s_mov_b32 s13, exec_lo
	s_delay_alu instid0(VALU_DEP_2)
	v_cmpx_gt_u64_e32 0x43e00001, v[2:3]
	s_xor_b32 s74, exec_lo, s13
	s_cbranch_execz .LBB4_4716
; %bb.4703:                             ;   in Loop: Header=BB4_4181 Depth=3
	v_mov_b32_e32 v29, 0
	s_mov_b32 s75, exec_lo
	v_cmpx_ne_u32_e32 0, v16
	s_cbranch_execz .LBB4_4715
; %bb.4704:                             ;   in Loop: Header=BB4_4181 Depth=3
	v_bfe_u32 v24, v16, 23, 8
	s_delay_alu instid0(VALU_DEP_1) | instskip(SKIP_1) | instid1(VALU_DEP_2)
	v_sub_nc_u32_e32 v2, 0x79, v24
	v_cmp_gt_u32_e32 vcc_lo, 0x7a, v24
	v_cndmask_b32_e32 v2, 0, v2, vcc_lo
	v_cmp_eq_u32_e32 vcc_lo, 0, v24
	s_delay_alu instid0(VALU_DEP_2) | instskip(SKIP_1) | instid1(VALU_DEP_2)
	v_cndmask_b32_e64 v25, v2, 0x78, vcc_lo
	v_and_b32_e32 v2, 0x7fffff, v16
	v_add_nc_u32_e32 v16, 20, v25
	s_delay_alu instid0(VALU_DEP_2) | instskip(SKIP_1) | instid1(VALU_DEP_3)
	v_or_b32_e32 v18, 0x800000, v2
	v_add_nc_u32_e32 v19, 19, v25
	v_lshlrev_b64_e64 v[16:17], v16, -1
	s_delay_alu instid0(VALU_DEP_3) | instskip(NEXT) | instid1(VALU_DEP_3)
	v_cndmask_b32_e32 v2, v18, v2, vcc_lo
	v_lshlrev_b64_e64 v[18:19], v19, 1
	s_delay_alu instid0(VALU_DEP_3) | instskip(NEXT) | instid1(VALU_DEP_3)
	v_bfi_b32 v69, v17, 0, 0
	v_bfi_b32 v68, v16, 0, v2
	v_lshrrev_b64 v[16:17], v25, v[2:3]
	s_delay_alu instid0(VALU_DEP_2) | instskip(NEXT) | instid1(VALU_DEP_2)
	v_cmp_eq_u64_e64 s13, v[68:69], v[18:19]
	v_mov_b64_e32 v[18:19], v[16:17]
	s_and_saveexec_b32 s76, s13
; %bb.4705:                             ;   in Loop: Header=BB4_4181 Depth=3
	v_bfe_u32 v2, v16, 20, 1
	s_delay_alu instid0(VALU_DEP_1) | instskip(NEXT) | instid1(VALU_DEP_1)
	v_add_nc_u64_e32 v[18:19], v[16:17], v[2:3]
	v_add_nc_u64_e32 v[18:19], -1, v[18:19]
; %bb.4706:                             ;   in Loop: Header=BB4_4181 Depth=3
	s_or_b32 exec_lo, exec_lo, s76
	v_add_nc_u32_e32 v2, 0xffffff81, v24
	v_lshrrev_b32_e32 v17, 23, v16
	s_mov_b32 s13, exec_lo
	s_delay_alu instid0(VALU_DEP_2) | instskip(NEXT) | instid1(VALU_DEP_1)
	v_cndmask_b32_e64 v2, v2, 0xffffff82, vcc_lo
	v_add3_u32 v19, v25, v2, v17
	v_and_b32_e32 v2, 0xfffff, v18
                                        ; implicit-def: $vgpr18
	s_delay_alu instid0(VALU_DEP_1) | instskip(NEXT) | instid1(VALU_DEP_1)
	v_dual_add_nc_u32 v24, 6, v19 :: v_dual_add_nc_u32 v2, v2, v16
                                        ; implicit-def: $vgpr16_vgpr17
	v_cmpx_ne_u32_e32 0, v24
	s_xor_b32 s13, exec_lo, s13
; %bb.4707:                             ;   in Loop: Header=BB4_4181 Depth=3
	s_delay_alu instid0(VALU_DEP_2) | instskip(SKIP_1) | instid1(VALU_DEP_1)
	v_cmp_lt_u64_e32 vcc_lo, 0xffffff, v[2:3]
	v_add_nc_u32_e32 v16, 7, v19
	v_cndmask_b32_e32 v18, v24, v16, vcc_lo
	v_cndmask_b32_e64 v16, 0, 1, vcc_lo
	s_delay_alu instid0(VALU_DEP_1)
	v_lshrrev_b64 v[16:17], v16, v[2:3]
; %bb.4708:                             ;   in Loop: Header=BB4_4181 Depth=3
	s_and_not1_saveexec_b32 s13, s13
; %bb.4709:                             ;   in Loop: Header=BB4_4181 Depth=3
	v_mov_b64_e32 v[16:17], v[2:3]
	v_bfe_u32 v18, v2, 23, 1
; %bb.4710:                             ;   in Loop: Header=BB4_4181 Depth=3
	s_or_b32 exec_lo, exec_lo, s13
	s_delay_alu instid0(VALU_DEP_2) | instskip(NEXT) | instid1(VALU_DEP_2)
	v_lshrrev_b64 v[16:17], 20, v[16:17]
	v_cmp_gt_i32_e32 vcc_lo, 16, v18
	v_cmp_ne_u32_e64 s13, 0, v18
                                        ; implicit-def: $vgpr29
	s_delay_alu instid0(VALU_DEP_3) | instskip(NEXT) | instid1(VALU_DEP_1)
	v_dual_cndmask_b32 v17, 0, v17 :: v_dual_cndmask_b32 v16, 7, v16
	v_cmp_ne_u64_e32 vcc_lo, 0, v[16:17]
	s_or_b32 s13, s13, vcc_lo
	s_delay_alu instid0(SALU_CYCLE_1) | instskip(NEXT) | instid1(SALU_CYCLE_1)
	s_and_saveexec_b32 s76, s13
	s_xor_b32 s13, exec_lo, s76
; %bb.4711:                             ;   in Loop: Header=BB4_4181 Depth=3
	v_min_i32_e32 v2, 15, v18
	s_delay_alu instid0(VALU_DEP_1) | instskip(NEXT) | instid1(VALU_DEP_1)
	v_lshl_or_b32 v2, v2, 3, v62
                                        ; implicit-def: $vgpr62
	v_and_or_b32 v29, v16, 7, v2
; %bb.4712:                             ;   in Loop: Header=BB4_4181 Depth=3
	s_and_not1_saveexec_b32 s13, s13
; %bb.4713:                             ;   in Loop: Header=BB4_4181 Depth=3
	v_mov_b32_e32 v29, v62
; %bb.4714:                             ;   in Loop: Header=BB4_4181 Depth=3
	s_or_b32 exec_lo, exec_lo, s13
.LBB4_4715:                             ;   in Loop: Header=BB4_4181 Depth=3
	s_delay_alu instid0(SALU_CYCLE_1)
	s_or_b32 exec_lo, exec_lo, s75
                                        ; implicit-def: $vgpr62
.LBB4_4716:                             ;   in Loop: Header=BB4_4181 Depth=3
	s_and_not1_saveexec_b32 s13, s74
; %bb.4717:                             ;   in Loop: Header=BB4_4181 Depth=3
	v_or_b32_e32 v29, 0x7e, v62
; %bb.4718:                             ;   in Loop: Header=BB4_4181 Depth=3
	s_or_b32 exec_lo, exec_lo, s13
                                        ; implicit-def: $vgpr17
.LBB4_4719:                             ;   in Loop: Header=BB4_4181 Depth=3
	s_and_not1_saveexec_b32 s13, s45
; %bb.4720:                             ;   in Loop: Header=BB4_4181 Depth=3
	v_or_b32_e32 v29, 0x7f, v17
; %bb.4721:                             ;   in Loop: Header=BB4_4181 Depth=3
	s_or_b32 exec_lo, exec_lo, s13
	v_and_b32_e32 v2, 0xff, v59
	v_dual_mov_b32 v18, 0 :: v_dual_mov_b32 v19, 0
	s_mov_b32 s13, exec_lo
	s_delay_alu instid0(VALU_DEP_2)
	v_cmpx_ne_u16_e32 0, v2
	s_cbranch_execz .LBB4_4729
; %bb.4722:                             ;   in Loop: Header=BB4_4181 Depth=3
	v_bfrev_b32_e32 v19, 1
	s_mov_b32 s45, exec_lo
	v_cmpx_ne_u16_e32 0x80, v2
	s_cbranch_execz .LBB4_4728
; %bb.4723:                             ;   in Loop: Header=BB4_4181 Depth=3
	v_and_b32_e32 v16, 0x7f, v59
	v_mov_b32_e32 v19, 0x7f800001
	s_mov_b32 s74, exec_lo
	s_delay_alu instid0(VALU_DEP_2)
	v_cmpx_ne_u32_e32 0x7f, v16
	s_cbranch_execz .LBB4_4727
; %bb.4724:                             ;   in Loop: Header=BB4_4181 Depth=3
	v_dual_lshrrev_b32 v19, 3, v16 :: v_dual_bitop2_b32 v2, 7, v2 bitop3:0x40
	v_cmp_gt_u32_e32 vcc_lo, 8, v16
	s_delay_alu instid0(VALU_DEP_2)
	v_mov_b64_e32 v[16:17], v[2:3]
	s_and_saveexec_b32 s75, vcc_lo
; %bb.4725:                             ;   in Loop: Header=BB4_4181 Depth=3
	v_clz_i32_u32_e32 v16, v2
	s_delay_alu instid0(VALU_DEP_1) | instskip(NEXT) | instid1(VALU_DEP_1)
	v_min_u32_e32 v19, 32, v16
	v_subrev_nc_u32_e32 v16, 28, v19
	s_delay_alu instid0(VALU_DEP_1) | instskip(NEXT) | instid1(VALU_DEP_1)
	v_lshlrev_b64_e32 v[16:17], v16, v[2:3]
	v_dual_sub_nc_u32 v19, 29, v19 :: v_dual_bitop2_b32 v16, 7, v16 bitop3:0x40
; %bb.4726:                             ;   in Loop: Header=BB4_4181 Depth=3
	s_or_b32 exec_lo, exec_lo, s75
	s_delay_alu instid0(VALU_DEP_1) | instskip(NEXT) | instid1(VALU_DEP_2)
	v_dual_lshlrev_b32 v2, 24, v59 :: v_dual_lshlrev_b32 v16, 20, v16
	v_lshl_add_u32 v17, v19, 23, 0x3c000000
	s_delay_alu instid0(VALU_DEP_2) | instskip(NEXT) | instid1(VALU_DEP_1)
	v_and_b32_e32 v2, 0x80000000, v2
	v_or3_b32 v19, v16, v2, v17
.LBB4_4727:                             ;   in Loop: Header=BB4_4181 Depth=3
	s_or_b32 exec_lo, exec_lo, s74
.LBB4_4728:                             ;   in Loop: Header=BB4_4181 Depth=3
	s_delay_alu instid0(SALU_CYCLE_1)
	s_or_b32 exec_lo, exec_lo, s45
.LBB4_4729:                             ;   in Loop: Header=BB4_4181 Depth=3
	s_delay_alu instid0(SALU_CYCLE_1) | instskip(SKIP_3) | instid1(VALU_DEP_1)
	s_or_b32 exec_lo, exec_lo, s13
	s_wait_loadcnt_dscnt 0x0
	v_and_b32_e32 v2, 0xff, v58
	s_mov_b32 s13, exec_lo
	v_cmpx_ne_u16_e32 0, v2
	s_cbranch_execz .LBB4_4737
; %bb.4730:                             ;   in Loop: Header=BB4_4181 Depth=3
	v_bfrev_b32_e32 v18, 1
	s_mov_b32 s45, exec_lo
	v_cmpx_ne_u16_e32 0x80, v2
	s_cbranch_execz .LBB4_4736
; %bb.4731:                             ;   in Loop: Header=BB4_4181 Depth=3
	v_and_b32_e32 v16, 0x7f, v58
	v_mov_b32_e32 v18, 0x7f800001
	s_mov_b32 s74, exec_lo
	s_delay_alu instid0(VALU_DEP_2)
	v_cmpx_ne_u32_e32 0x7f, v16
	s_cbranch_execz .LBB4_4735
; %bb.4732:                             ;   in Loop: Header=BB4_4181 Depth=3
	v_dual_lshrrev_b32 v18, 3, v16 :: v_dual_bitop2_b32 v2, 7, v2 bitop3:0x40
	v_cmp_gt_u32_e32 vcc_lo, 8, v16
	s_delay_alu instid0(VALU_DEP_2)
	v_mov_b64_e32 v[16:17], v[2:3]
	s_and_saveexec_b32 s75, vcc_lo
; %bb.4733:                             ;   in Loop: Header=BB4_4181 Depth=3
	v_clz_i32_u32_e32 v16, v2
	s_delay_alu instid0(VALU_DEP_1) | instskip(NEXT) | instid1(VALU_DEP_1)
	v_min_u32_e32 v18, 32, v16
	v_subrev_nc_u32_e32 v16, 28, v18
	s_delay_alu instid0(VALU_DEP_1) | instskip(NEXT) | instid1(VALU_DEP_1)
	v_lshlrev_b64_e32 v[16:17], v16, v[2:3]
	v_dual_sub_nc_u32 v18, 29, v18 :: v_dual_bitop2_b32 v16, 7, v16 bitop3:0x40
; %bb.4734:                             ;   in Loop: Header=BB4_4181 Depth=3
	s_or_b32 exec_lo, exec_lo, s75
	s_delay_alu instid0(VALU_DEP_1) | instskip(NEXT) | instid1(VALU_DEP_2)
	v_dual_lshlrev_b32 v2, 24, v58 :: v_dual_lshlrev_b32 v16, 20, v16
	v_lshl_add_u32 v17, v18, 23, 0x3c000000
	s_delay_alu instid0(VALU_DEP_2) | instskip(NEXT) | instid1(VALU_DEP_1)
	v_and_b32_e32 v2, 0x80000000, v2
	v_or3_b32 v18, v16, v2, v17
.LBB4_4735:                             ;   in Loop: Header=BB4_4181 Depth=3
	s_or_b32 exec_lo, exec_lo, s74
.LBB4_4736:                             ;   in Loop: Header=BB4_4181 Depth=3
	s_delay_alu instid0(SALU_CYCLE_1)
	s_or_b32 exec_lo, exec_lo, s45
.LBB4_4737:                             ;   in Loop: Header=BB4_4181 Depth=3
	s_delay_alu instid0(SALU_CYCLE_1) | instskip(NEXT) | instid1(VALU_DEP_1)
	s_or_b32 exec_lo, exec_lo, s13
	v_add_f32_e32 v16, v19, v18
	s_delay_alu instid0(VALU_DEP_1) | instskip(SKIP_1) | instid1(VALU_DEP_2)
	v_and_b32_e32 v2, 0x7f800000, v16
	v_lshrrev_b32_e32 v17, 24, v16
	v_cmp_ne_u64_e32 vcc_lo, 0x7f800000, v[2:3]
                                        ; implicit-def: $vgpr2
	s_and_saveexec_b32 s13, vcc_lo
	s_delay_alu instid0(SALU_CYCLE_1)
	s_xor_b32 s45, exec_lo, s13
	s_cbranch_execz .LBB4_4755
; %bb.4738:                             ;   in Loop: Header=BB4_4181 Depth=3
	v_and_b32_e32 v2, 0x7fffffff, v16
	v_and_b32_e32 v58, 0x80, v17
	s_delay_alu instid0(VALU_DEP_2) | instskip(SKIP_1) | instid1(SALU_CYCLE_1)
	v_cmp_gt_u64_e32 vcc_lo, 0x43e00001, v[2:3]
                                        ; implicit-def: $vgpr2
	s_and_saveexec_b32 s13, vcc_lo
	s_xor_b32 s74, exec_lo, s13
	s_cbranch_execz .LBB4_4752
; %bb.4739:                             ;   in Loop: Header=BB4_4181 Depth=3
	v_mov_b32_e32 v2, 0
	s_mov_b32 s75, exec_lo
	v_cmpx_ne_u32_e32 0, v16
	s_cbranch_execz .LBB4_4751
; %bb.4740:                             ;   in Loop: Header=BB4_4181 Depth=3
	v_bfe_u32 v24, v16, 23, 8
	s_delay_alu instid0(VALU_DEP_1) | instskip(SKIP_1) | instid1(VALU_DEP_2)
	v_sub_nc_u32_e32 v2, 0x79, v24
	v_cmp_gt_u32_e32 vcc_lo, 0x7a, v24
	v_cndmask_b32_e32 v2, 0, v2, vcc_lo
	v_cmp_eq_u32_e32 vcc_lo, 0, v24
	s_delay_alu instid0(VALU_DEP_2) | instskip(SKIP_1) | instid1(VALU_DEP_2)
	v_cndmask_b32_e64 v25, v2, 0x78, vcc_lo
	v_and_b32_e32 v2, 0x7fffff, v16
	v_add_nc_u32_e32 v16, 20, v25
	s_delay_alu instid0(VALU_DEP_2) | instskip(SKIP_1) | instid1(VALU_DEP_3)
	v_or_b32_e32 v18, 0x800000, v2
	v_add_nc_u32_e32 v19, 19, v25
	v_lshlrev_b64_e64 v[16:17], v16, -1
	s_delay_alu instid0(VALU_DEP_3) | instskip(NEXT) | instid1(VALU_DEP_3)
	v_cndmask_b32_e32 v2, v18, v2, vcc_lo
	v_lshlrev_b64_e64 v[18:19], v19, 1
	s_delay_alu instid0(VALU_DEP_3) | instskip(NEXT) | instid1(VALU_DEP_3)
	v_bfi_b32 v69, v17, 0, 0
	v_bfi_b32 v68, v16, 0, v2
	v_lshrrev_b64 v[16:17], v25, v[2:3]
	s_delay_alu instid0(VALU_DEP_2) | instskip(NEXT) | instid1(VALU_DEP_2)
	v_cmp_eq_u64_e64 s13, v[68:69], v[18:19]
	v_mov_b64_e32 v[18:19], v[16:17]
	s_and_saveexec_b32 s76, s13
; %bb.4741:                             ;   in Loop: Header=BB4_4181 Depth=3
	v_bfe_u32 v2, v16, 20, 1
	s_delay_alu instid0(VALU_DEP_1) | instskip(NEXT) | instid1(VALU_DEP_1)
	v_add_nc_u64_e32 v[18:19], v[16:17], v[2:3]
	v_add_nc_u64_e32 v[18:19], -1, v[18:19]
; %bb.4742:                             ;   in Loop: Header=BB4_4181 Depth=3
	s_or_b32 exec_lo, exec_lo, s76
	v_add_nc_u32_e32 v2, 0xffffff81, v24
	v_lshrrev_b32_e32 v17, 23, v16
	s_mov_b32 s13, exec_lo
	s_delay_alu instid0(VALU_DEP_2) | instskip(NEXT) | instid1(VALU_DEP_1)
	v_cndmask_b32_e64 v2, v2, 0xffffff82, vcc_lo
	v_add3_u32 v19, v25, v2, v17
	v_and_b32_e32 v2, 0xfffff, v18
                                        ; implicit-def: $vgpr18
	s_delay_alu instid0(VALU_DEP_1) | instskip(NEXT) | instid1(VALU_DEP_1)
	v_dual_add_nc_u32 v24, 6, v19 :: v_dual_add_nc_u32 v2, v2, v16
                                        ; implicit-def: $vgpr16_vgpr17
	v_cmpx_ne_u32_e32 0, v24
	s_xor_b32 s13, exec_lo, s13
; %bb.4743:                             ;   in Loop: Header=BB4_4181 Depth=3
	s_delay_alu instid0(VALU_DEP_2) | instskip(SKIP_1) | instid1(VALU_DEP_1)
	v_cmp_lt_u64_e32 vcc_lo, 0xffffff, v[2:3]
	v_add_nc_u32_e32 v16, 7, v19
	v_cndmask_b32_e32 v18, v24, v16, vcc_lo
	v_cndmask_b32_e64 v16, 0, 1, vcc_lo
	s_delay_alu instid0(VALU_DEP_1)
	v_lshrrev_b64 v[16:17], v16, v[2:3]
; %bb.4744:                             ;   in Loop: Header=BB4_4181 Depth=3
	s_and_not1_saveexec_b32 s13, s13
; %bb.4745:                             ;   in Loop: Header=BB4_4181 Depth=3
	v_mov_b64_e32 v[16:17], v[2:3]
	v_bfe_u32 v18, v2, 23, 1
; %bb.4746:                             ;   in Loop: Header=BB4_4181 Depth=3
	s_or_b32 exec_lo, exec_lo, s13
	s_delay_alu instid0(VALU_DEP_2) | instskip(NEXT) | instid1(VALU_DEP_2)
	v_lshrrev_b64 v[16:17], 20, v[16:17]
	v_cmp_gt_i32_e32 vcc_lo, 16, v18
	v_cmp_ne_u32_e64 s13, 0, v18
                                        ; implicit-def: $vgpr2
	s_delay_alu instid0(VALU_DEP_3) | instskip(NEXT) | instid1(VALU_DEP_1)
	v_dual_cndmask_b32 v17, 0, v17 :: v_dual_cndmask_b32 v16, 7, v16
	v_cmp_ne_u64_e32 vcc_lo, 0, v[16:17]
	s_or_b32 s13, s13, vcc_lo
	s_delay_alu instid0(SALU_CYCLE_1) | instskip(NEXT) | instid1(SALU_CYCLE_1)
	s_and_saveexec_b32 s76, s13
	s_xor_b32 s13, exec_lo, s76
; %bb.4747:                             ;   in Loop: Header=BB4_4181 Depth=3
	v_min_i32_e32 v2, 15, v18
	s_delay_alu instid0(VALU_DEP_1) | instskip(NEXT) | instid1(VALU_DEP_1)
	v_lshl_or_b32 v2, v2, 3, v58
                                        ; implicit-def: $vgpr58
	v_and_or_b32 v2, v16, 7, v2
; %bb.4748:                             ;   in Loop: Header=BB4_4181 Depth=3
	s_and_not1_saveexec_b32 s13, s13
; %bb.4749:                             ;   in Loop: Header=BB4_4181 Depth=3
	v_mov_b32_e32 v2, v58
; %bb.4750:                             ;   in Loop: Header=BB4_4181 Depth=3
	s_or_b32 exec_lo, exec_lo, s13
.LBB4_4751:                             ;   in Loop: Header=BB4_4181 Depth=3
	s_delay_alu instid0(SALU_CYCLE_1)
	s_or_b32 exec_lo, exec_lo, s75
                                        ; implicit-def: $vgpr58
.LBB4_4752:                             ;   in Loop: Header=BB4_4181 Depth=3
	s_and_not1_saveexec_b32 s13, s74
; %bb.4753:                             ;   in Loop: Header=BB4_4181 Depth=3
	v_or_b32_e32 v2, 0x7e, v58
; %bb.4754:                             ;   in Loop: Header=BB4_4181 Depth=3
	s_or_b32 exec_lo, exec_lo, s13
                                        ; implicit-def: $vgpr17
.LBB4_4755:                             ;   in Loop: Header=BB4_4181 Depth=3
	s_and_not1_saveexec_b32 s13, s45
	s_cbranch_execz .LBB4_4180
; %bb.4756:                             ;   in Loop: Header=BB4_4181 Depth=3
	v_or_b32_e32 v2, 0x7f, v17
	s_branch .LBB4_4180
.LBB4_4757:                             ;   in Loop: Header=BB4_2595 Depth=2
	s_or_b32 exec_lo, exec_lo, s44
.LBB4_4758:                             ;   in Loop: Header=BB4_2595 Depth=2
	s_delay_alu instid0(SALU_CYCLE_1) | instskip(SKIP_1) | instid1(VALU_DEP_1)
	s_or_b32 exec_lo, exec_lo, s14
	v_lshlrev_b32_e32 v2, 9, v60
	v_cmp_ne_u32_e32 vcc_lo, v21, v2
	s_and_b32 exec_lo, exec_lo, vcc_lo
	s_cbranch_execz .LBB4_4800
; %bb.4759:                             ;   in Loop: Header=BB4_2595 Depth=2
	v_add_nc_u32_e32 v8, v22, v43
	v_lshlrev_b32_e32 v9, 5, v23
	s_delay_alu instid0(VALU_DEP_2) | instskip(NEXT) | instid1(VALU_DEP_1)
	v_and_b32_e32 v8, 0xffffffe0, v8
	v_sub_nc_u32_e32 v8, v22, v8
	s_delay_alu instid0(VALU_DEP_1) | instskip(NEXT) | instid1(VALU_DEP_1)
	v_sub_nc_u32_e32 v8, v8, v9
	v_add_nc_u32_e32 v2, v2, v8
	s_delay_alu instid0(VALU_DEP_1) | instskip(NEXT) | instid1(VALU_DEP_1)
	v_sub_nc_u32_e32 v21, v21, v2
	v_cmp_lt_i32_e32 vcc_lo, 0, v21
	s_and_b32 exec_lo, exec_lo, vcc_lo
	s_cbranch_execz .LBB4_4800
; %bb.4760:                             ;   in Loop: Header=BB4_2595 Depth=2
	s_trap 2
	ds_load_b128 v[8:11], v0
	v_add_nc_u32_e32 v12, v2, v20
	s_mov_b32 s74, 0
	s_delay_alu instid0(VALU_DEP_1) | instskip(SKIP_1) | instid1(VALU_DEP_1)
	v_ashrrev_i32_e32 v13, 31, v12
	s_wait_dscnt 0x0
	v_add_nc_u64_e32 v[8:9], v[8:9], v[12:13]
	v_add_nc_u64_e32 v[10:11], v[10:11], v[12:13]
	s_delay_alu instid0(VALU_DEP_2) | instskip(NEXT) | instid1(VALU_DEP_2)
	v_mov_b64_e32 v[12:13], v[8:9]
	v_mov_b64_e32 v[14:15], v[10:11]
.LBB4_4761:                             ;   Parent Loop BB4_47 Depth=1
                                        ;     Parent Loop BB4_2595 Depth=2
                                        ; =>    This Loop Header: Depth=3
                                        ;         Child Loop BB4_4798 Depth 4
	flat_load_u8 v22, v[12:13] th:TH_LOAD_NT
	flat_load_u8 v18, v[14:15] th:TH_LOAD_NT
	v_dual_mov_b32 v19, 0 :: v_dual_mov_b32 v20, 0
	s_mov_b32 s13, exec_lo
	s_wait_loadcnt_dscnt 0x101
	s_wait_xcnt 0x0
	v_cmpx_ne_u16_e32 0, v22
	s_cbranch_execz .LBB4_4769
; %bb.4762:                             ;   in Loop: Header=BB4_4761 Depth=3
	v_bfrev_b32_e32 v20, 1
	s_mov_b32 s14, exec_lo
	v_cmpx_ne_u16_e32 0x80, v22
	s_cbranch_execz .LBB4_4768
; %bb.4763:                             ;   in Loop: Header=BB4_4761 Depth=3
	v_and_b32_e32 v2, 0xffff, v22
	v_mov_b32_e32 v20, 0x7f800001
	s_mov_b32 s44, exec_lo
	s_delay_alu instid0(VALU_DEP_2) | instskip(NEXT) | instid1(VALU_DEP_1)
	v_and_b32_e32 v16, 0x7f, v2
	v_cmpx_ne_u32_e32 0x7f, v16
	s_cbranch_execz .LBB4_4767
; %bb.4764:                             ;   in Loop: Header=BB4_4761 Depth=3
	v_dual_lshrrev_b32 v20, 3, v16 :: v_dual_bitop2_b32 v2, 7, v2 bitop3:0x40
	v_cmp_gt_u32_e32 vcc_lo, 8, v16
	s_delay_alu instid0(VALU_DEP_2)
	v_mov_b64_e32 v[16:17], v[2:3]
	s_and_saveexec_b32 s45, vcc_lo
; %bb.4765:                             ;   in Loop: Header=BB4_4761 Depth=3
	v_clz_i32_u32_e32 v16, v2
	s_delay_alu instid0(VALU_DEP_1) | instskip(NEXT) | instid1(VALU_DEP_1)
	v_min_u32_e32 v20, 32, v16
	v_subrev_nc_u32_e32 v16, 28, v20
	v_sub_nc_u32_e32 v20, 29, v20
	s_delay_alu instid0(VALU_DEP_2) | instskip(NEXT) | instid1(VALU_DEP_1)
	v_lshlrev_b64_e32 v[16:17], v16, v[2:3]
	v_and_b32_e32 v16, 7, v16
; %bb.4766:                             ;   in Loop: Header=BB4_4761 Depth=3
	s_or_b32 exec_lo, exec_lo, s45
	s_delay_alu instid0(VALU_DEP_1) | instskip(SKIP_1) | instid1(VALU_DEP_2)
	v_dual_lshlrev_b32 v2, 24, v22 :: v_dual_lshlrev_b32 v16, 20, v16
	v_lshl_add_u32 v17, v20, 23, 0x3c000000
	v_and_b32_e32 v2, 0x80000000, v2
	s_delay_alu instid0(VALU_DEP_1)
	v_or3_b32 v20, v16, v2, v17
.LBB4_4767:                             ;   in Loop: Header=BB4_4761 Depth=3
	s_or_b32 exec_lo, exec_lo, s44
.LBB4_4768:                             ;   in Loop: Header=BB4_4761 Depth=3
	s_delay_alu instid0(SALU_CYCLE_1)
	s_or_b32 exec_lo, exec_lo, s14
.LBB4_4769:                             ;   in Loop: Header=BB4_4761 Depth=3
	s_delay_alu instid0(SALU_CYCLE_1) | instskip(SKIP_3) | instid1(VALU_DEP_1)
	s_or_b32 exec_lo, exec_lo, s13
	s_wait_loadcnt_dscnt 0x0
	v_and_b32_e32 v2, 0xff, v18
	s_mov_b32 s13, exec_lo
	v_cmpx_ne_u16_e32 0, v2
	s_cbranch_execz .LBB4_4777
; %bb.4770:                             ;   in Loop: Header=BB4_4761 Depth=3
	v_bfrev_b32_e32 v19, 1
	s_mov_b32 s14, exec_lo
	v_cmpx_ne_u16_e32 0x80, v2
	s_cbranch_execz .LBB4_4776
; %bb.4771:                             ;   in Loop: Header=BB4_4761 Depth=3
	v_and_b32_e32 v16, 0x7f, v18
	v_mov_b32_e32 v19, 0x7f800001
	s_mov_b32 s44, exec_lo
	s_delay_alu instid0(VALU_DEP_2)
	v_cmpx_ne_u32_e32 0x7f, v16
	s_cbranch_execz .LBB4_4775
; %bb.4772:                             ;   in Loop: Header=BB4_4761 Depth=3
	v_dual_lshrrev_b32 v19, 3, v16 :: v_dual_bitop2_b32 v2, 7, v2 bitop3:0x40
	v_cmp_gt_u32_e32 vcc_lo, 8, v16
	s_delay_alu instid0(VALU_DEP_2)
	v_mov_b64_e32 v[16:17], v[2:3]
	s_and_saveexec_b32 s45, vcc_lo
; %bb.4773:                             ;   in Loop: Header=BB4_4761 Depth=3
	v_clz_i32_u32_e32 v16, v2
	s_delay_alu instid0(VALU_DEP_1) | instskip(NEXT) | instid1(VALU_DEP_1)
	v_min_u32_e32 v19, 32, v16
	v_subrev_nc_u32_e32 v16, 28, v19
	s_delay_alu instid0(VALU_DEP_1) | instskip(NEXT) | instid1(VALU_DEP_1)
	v_lshlrev_b64_e32 v[16:17], v16, v[2:3]
	v_dual_sub_nc_u32 v19, 29, v19 :: v_dual_bitop2_b32 v16, 7, v16 bitop3:0x40
; %bb.4774:                             ;   in Loop: Header=BB4_4761 Depth=3
	s_or_b32 exec_lo, exec_lo, s45
	s_delay_alu instid0(VALU_DEP_1) | instskip(NEXT) | instid1(VALU_DEP_2)
	v_dual_lshlrev_b32 v2, 24, v18 :: v_dual_lshlrev_b32 v16, 20, v16
	v_lshl_add_u32 v17, v19, 23, 0x3c000000
	s_delay_alu instid0(VALU_DEP_2) | instskip(NEXT) | instid1(VALU_DEP_1)
	v_and_b32_e32 v2, 0x80000000, v2
	v_or3_b32 v19, v16, v2, v17
.LBB4_4775:                             ;   in Loop: Header=BB4_4761 Depth=3
	s_or_b32 exec_lo, exec_lo, s44
.LBB4_4776:                             ;   in Loop: Header=BB4_4761 Depth=3
	s_delay_alu instid0(SALU_CYCLE_1)
	s_or_b32 exec_lo, exec_lo, s14
.LBB4_4777:                             ;   in Loop: Header=BB4_4761 Depth=3
	s_delay_alu instid0(SALU_CYCLE_1) | instskip(NEXT) | instid1(VALU_DEP_1)
	s_or_b32 exec_lo, exec_lo, s13
	v_add_f32_e32 v16, v20, v19
	s_delay_alu instid0(VALU_DEP_1) | instskip(SKIP_1) | instid1(VALU_DEP_2)
	v_and_b32_e32 v2, 0x7f800000, v16
	v_lshrrev_b32_e32 v17, 24, v16
	v_cmp_ne_u64_e32 vcc_lo, 0x7f800000, v[2:3]
                                        ; implicit-def: $vgpr2
	s_and_saveexec_b32 s13, vcc_lo
	s_delay_alu instid0(SALU_CYCLE_1)
	s_xor_b32 s14, exec_lo, s13
	s_cbranch_execz .LBB4_4795
; %bb.4778:                             ;   in Loop: Header=BB4_4761 Depth=3
	v_and_b32_e32 v2, 0x7fffffff, v16
	v_and_b32_e32 v20, 0x80, v17
	s_delay_alu instid0(VALU_DEP_2) | instskip(SKIP_1) | instid1(SALU_CYCLE_1)
	v_cmp_gt_u64_e32 vcc_lo, 0x43e00001, v[2:3]
                                        ; implicit-def: $vgpr2
	s_and_saveexec_b32 s13, vcc_lo
	s_xor_b32 s44, exec_lo, s13
	s_cbranch_execz .LBB4_4792
; %bb.4779:                             ;   in Loop: Header=BB4_4761 Depth=3
	v_mov_b32_e32 v2, 0
	s_mov_b32 s45, exec_lo
	v_cmpx_ne_u32_e32 0, v16
	s_cbranch_execz .LBB4_4791
; %bb.4780:                             ;   in Loop: Header=BB4_4761 Depth=3
	v_bfe_u32 v22, v16, 23, 8
	s_delay_alu instid0(VALU_DEP_1) | instskip(SKIP_1) | instid1(VALU_DEP_2)
	v_sub_nc_u32_e32 v2, 0x79, v22
	v_cmp_gt_u32_e32 vcc_lo, 0x7a, v22
	v_cndmask_b32_e32 v2, 0, v2, vcc_lo
	v_cmp_eq_u32_e32 vcc_lo, 0, v22
	s_delay_alu instid0(VALU_DEP_2) | instskip(SKIP_1) | instid1(VALU_DEP_2)
	v_cndmask_b32_e64 v23, v2, 0x78, vcc_lo
	v_and_b32_e32 v2, 0x7fffff, v16
	v_add_nc_u32_e32 v16, 20, v23
	s_delay_alu instid0(VALU_DEP_2) | instskip(SKIP_1) | instid1(VALU_DEP_3)
	v_or_b32_e32 v18, 0x800000, v2
	v_add_nc_u32_e32 v19, 19, v23
	v_lshlrev_b64_e64 v[16:17], v16, -1
	s_delay_alu instid0(VALU_DEP_3) | instskip(NEXT) | instid1(VALU_DEP_3)
	v_cndmask_b32_e32 v2, v18, v2, vcc_lo
	v_lshlrev_b64_e64 v[18:19], v19, 1
	s_delay_alu instid0(VALU_DEP_3) | instskip(NEXT) | instid1(VALU_DEP_3)
	v_bfi_b32 v25, v17, 0, 0
	v_bfi_b32 v24, v16, 0, v2
	v_lshrrev_b64 v[16:17], v23, v[2:3]
	s_delay_alu instid0(VALU_DEP_2) | instskip(NEXT) | instid1(VALU_DEP_2)
	v_cmp_eq_u64_e64 s13, v[24:25], v[18:19]
	v_mov_b64_e32 v[18:19], v[16:17]
	s_and_saveexec_b32 s75, s13
; %bb.4781:                             ;   in Loop: Header=BB4_4761 Depth=3
	v_bfe_u32 v2, v16, 20, 1
	s_delay_alu instid0(VALU_DEP_1) | instskip(NEXT) | instid1(VALU_DEP_1)
	v_add_nc_u64_e32 v[18:19], v[16:17], v[2:3]
	v_add_nc_u64_e32 v[18:19], -1, v[18:19]
; %bb.4782:                             ;   in Loop: Header=BB4_4761 Depth=3
	s_or_b32 exec_lo, exec_lo, s75
	v_add_nc_u32_e32 v2, 0xffffff81, v22
	v_lshrrev_b32_e32 v17, 23, v16
	s_mov_b32 s13, exec_lo
	s_delay_alu instid0(VALU_DEP_2) | instskip(NEXT) | instid1(VALU_DEP_1)
	v_cndmask_b32_e64 v2, v2, 0xffffff82, vcc_lo
	v_add3_u32 v19, v23, v2, v17
	v_and_b32_e32 v2, 0xfffff, v18
                                        ; implicit-def: $vgpr18
	s_delay_alu instid0(VALU_DEP_1) | instskip(NEXT) | instid1(VALU_DEP_1)
	v_dual_add_nc_u32 v22, 6, v19 :: v_dual_add_nc_u32 v2, v2, v16
                                        ; implicit-def: $vgpr16_vgpr17
	v_cmpx_ne_u32_e32 0, v22
	s_xor_b32 s13, exec_lo, s13
; %bb.4783:                             ;   in Loop: Header=BB4_4761 Depth=3
	s_delay_alu instid0(VALU_DEP_2) | instskip(SKIP_1) | instid1(VALU_DEP_1)
	v_cmp_lt_u64_e32 vcc_lo, 0xffffff, v[2:3]
	v_add_nc_u32_e32 v16, 7, v19
	v_cndmask_b32_e32 v18, v22, v16, vcc_lo
	v_cndmask_b32_e64 v16, 0, 1, vcc_lo
	s_delay_alu instid0(VALU_DEP_1)
	v_lshrrev_b64 v[16:17], v16, v[2:3]
; %bb.4784:                             ;   in Loop: Header=BB4_4761 Depth=3
	s_and_not1_saveexec_b32 s13, s13
; %bb.4785:                             ;   in Loop: Header=BB4_4761 Depth=3
	v_mov_b64_e32 v[16:17], v[2:3]
	v_bfe_u32 v18, v2, 23, 1
; %bb.4786:                             ;   in Loop: Header=BB4_4761 Depth=3
	s_or_b32 exec_lo, exec_lo, s13
	s_delay_alu instid0(VALU_DEP_2) | instskip(NEXT) | instid1(VALU_DEP_2)
	v_lshrrev_b64 v[16:17], 20, v[16:17]
	v_cmp_gt_i32_e32 vcc_lo, 16, v18
	v_cmp_ne_u32_e64 s13, 0, v18
                                        ; implicit-def: $vgpr2
	s_delay_alu instid0(VALU_DEP_3) | instskip(NEXT) | instid1(VALU_DEP_1)
	v_dual_cndmask_b32 v17, 0, v17 :: v_dual_cndmask_b32 v16, 7, v16
	v_cmp_ne_u64_e32 vcc_lo, 0, v[16:17]
	s_or_b32 s13, s13, vcc_lo
	s_delay_alu instid0(SALU_CYCLE_1) | instskip(NEXT) | instid1(SALU_CYCLE_1)
	s_and_saveexec_b32 s75, s13
	s_xor_b32 s13, exec_lo, s75
; %bb.4787:                             ;   in Loop: Header=BB4_4761 Depth=3
	v_min_i32_e32 v2, 15, v18
	s_delay_alu instid0(VALU_DEP_1) | instskip(NEXT) | instid1(VALU_DEP_1)
	v_lshl_or_b32 v2, v2, 3, v20
                                        ; implicit-def: $vgpr20
	v_and_or_b32 v2, v16, 7, v2
; %bb.4788:                             ;   in Loop: Header=BB4_4761 Depth=3
	s_and_not1_saveexec_b32 s13, s13
; %bb.4789:                             ;   in Loop: Header=BB4_4761 Depth=3
	v_mov_b32_e32 v2, v20
; %bb.4790:                             ;   in Loop: Header=BB4_4761 Depth=3
	s_or_b32 exec_lo, exec_lo, s13
.LBB4_4791:                             ;   in Loop: Header=BB4_4761 Depth=3
	s_delay_alu instid0(SALU_CYCLE_1)
	s_or_b32 exec_lo, exec_lo, s45
                                        ; implicit-def: $vgpr20
.LBB4_4792:                             ;   in Loop: Header=BB4_4761 Depth=3
	s_and_not1_saveexec_b32 s13, s44
; %bb.4793:                             ;   in Loop: Header=BB4_4761 Depth=3
	v_or_b32_e32 v2, 0x7e, v20
; %bb.4794:                             ;   in Loop: Header=BB4_4761 Depth=3
	s_or_b32 exec_lo, exec_lo, s13
                                        ; implicit-def: $vgpr17
.LBB4_4795:                             ;   in Loop: Header=BB4_4761 Depth=3
	s_and_not1_saveexec_b32 s13, s14
; %bb.4796:                             ;   in Loop: Header=BB4_4761 Depth=3
	v_or_b32_e32 v2, 0x7f, v17
; %bb.4797:                             ;   in Loop: Header=BB4_4761 Depth=3
	s_or_b32 exec_lo, exec_lo, s13
	s_mov_b64 s[44:45], 0
	s_mov_b32 s75, -1
.LBB4_4798:                             ;   Parent Loop BB4_47 Depth=1
                                        ;     Parent Loop BB4_2595 Depth=2
                                        ;       Parent Loop BB4_4761 Depth=3
                                        ; =>      This Inner Loop Header: Depth=4
	s_cmp_eq_u32 s44, 1
	s_cselect_b32 vcc_lo, -1, 0
	s_cmp_eq_u32 s44, 0
	s_wait_xcnt 0x0
	v_dual_cndmask_b32 v17, v9, v11 :: v_dual_cndmask_b32 v16, v8, v10
	s_cselect_b32 s13, -1, 0
	s_and_b32 s14, exec_lo, s75
	s_mov_b64 s[44:45], 1
	s_mov_b32 s75, 0
	v_add_nc_u64_e32 v[18:19], 32, v[16:17]
	flat_store_b8 v[16:17], v2 th:TH_STORE_NT
	v_dual_cndmask_b32 v11, v11, v19 :: v_dual_cndmask_b32 v10, v10, v18
	v_dual_cndmask_b32 v9, v9, v19, s13 :: v_dual_cndmask_b32 v8, v8, v18, s13
	s_mov_b32 vcc_lo, s14
	s_cbranch_vccnz .LBB4_4798
; %bb.4799:                             ;   in Loop: Header=BB4_4761 Depth=3
	v_sub_nc_u32_e32 v21, v21, v54
	v_add_nc_u64_e32 v[12:13], v[12:13], v[96:97]
	v_add_nc_u64_e32 v[14:15], v[14:15], v[96:97]
	;; [unrolled: 1-line block ×4, first 2 shown]
	v_cmp_gt_i32_e32 vcc_lo, 1, v21
	s_or_b32 s74, vcc_lo, s74
	s_wait_xcnt 0x0
	s_and_not1_b32 exec_lo, exec_lo, s74
	s_cbranch_execnz .LBB4_4761
.LBB4_4800:                             ;   in Loop: Header=BB4_2595 Depth=2
	s_or_b32 exec_lo, exec_lo, s15
	s_mov_b32 s13, 0
.LBB4_4801:                             ;   in Loop: Header=BB4_2595 Depth=2
	s_delay_alu instid0(SALU_CYCLE_1)
	s_and_b32 vcc_lo, exec_lo, s13
	s_cbranch_vccz .LBB4_6930
; %bb.4802:                             ;   in Loop: Header=BB4_2595 Depth=2
	s_mov_b32 s13, -1
	s_and_saveexec_b32 s14, s12
	s_cbranch_execz .LBB4_4804
; %bb.4803:                             ;   in Loop: Header=BB4_2595 Depth=2
	ds_load_b32 v2, v0 offset:720
	s_wait_dscnt 0x0
	v_and_b32_e32 v2, 15, v2
	s_delay_alu instid0(VALU_DEP_1)
	v_cmp_eq_u32_e32 vcc_lo, 0, v2
	s_or_not1_b32 s13, vcc_lo, exec_lo
.LBB4_4804:                             ;   in Loop: Header=BB4_2595 Depth=2
	s_or_b32 exec_lo, exec_lo, s14
	s_and_saveexec_b32 s14, s7
	s_cbranch_execz .LBB4_4806
; %bb.4805:                             ;   in Loop: Header=BB4_2595 Depth=2
	ds_load_b32 v2, v0 offset:784
	s_wait_dscnt 0x0
	v_and_b32_e32 v2, 15, v2
	s_delay_alu instid0(VALU_DEP_1) | instskip(SKIP_3) | instid1(SALU_CYCLE_1)
	v_cmp_eq_u32_e32 vcc_lo, 0, v2
	s_and_b32 s15, s13, vcc_lo
	s_and_not1_b32 s13, s13, exec_lo
	s_and_b32 s15, s15, exec_lo
	s_or_b32 s13, s13, s15
.LBB4_4806:                             ;   in Loop: Header=BB4_2595 Depth=2
	s_or_b32 exec_lo, exec_lo, s14
	s_xor_b32 s13, s13, -1
	v_dual_mov_b32 v18, 0 :: v_dual_mov_b32 v19, v41
	v_cndmask_b32_e64 v2, 0, 1, s13
	v_mov_b32_e32 v20, v0
	s_mov_b32 s13, -1
	s_delay_alu instid0(VALU_DEP_2)
	v_cmp_ne_u32_e32 vcc_lo, 0, v2
	v_mov_b32_e32 v2, v93
	s_cbranch_vccz .LBB4_4808
; %bb.4807:                             ;   in Loop: Header=BB4_2595 Depth=2
	s_and_saveexec_b32 s14, s13
	s_cbranch_execnz .LBB4_6309
	s_branch .LBB4_6929
.LBB4_4808:                             ;   in Loop: Header=BB4_2595 Depth=2
	v_ashrrev_i32_e32 v2, 31, v41
	s_mov_b32 s14, exec_lo
	s_delay_alu instid0(VALU_DEP_1) | instskip(NEXT) | instid1(VALU_DEP_1)
	v_lshrrev_b32_e32 v2, 22, v2
	v_add_nc_u32_e32 v2, v41, v2
	s_delay_alu instid0(VALU_DEP_1) | instskip(NEXT) | instid1(VALU_DEP_1)
	v_ashrrev_i32_e32 v76, 10, v2
	v_sub_nc_u32_e32 v43, v76, v93
	s_delay_alu instid0(VALU_DEP_1)
	v_cmpx_lt_i32_e32 0, v43
	s_cbranch_execz .LBB4_5804
; %bb.4809:                             ;   in Loop: Header=BB4_2595 Depth=2
	s_trap 2
	ds_load_b64 v[8:9], v0
	v_add_nc_u64_e32 v[58:59], v[46:47], v[102:103]
	v_add_nc_u64_e32 v[62:63], v[56:57], v[102:103]
	s_mov_b32 s15, 0
	s_wait_dscnt 0x0
	v_add_nc_u64_e32 v[60:61], v[8:9], v[102:103]
	s_branch .LBB4_4811
.LBB4_4810:                             ;   in Loop: Header=BB4_4811 Depth=3
	s_or_b32 exec_lo, exec_lo, s13
	v_lshl_or_b32 v8, v106, 8, v105
	v_dual_lshlrev_b32 v9, 16, v72 :: v_dual_lshlrev_b32 v10, 24, v73
	v_lshl_or_b32 v11, v78, 8, v77
	v_dual_lshlrev_b32 v13, 16, v79 :: v_dual_lshlrev_b32 v14, 24, v104
	;; [unrolled: 2-line block ×3, first 2 shown]
	v_or3_b32 v9, v8, v9, v10
	s_delay_alu instid0(VALU_DEP_4)
	v_or3_b32 v8, v11, v13, v14
	v_dual_lshlrev_b32 v11, 24, v21 :: v_dual_lshlrev_b32 v13, 16, v20
	v_lshl_or_b32 v14, v110, 8, v109
	v_or3_b32 v10, v15, v24, v25
	v_lshl_or_b32 v15, v122, 8, v121
	v_dual_lshlrev_b32 v16, 16, v16 :: v_dual_lshlrev_b32 v17, 24, v17
	v_lshl_or_b32 v20, v23, 8, v22
	v_dual_lshlrev_b32 v21, 16, v111 :: v_dual_lshlrev_b32 v22, 24, v120
	;; [unrolled: 2-line block ×3, first 2 shown]
	v_dual_lshlrev_b32 v2, 24, v2 :: v_dual_lshlrev_b32 v24, 16, v12
	v_lshl_or_b32 v25, v28, 8, v88
	v_or3_b32 v11, v14, v13, v11
	v_sub_nc_u32_e32 v43, v43, v52
	v_or3_b32 v13, v15, v16, v17
	v_or3_b32 v12, v20, v21, v22
	;; [unrolled: 1-line block ×4, first 2 shown]
	s_clause 0x1
	global_store_b128 v[62:63], v[8:11], off th:TH_STORE_NT
	global_store_b128 v[62:63], v[12:15], off offset:512 th:TH_STORE_NT
	v_add_nc_u64_e32 v[58:59], v[58:59], v[82:83]
	v_add_nc_u64_e32 v[60:61], v[60:61], v[82:83]
	v_cmp_gt_i32_e32 vcc_lo, 1, v43
	s_wait_xcnt 0x0
	v_add_nc_u64_e32 v[62:63], v[62:63], v[82:83]
	s_or_b32 s15, vcc_lo, s15
	s_delay_alu instid0(SALU_CYCLE_1)
	s_and_not1_b32 exec_lo, exec_lo, s15
	s_cbranch_execz .LBB4_5803
.LBB4_4811:                             ;   Parent Loop BB4_47 Depth=1
                                        ;     Parent Loop BB4_2595 Depth=2
                                        ; =>    This Inner Loop Header: Depth=3
	s_clause 0x1
	global_load_b128 v[20:23], v[58:59], off th:TH_LOAD_NT
	global_load_b128 v[12:15], v[58:59], off offset:512 th:TH_LOAD_NT
	s_clause 0x1
	global_load_b128 v[16:19], v[60:61], off th:TH_LOAD_NT
	global_load_b128 v[8:11], v[60:61], off offset:512 th:TH_LOAD_NT
	v_dual_mov_b32 v2, 0 :: v_dual_mov_b32 v26, 0
	s_mov_b32 s13, exec_lo
	s_wait_loadcnt 0x3
	v_and_b32_e32 v24, 0xff, v20
	s_wait_xcnt 0x0
	s_delay_alu instid0(VALU_DEP_1)
	v_cmpx_ne_u16_e32 0, v24
	s_cbranch_execz .LBB4_4817
; %bb.4812:                             ;   in Loop: Header=BB4_4811 Depth=3
	v_bfrev_b32_e32 v26, 1
	s_mov_b32 s44, exec_lo
	v_cmpx_ne_u16_e32 0x80, v24
	s_cbranch_execz .LBB4_4816
; %bb.4813:                             ;   in Loop: Header=BB4_4811 Depth=3
	v_and_b32_e32 v24, 0x7f, v20
	v_mov_b32_e32 v26, 0x7f800001
	s_mov_b32 s45, exec_lo
	s_delay_alu instid0(VALU_DEP_2)
	v_cmpx_ne_u32_e32 0x7f, v24
	s_cbranch_execz .LBB4_4815
; %bb.4814:                             ;   in Loop: Header=BB4_4811 Depth=3
	v_cmp_gt_u32_e32 vcc_lo, 8, v24
	v_and_b32_e32 v25, 7, v20
	s_delay_alu instid0(VALU_DEP_1) | instskip(NEXT) | instid1(VALU_DEP_1)
	v_clz_i32_u32_e32 v25, v25
	v_min_u32_e32 v25, 32, v25
	v_lshrrev_b32_e32 v26, 3, v24
	s_delay_alu instid0(VALU_DEP_2) | instskip(NEXT) | instid1(VALU_DEP_1)
	v_subrev_nc_u32_e32 v27, 28, v25
	v_dual_cndmask_b32 v24, 0, v27 :: v_dual_sub_nc_u32 v25, 29, v25
	s_delay_alu instid0(VALU_DEP_1) | instskip(NEXT) | instid1(VALU_DEP_2)
	v_cndmask_b32_e32 v26, v26, v25, vcc_lo
	v_lshlrev_b64_e32 v[24:25], v24, v[20:21]
	v_lshlrev_b32_e32 v25, 24, v20
	s_delay_alu instid0(VALU_DEP_3) | instskip(NEXT) | instid1(VALU_DEP_2)
	v_lshl_add_u32 v26, v26, 23, 0x3c000000
	v_and_b32_e32 v25, 0x80000000, v25
	s_delay_alu instid0(VALU_DEP_4) | instskip(NEXT) | instid1(VALU_DEP_1)
	v_lshlrev_b32_e32 v24, 20, v24
	v_and_b32_e32 v24, 0x700000, v24
	s_delay_alu instid0(VALU_DEP_1)
	v_or3_b32 v26, v24, v25, v26
.LBB4_4815:                             ;   in Loop: Header=BB4_4811 Depth=3
	s_or_b32 exec_lo, exec_lo, s45
.LBB4_4816:                             ;   in Loop: Header=BB4_4811 Depth=3
	s_delay_alu instid0(SALU_CYCLE_1)
	s_or_b32 exec_lo, exec_lo, s44
.LBB4_4817:                             ;   in Loop: Header=BB4_4811 Depth=3
	s_delay_alu instid0(SALU_CYCLE_1) | instskip(SKIP_3) | instid1(VALU_DEP_1)
	s_or_b32 exec_lo, exec_lo, s13
	s_wait_loadcnt 0x1
	v_and_b32_e32 v24, 0xff, v16
	s_mov_b32 s13, exec_lo
	v_cmpx_ne_u16_e32 0, v24
	s_cbranch_execz .LBB4_4823
; %bb.4818:                             ;   in Loop: Header=BB4_4811 Depth=3
	v_bfrev_b32_e32 v2, 1
	s_mov_b32 s44, exec_lo
	v_cmpx_ne_u16_e32 0x80, v24
	s_cbranch_execz .LBB4_4822
; %bb.4819:                             ;   in Loop: Header=BB4_4811 Depth=3
	v_and_b32_e32 v24, 0x7f, v16
	v_mov_b32_e32 v2, 0x7f800001
	s_mov_b32 s45, exec_lo
	s_delay_alu instid0(VALU_DEP_2)
	v_cmpx_ne_u32_e32 0x7f, v24
	s_cbranch_execz .LBB4_4821
; %bb.4820:                             ;   in Loop: Header=BB4_4811 Depth=3
	v_cmp_gt_u32_e32 vcc_lo, 8, v24
	v_and_b32_e32 v2, 7, v16
	s_delay_alu instid0(VALU_DEP_1) | instskip(NEXT) | instid1(VALU_DEP_1)
	v_clz_i32_u32_e32 v2, v2
	v_min_u32_e32 v2, 32, v2
	v_lshrrev_b32_e32 v25, 3, v24
	s_delay_alu instid0(VALU_DEP_2) | instskip(NEXT) | instid1(VALU_DEP_1)
	v_subrev_nc_u32_e32 v27, 28, v2
	v_dual_sub_nc_u32 v2, 29, v2 :: v_dual_cndmask_b32 v24, 0, v27, vcc_lo
	s_delay_alu instid0(VALU_DEP_1) | instskip(NEXT) | instid1(VALU_DEP_2)
	v_cndmask_b32_e32 v2, v25, v2, vcc_lo
	v_lshlrev_b64_e32 v[24:25], v24, v[16:17]
	v_lshlrev_b32_e32 v25, 24, v16
	s_delay_alu instid0(VALU_DEP_3) | instskip(NEXT) | instid1(VALU_DEP_2)
	v_lshl_add_u32 v2, v2, 23, 0x3c000000
	v_and_b32_e32 v25, 0x80000000, v25
	s_delay_alu instid0(VALU_DEP_4) | instskip(NEXT) | instid1(VALU_DEP_1)
	v_lshlrev_b32_e32 v24, 20, v24
	v_and_b32_e32 v24, 0x700000, v24
	s_delay_alu instid0(VALU_DEP_1)
	v_or3_b32 v2, v24, v25, v2
.LBB4_4821:                             ;   in Loop: Header=BB4_4811 Depth=3
	s_or_b32 exec_lo, exec_lo, s45
.LBB4_4822:                             ;   in Loop: Header=BB4_4811 Depth=3
	s_delay_alu instid0(SALU_CYCLE_1)
	s_or_b32 exec_lo, exec_lo, s44
.LBB4_4823:                             ;   in Loop: Header=BB4_4811 Depth=3
	s_delay_alu instid0(SALU_CYCLE_1) | instskip(NEXT) | instid1(VALU_DEP_1)
	s_or_b32 exec_lo, exec_lo, s13
	v_add_f32_e32 v24, v26, v2
                                        ; implicit-def: $vgpr77
	s_mov_b32 s13, exec_lo
	s_delay_alu instid0(VALU_DEP_1) | instskip(SKIP_1) | instid1(VALU_DEP_2)
	v_and_b32_e32 v2, 0x7f800000, v24
	v_lshrrev_b32_e32 v25, 24, v24
	v_cmpx_ne_u64_e32 0x7f800000, v[2:3]
	s_xor_b32 s44, exec_lo, s13
	s_cbranch_execz .LBB4_4837
; %bb.4824:                             ;   in Loop: Header=BB4_4811 Depth=3
	v_and_b32_e32 v2, 0x7fffffff, v24
	v_and_b32_e32 v26, 0x80, v25
                                        ; implicit-def: $vgpr77
	s_mov_b32 s13, exec_lo
	s_delay_alu instid0(VALU_DEP_2)
	v_cmpx_gt_u64_e32 0x43e00001, v[2:3]
	s_xor_b32 s45, exec_lo, s13
	s_cbranch_execz .LBB4_4834
; %bb.4825:                             ;   in Loop: Header=BB4_4811 Depth=3
	v_mov_b32_e32 v77, 0
	s_mov_b32 s74, exec_lo
	v_cmpx_ne_u32_e32 0, v24
	s_cbranch_execz .LBB4_4833
; %bb.4826:                             ;   in Loop: Header=BB4_4811 Depth=3
	v_bfe_u32 v25, v24, 23, 8
	s_delay_alu instid0(VALU_DEP_1) | instskip(SKIP_1) | instid1(VALU_DEP_2)
	v_sub_nc_u32_e32 v2, 0x79, v25
	v_cmp_gt_u32_e32 vcc_lo, 0x7a, v25
	v_cndmask_b32_e32 v2, 0, v2, vcc_lo
	v_cmp_eq_u32_e32 vcc_lo, 0, v25
	s_delay_alu instid0(VALU_DEP_2) | instskip(SKIP_1) | instid1(VALU_DEP_2)
	v_cndmask_b32_e64 v27, v2, 0x78, vcc_lo
	v_and_b32_e32 v2, 0x7fffff, v24
	v_add_nc_u32_e32 v24, 20, v27
	s_delay_alu instid0(VALU_DEP_2) | instskip(NEXT) | instid1(VALU_DEP_2)
	v_or_b32_e32 v68, 0x800000, v2
	v_lshlrev_b64_e64 v[28:29], v24, -1
	s_delay_alu instid0(VALU_DEP_2) | instskip(NEXT) | instid1(VALU_DEP_1)
	v_dual_add_nc_u32 v24, 19, v27 :: v_dual_cndmask_b32 v2, v68, v2, vcc_lo
	v_lshlrev_b64_e64 v[74:75], v24, 1
	s_delay_alu instid0(VALU_DEP_2) | instskip(NEXT) | instid1(VALU_DEP_4)
	v_lshrrev_b64 v[72:73], v27, v[2:3]
	v_bfi_b32 v29, v29, 0, 0
	v_bfi_b32 v28, v28, 0, v2
	s_delay_alu instid0(VALU_DEP_1) | instskip(NEXT) | instid1(VALU_DEP_4)
	v_cmp_eq_u64_e64 s13, v[28:29], v[74:75]
	v_mov_b64_e32 v[74:75], v[72:73]
	s_and_saveexec_b32 s75, s13
; %bb.4827:                             ;   in Loop: Header=BB4_4811 Depth=3
	v_bfe_u32 v2, v72, 20, 1
	s_delay_alu instid0(VALU_DEP_1) | instskip(NEXT) | instid1(VALU_DEP_1)
	v_add_nc_u64_e32 v[28:29], v[72:73], v[2:3]
	v_add_nc_u64_e32 v[74:75], -1, v[28:29]
; %bb.4828:                             ;   in Loop: Header=BB4_4811 Depth=3
	s_or_b32 exec_lo, exec_lo, s75
	v_add_nc_u32_e32 v2, 0xffffff81, v25
	v_lshrrev_b32_e32 v24, 23, v72
	s_mov_b32 s13, exec_lo
	s_delay_alu instid0(VALU_DEP_2) | instskip(NEXT) | instid1(VALU_DEP_1)
	v_cndmask_b32_e64 v2, v2, 0xffffff82, vcc_lo
	v_add3_u32 v25, v27, v2, v24
	v_and_b32_e32 v2, 0xfffff, v74
                                        ; implicit-def: $vgpr24
	s_delay_alu instid0(VALU_DEP_1) | instskip(NEXT) | instid1(VALU_DEP_1)
	v_dual_add_nc_u32 v27, 6, v25 :: v_dual_add_nc_u32 v2, v2, v72
                                        ; implicit-def: $vgpr72_vgpr73
	v_cmpx_ne_u32_e32 0, v27
	s_xor_b32 s13, exec_lo, s13
; %bb.4829:                             ;   in Loop: Header=BB4_4811 Depth=3
	s_delay_alu instid0(VALU_DEP_2) | instskip(SKIP_2) | instid1(VALU_DEP_2)
	v_cmp_lt_u64_e32 vcc_lo, 0xffffff, v[2:3]
	v_add_nc_u32_e32 v24, 7, v25
	v_cndmask_b32_e64 v25, 0, 1, vcc_lo
	v_cndmask_b32_e32 v24, v27, v24, vcc_lo
	s_delay_alu instid0(VALU_DEP_2)
	v_lshrrev_b64 v[72:73], v25, v[2:3]
; %bb.4830:                             ;   in Loop: Header=BB4_4811 Depth=3
	s_and_not1_saveexec_b32 s13, s13
; %bb.4831:                             ;   in Loop: Header=BB4_4811 Depth=3
	v_mov_b64_e32 v[72:73], v[2:3]
	v_bfe_u32 v24, v2, 23, 1
; %bb.4832:                             ;   in Loop: Header=BB4_4811 Depth=3
	s_or_b32 exec_lo, exec_lo, s13
	s_delay_alu instid0(VALU_DEP_2) | instskip(NEXT) | instid1(VALU_DEP_2)
	v_lshrrev_b64 v[28:29], 20, v[72:73]
	v_cmp_gt_i32_e32 vcc_lo, 16, v24
	v_min_i32_e32 v2, 15, v24
	v_cmp_eq_u32_e64 s13, 0, v24
	s_delay_alu instid0(VALU_DEP_2) | instskip(SKIP_1) | instid1(VALU_DEP_2)
	v_dual_cndmask_b32 v29, 0, v29 :: v_dual_lshlrev_b32 v2, 3, v2
	v_cndmask_b32_e32 v28, 7, v28, vcc_lo
	v_and_b32_e32 v2, 0xf8, v2
	s_delay_alu instid0(VALU_DEP_2) | instskip(NEXT) | instid1(VALU_DEP_2)
	v_cmp_eq_u64_e32 vcc_lo, 0, v[28:29]
	v_and_or_b32 v2, v28, 7, v2
	s_and_b32 s13, s13, vcc_lo
	s_delay_alu instid0(VALU_DEP_1) | instid1(SALU_CYCLE_1)
	v_cndmask_b32_e64 v2, v2, 0, s13
	s_delay_alu instid0(VALU_DEP_1)
	v_or_b32_e32 v77, v2, v26
.LBB4_4833:                             ;   in Loop: Header=BB4_4811 Depth=3
	s_or_b32 exec_lo, exec_lo, s74
                                        ; implicit-def: $vgpr26
.LBB4_4834:                             ;   in Loop: Header=BB4_4811 Depth=3
	s_and_not1_saveexec_b32 s13, s45
; %bb.4835:                             ;   in Loop: Header=BB4_4811 Depth=3
	v_or_b32_e32 v77, 0x7e, v26
; %bb.4836:                             ;   in Loop: Header=BB4_4811 Depth=3
	s_or_b32 exec_lo, exec_lo, s13
                                        ; implicit-def: $vgpr25
.LBB4_4837:                             ;   in Loop: Header=BB4_4811 Depth=3
	s_and_not1_saveexec_b32 s13, s44
; %bb.4838:                             ;   in Loop: Header=BB4_4811 Depth=3
	v_or_b32_e32 v77, 0x7f, v25
; %bb.4839:                             ;   in Loop: Header=BB4_4811 Depth=3
	s_or_b32 exec_lo, exec_lo, s13
	v_lshrrev_b16 v2, 8, v20
	v_dual_mov_b32 v26, 0 :: v_dual_mov_b32 v27, 0
	s_mov_b32 s13, exec_lo
	s_delay_alu instid0(VALU_DEP_2)
	v_cmpx_ne_u16_e32 0, v2
	s_cbranch_execz .LBB4_4847
; %bb.4840:                             ;   in Loop: Header=BB4_4811 Depth=3
	v_bfrev_b32_e32 v27, 1
	s_mov_b32 s44, exec_lo
	v_cmpx_ne_u16_e32 0x80, v2
	s_cbranch_execz .LBB4_4846
; %bb.4841:                             ;   in Loop: Header=BB4_4811 Depth=3
	v_and_b32_e32 v2, 0xffff, v2
	v_mov_b32_e32 v27, 0x7f800001
	s_mov_b32 s45, exec_lo
	s_delay_alu instid0(VALU_DEP_2) | instskip(NEXT) | instid1(VALU_DEP_1)
	v_and_b32_e32 v25, 0x7f, v2
	v_cmpx_ne_u32_e32 0x7f, v25
	s_cbranch_execz .LBB4_4845
; %bb.4842:                             ;   in Loop: Header=BB4_4811 Depth=3
	v_dual_lshrrev_b32 v24, 3, v25 :: v_dual_bitop2_b32 v2, 7, v2 bitop3:0x40
	s_mov_b32 s74, exec_lo
	v_cmpx_gt_u32_e32 8, v25
; %bb.4843:                             ;   in Loop: Header=BB4_4811 Depth=3
	s_delay_alu instid0(VALU_DEP_2) | instskip(NEXT) | instid1(VALU_DEP_1)
	v_clz_i32_u32_e32 v24, v2
	v_min_u32_e32 v24, 32, v24
	s_delay_alu instid0(VALU_DEP_1) | instskip(SKIP_1) | instid1(VALU_DEP_2)
	v_subrev_nc_u32_e32 v25, 28, v24
	v_sub_nc_u32_e32 v24, 29, v24
	v_lshlrev_b64_e32 v[28:29], v25, v[2:3]
	s_delay_alu instid0(VALU_DEP_1)
	v_and_b32_e32 v2, 7, v28
; %bb.4844:                             ;   in Loop: Header=BB4_4811 Depth=3
	s_or_b32 exec_lo, exec_lo, s74
	s_delay_alu instid0(VALU_DEP_1) | instskip(SKIP_1) | instid1(VALU_DEP_2)
	v_dual_lshlrev_b32 v25, 16, v20 :: v_dual_lshlrev_b32 v2, 20, v2
	v_lshl_add_u32 v24, v24, 23, 0x3c000000
	v_and_b32_e32 v25, 0x80000000, v25
	s_delay_alu instid0(VALU_DEP_1)
	v_or3_b32 v27, v2, v25, v24
.LBB4_4845:                             ;   in Loop: Header=BB4_4811 Depth=3
	s_or_b32 exec_lo, exec_lo, s45
.LBB4_4846:                             ;   in Loop: Header=BB4_4811 Depth=3
	s_delay_alu instid0(SALU_CYCLE_1)
	s_or_b32 exec_lo, exec_lo, s44
.LBB4_4847:                             ;   in Loop: Header=BB4_4811 Depth=3
	s_delay_alu instid0(SALU_CYCLE_1) | instskip(SKIP_2) | instid1(VALU_DEP_1)
	s_or_b32 exec_lo, exec_lo, s13
	v_lshrrev_b16 v2, 8, v16
	s_mov_b32 s13, exec_lo
	v_cmpx_ne_u16_e32 0, v2
	s_cbranch_execz .LBB4_4855
; %bb.4848:                             ;   in Loop: Header=BB4_4811 Depth=3
	v_bfrev_b32_e32 v26, 1
	s_mov_b32 s44, exec_lo
	v_cmpx_ne_u16_e32 0x80, v2
	s_cbranch_execz .LBB4_4854
; %bb.4849:                             ;   in Loop: Header=BB4_4811 Depth=3
	v_and_b32_e32 v2, 0xffff, v2
	v_mov_b32_e32 v26, 0x7f800001
	s_mov_b32 s45, exec_lo
	s_delay_alu instid0(VALU_DEP_2) | instskip(NEXT) | instid1(VALU_DEP_1)
	v_and_b32_e32 v25, 0x7f, v2
	v_cmpx_ne_u32_e32 0x7f, v25
	s_cbranch_execz .LBB4_4853
; %bb.4850:                             ;   in Loop: Header=BB4_4811 Depth=3
	v_dual_lshrrev_b32 v24, 3, v25 :: v_dual_bitop2_b32 v2, 7, v2 bitop3:0x40
	s_mov_b32 s74, exec_lo
	v_cmpx_gt_u32_e32 8, v25
; %bb.4851:                             ;   in Loop: Header=BB4_4811 Depth=3
	s_delay_alu instid0(VALU_DEP_2) | instskip(NEXT) | instid1(VALU_DEP_1)
	v_clz_i32_u32_e32 v24, v2
	v_min_u32_e32 v24, 32, v24
	s_delay_alu instid0(VALU_DEP_1) | instskip(SKIP_1) | instid1(VALU_DEP_2)
	v_subrev_nc_u32_e32 v25, 28, v24
	v_sub_nc_u32_e32 v24, 29, v24
	v_lshlrev_b64_e32 v[28:29], v25, v[2:3]
	s_delay_alu instid0(VALU_DEP_1)
	v_and_b32_e32 v2, 7, v28
; %bb.4852:                             ;   in Loop: Header=BB4_4811 Depth=3
	s_or_b32 exec_lo, exec_lo, s74
	s_delay_alu instid0(VALU_DEP_1) | instskip(SKIP_1) | instid1(VALU_DEP_2)
	v_dual_lshlrev_b32 v25, 16, v16 :: v_dual_lshlrev_b32 v2, 20, v2
	v_lshl_add_u32 v24, v24, 23, 0x3c000000
	v_and_b32_e32 v25, 0x80000000, v25
	s_delay_alu instid0(VALU_DEP_1)
	v_or3_b32 v26, v2, v25, v24
.LBB4_4853:                             ;   in Loop: Header=BB4_4811 Depth=3
	s_or_b32 exec_lo, exec_lo, s45
.LBB4_4854:                             ;   in Loop: Header=BB4_4811 Depth=3
	s_delay_alu instid0(SALU_CYCLE_1)
	s_or_b32 exec_lo, exec_lo, s44
.LBB4_4855:                             ;   in Loop: Header=BB4_4811 Depth=3
	s_delay_alu instid0(SALU_CYCLE_1) | instskip(NEXT) | instid1(VALU_DEP_1)
	s_or_b32 exec_lo, exec_lo, s13
	v_add_f32_e32 v24, v27, v26
                                        ; implicit-def: $vgpr78
	s_mov_b32 s13, exec_lo
	s_delay_alu instid0(VALU_DEP_1) | instskip(SKIP_1) | instid1(VALU_DEP_2)
	v_and_b32_e32 v2, 0x7f800000, v24
	v_lshrrev_b32_e32 v25, 24, v24
	v_cmpx_ne_u64_e32 0x7f800000, v[2:3]
	s_xor_b32 s44, exec_lo, s13
	s_cbranch_execz .LBB4_4869
; %bb.4856:                             ;   in Loop: Header=BB4_4811 Depth=3
	v_and_b32_e32 v2, 0x7fffffff, v24
	v_and_b32_e32 v26, 0x80, v25
                                        ; implicit-def: $vgpr78
	s_mov_b32 s13, exec_lo
	s_delay_alu instid0(VALU_DEP_2)
	v_cmpx_gt_u64_e32 0x43e00001, v[2:3]
	s_xor_b32 s45, exec_lo, s13
	s_cbranch_execz .LBB4_4866
; %bb.4857:                             ;   in Loop: Header=BB4_4811 Depth=3
	v_mov_b32_e32 v78, 0
	s_mov_b32 s74, exec_lo
	v_cmpx_ne_u32_e32 0, v24
	s_cbranch_execz .LBB4_4865
; %bb.4858:                             ;   in Loop: Header=BB4_4811 Depth=3
	v_bfe_u32 v25, v24, 23, 8
	s_delay_alu instid0(VALU_DEP_1) | instskip(SKIP_1) | instid1(VALU_DEP_2)
	v_sub_nc_u32_e32 v2, 0x79, v25
	v_cmp_gt_u32_e32 vcc_lo, 0x7a, v25
	v_cndmask_b32_e32 v2, 0, v2, vcc_lo
	v_cmp_eq_u32_e32 vcc_lo, 0, v25
	s_delay_alu instid0(VALU_DEP_2) | instskip(SKIP_1) | instid1(VALU_DEP_2)
	v_cndmask_b32_e64 v27, v2, 0x78, vcc_lo
	v_and_b32_e32 v2, 0x7fffff, v24
	v_add_nc_u32_e32 v24, 20, v27
	s_delay_alu instid0(VALU_DEP_2) | instskip(NEXT) | instid1(VALU_DEP_2)
	v_or_b32_e32 v68, 0x800000, v2
	v_lshlrev_b64_e64 v[28:29], v24, -1
	s_delay_alu instid0(VALU_DEP_2) | instskip(NEXT) | instid1(VALU_DEP_1)
	v_dual_add_nc_u32 v24, 19, v27 :: v_dual_cndmask_b32 v2, v68, v2, vcc_lo
	v_lshlrev_b64_e64 v[74:75], v24, 1
	s_delay_alu instid0(VALU_DEP_2) | instskip(NEXT) | instid1(VALU_DEP_4)
	v_lshrrev_b64 v[72:73], v27, v[2:3]
	v_bfi_b32 v29, v29, 0, 0
	v_bfi_b32 v28, v28, 0, v2
	s_delay_alu instid0(VALU_DEP_1) | instskip(NEXT) | instid1(VALU_DEP_4)
	v_cmp_eq_u64_e64 s13, v[28:29], v[74:75]
	v_mov_b64_e32 v[74:75], v[72:73]
	s_and_saveexec_b32 s75, s13
; %bb.4859:                             ;   in Loop: Header=BB4_4811 Depth=3
	v_bfe_u32 v2, v72, 20, 1
	s_delay_alu instid0(VALU_DEP_1) | instskip(NEXT) | instid1(VALU_DEP_1)
	v_add_nc_u64_e32 v[28:29], v[72:73], v[2:3]
	v_add_nc_u64_e32 v[74:75], -1, v[28:29]
; %bb.4860:                             ;   in Loop: Header=BB4_4811 Depth=3
	s_or_b32 exec_lo, exec_lo, s75
	v_add_nc_u32_e32 v2, 0xffffff81, v25
	v_lshrrev_b32_e32 v24, 23, v72
	s_mov_b32 s13, exec_lo
	s_delay_alu instid0(VALU_DEP_2) | instskip(NEXT) | instid1(VALU_DEP_1)
	v_cndmask_b32_e64 v2, v2, 0xffffff82, vcc_lo
	v_add3_u32 v25, v27, v2, v24
	v_and_b32_e32 v2, 0xfffff, v74
                                        ; implicit-def: $vgpr24
	s_delay_alu instid0(VALU_DEP_1) | instskip(NEXT) | instid1(VALU_DEP_1)
	v_dual_add_nc_u32 v27, 6, v25 :: v_dual_add_nc_u32 v2, v2, v72
                                        ; implicit-def: $vgpr72_vgpr73
	v_cmpx_ne_u32_e32 0, v27
	s_xor_b32 s13, exec_lo, s13
; %bb.4861:                             ;   in Loop: Header=BB4_4811 Depth=3
	s_delay_alu instid0(VALU_DEP_2) | instskip(SKIP_2) | instid1(VALU_DEP_2)
	v_cmp_lt_u64_e32 vcc_lo, 0xffffff, v[2:3]
	v_add_nc_u32_e32 v24, 7, v25
	v_cndmask_b32_e64 v25, 0, 1, vcc_lo
	v_cndmask_b32_e32 v24, v27, v24, vcc_lo
	s_delay_alu instid0(VALU_DEP_2)
	v_lshrrev_b64 v[72:73], v25, v[2:3]
; %bb.4862:                             ;   in Loop: Header=BB4_4811 Depth=3
	s_and_not1_saveexec_b32 s13, s13
; %bb.4863:                             ;   in Loop: Header=BB4_4811 Depth=3
	v_mov_b64_e32 v[72:73], v[2:3]
	v_bfe_u32 v24, v2, 23, 1
; %bb.4864:                             ;   in Loop: Header=BB4_4811 Depth=3
	s_or_b32 exec_lo, exec_lo, s13
	s_delay_alu instid0(VALU_DEP_2) | instskip(NEXT) | instid1(VALU_DEP_2)
	v_lshrrev_b64 v[28:29], 20, v[72:73]
	v_cmp_gt_i32_e32 vcc_lo, 16, v24
	v_min_i32_e32 v2, 15, v24
	v_cmp_eq_u32_e64 s13, 0, v24
	s_delay_alu instid0(VALU_DEP_2) | instskip(SKIP_1) | instid1(VALU_DEP_2)
	v_dual_cndmask_b32 v29, 0, v29 :: v_dual_lshlrev_b32 v2, 3, v2
	v_cndmask_b32_e32 v28, 7, v28, vcc_lo
	v_and_b32_e32 v2, 0xf8, v2
	s_delay_alu instid0(VALU_DEP_2) | instskip(NEXT) | instid1(VALU_DEP_2)
	v_cmp_eq_u64_e32 vcc_lo, 0, v[28:29]
	v_and_or_b32 v2, v28, 7, v2
	s_and_b32 s13, s13, vcc_lo
	s_delay_alu instid0(VALU_DEP_1) | instid1(SALU_CYCLE_1)
	v_cndmask_b32_e64 v2, v2, 0, s13
	s_delay_alu instid0(VALU_DEP_1)
	v_or_b32_e32 v78, v2, v26
.LBB4_4865:                             ;   in Loop: Header=BB4_4811 Depth=3
	s_or_b32 exec_lo, exec_lo, s74
                                        ; implicit-def: $vgpr26
.LBB4_4866:                             ;   in Loop: Header=BB4_4811 Depth=3
	s_and_not1_saveexec_b32 s13, s45
; %bb.4867:                             ;   in Loop: Header=BB4_4811 Depth=3
	v_or_b32_e32 v78, 0x7e, v26
; %bb.4868:                             ;   in Loop: Header=BB4_4811 Depth=3
	s_or_b32 exec_lo, exec_lo, s13
                                        ; implicit-def: $vgpr25
.LBB4_4869:                             ;   in Loop: Header=BB4_4811 Depth=3
	s_and_not1_saveexec_b32 s13, s44
; %bb.4870:                             ;   in Loop: Header=BB4_4811 Depth=3
	v_or_b32_e32 v78, 0x7f, v25
; %bb.4871:                             ;   in Loop: Header=BB4_4811 Depth=3
	s_or_b32 exec_lo, exec_lo, s13
	v_dual_lshrrev_b32 v24, 16, v20 :: v_dual_mov_b32 v26, 0
	v_mov_b32_e32 v27, 0
	s_mov_b32 s13, exec_lo
	s_delay_alu instid0(VALU_DEP_2) | instskip(NEXT) | instid1(VALU_DEP_1)
	v_and_b32_e32 v2, 0xff, v24
	v_cmpx_ne_u16_e32 0, v2
	s_cbranch_execz .LBB4_4879
; %bb.4872:                             ;   in Loop: Header=BB4_4811 Depth=3
	v_bfrev_b32_e32 v27, 1
	s_mov_b32 s44, exec_lo
	v_cmpx_ne_u16_e32 0x80, v2
	s_cbranch_execz .LBB4_4878
; %bb.4873:                             ;   in Loop: Header=BB4_4811 Depth=3
	v_bfe_u32 v28, v20, 16, 7
	v_mov_b32_e32 v27, 0x7f800001
	s_mov_b32 s45, exec_lo
	s_delay_alu instid0(VALU_DEP_2)
	v_cmpx_ne_u32_e32 0x7f, v28
	s_cbranch_execz .LBB4_4877
; %bb.4874:                             ;   in Loop: Header=BB4_4811 Depth=3
	v_and_b32_e32 v2, 7, v24
	v_lshrrev_b32_e32 v25, 3, v28
	s_mov_b32 s74, exec_lo
	v_cmpx_gt_u32_e32 8, v28
; %bb.4875:                             ;   in Loop: Header=BB4_4811 Depth=3
	s_delay_alu instid0(VALU_DEP_3) | instskip(NEXT) | instid1(VALU_DEP_1)
	v_clz_i32_u32_e32 v25, v2
	v_min_u32_e32 v25, 32, v25
	s_delay_alu instid0(VALU_DEP_1) | instskip(NEXT) | instid1(VALU_DEP_1)
	v_subrev_nc_u32_e32 v27, 28, v25
	v_lshlrev_b64_e32 v[28:29], v27, v[2:3]
	s_delay_alu instid0(VALU_DEP_1)
	v_dual_sub_nc_u32 v25, 29, v25 :: v_dual_bitop2_b32 v2, 7, v28 bitop3:0x40
; %bb.4876:                             ;   in Loop: Header=BB4_4811 Depth=3
	s_or_b32 exec_lo, exec_lo, s74
	s_delay_alu instid0(VALU_DEP_1) | instskip(NEXT) | instid1(VALU_DEP_2)
	v_dual_lshlrev_b32 v24, 24, v24 :: v_dual_lshlrev_b32 v2, 20, v2
	v_lshl_add_u32 v25, v25, 23, 0x3c000000
	s_delay_alu instid0(VALU_DEP_2) | instskip(NEXT) | instid1(VALU_DEP_1)
	v_and_b32_e32 v24, 0x80000000, v24
	v_or3_b32 v27, v2, v24, v25
.LBB4_4877:                             ;   in Loop: Header=BB4_4811 Depth=3
	s_or_b32 exec_lo, exec_lo, s45
.LBB4_4878:                             ;   in Loop: Header=BB4_4811 Depth=3
	s_delay_alu instid0(SALU_CYCLE_1)
	s_or_b32 exec_lo, exec_lo, s44
.LBB4_4879:                             ;   in Loop: Header=BB4_4811 Depth=3
	s_delay_alu instid0(SALU_CYCLE_1) | instskip(SKIP_2) | instid1(VALU_DEP_1)
	s_or_b32 exec_lo, exec_lo, s13
	v_lshrrev_b32_e32 v2, 16, v16
	s_mov_b32 s13, exec_lo
	v_and_b32_e32 v24, 0xff, v2
	s_delay_alu instid0(VALU_DEP_1)
	v_cmpx_ne_u16_e32 0, v24
	s_cbranch_execz .LBB4_4887
; %bb.4880:                             ;   in Loop: Header=BB4_4811 Depth=3
	v_bfrev_b32_e32 v26, 1
	s_mov_b32 s44, exec_lo
	v_cmpx_ne_u16_e32 0x80, v24
	s_cbranch_execz .LBB4_4886
; %bb.4881:                             ;   in Loop: Header=BB4_4811 Depth=3
	v_bfe_u32 v25, v16, 16, 7
	v_mov_b32_e32 v26, 0x7f800001
	s_mov_b32 s45, exec_lo
	s_delay_alu instid0(VALU_DEP_2)
	v_cmpx_ne_u32_e32 0x7f, v25
	s_cbranch_execz .LBB4_4885
; %bb.4882:                             ;   in Loop: Header=BB4_4811 Depth=3
	v_dual_lshrrev_b32 v24, 3, v25 :: v_dual_bitop2_b32 v2, 7, v2 bitop3:0x40
	s_mov_b32 s74, exec_lo
	v_cmpx_gt_u32_e32 8, v25
; %bb.4883:                             ;   in Loop: Header=BB4_4811 Depth=3
	s_delay_alu instid0(VALU_DEP_2) | instskip(NEXT) | instid1(VALU_DEP_1)
	v_clz_i32_u32_e32 v24, v2
	v_min_u32_e32 v24, 32, v24
	s_delay_alu instid0(VALU_DEP_1) | instskip(SKIP_1) | instid1(VALU_DEP_2)
	v_subrev_nc_u32_e32 v25, 28, v24
	v_sub_nc_u32_e32 v24, 29, v24
	v_lshlrev_b64_e32 v[28:29], v25, v[2:3]
	s_delay_alu instid0(VALU_DEP_1)
	v_and_b32_e32 v2, 7, v28
; %bb.4884:                             ;   in Loop: Header=BB4_4811 Depth=3
	s_or_b32 exec_lo, exec_lo, s74
	s_delay_alu instid0(VALU_DEP_1) | instskip(SKIP_1) | instid1(VALU_DEP_2)
	v_dual_lshlrev_b32 v25, 8, v16 :: v_dual_lshlrev_b32 v2, 20, v2
	v_lshl_add_u32 v24, v24, 23, 0x3c000000
	v_and_b32_e32 v25, 0x80000000, v25
	s_delay_alu instid0(VALU_DEP_1)
	v_or3_b32 v26, v2, v25, v24
.LBB4_4885:                             ;   in Loop: Header=BB4_4811 Depth=3
	s_or_b32 exec_lo, exec_lo, s45
.LBB4_4886:                             ;   in Loop: Header=BB4_4811 Depth=3
	s_delay_alu instid0(SALU_CYCLE_1)
	s_or_b32 exec_lo, exec_lo, s44
.LBB4_4887:                             ;   in Loop: Header=BB4_4811 Depth=3
	s_delay_alu instid0(SALU_CYCLE_1) | instskip(NEXT) | instid1(VALU_DEP_1)
	s_or_b32 exec_lo, exec_lo, s13
	v_add_f32_e32 v24, v27, v26
                                        ; implicit-def: $vgpr79
	s_mov_b32 s13, exec_lo
	s_delay_alu instid0(VALU_DEP_1) | instskip(SKIP_1) | instid1(VALU_DEP_2)
	v_and_b32_e32 v2, 0x7f800000, v24
	v_lshrrev_b32_e32 v25, 24, v24
	v_cmpx_ne_u64_e32 0x7f800000, v[2:3]
	s_xor_b32 s44, exec_lo, s13
	s_cbranch_execz .LBB4_4901
; %bb.4888:                             ;   in Loop: Header=BB4_4811 Depth=3
	v_and_b32_e32 v2, 0x7fffffff, v24
	v_and_b32_e32 v26, 0x80, v25
                                        ; implicit-def: $vgpr79
	s_mov_b32 s13, exec_lo
	s_delay_alu instid0(VALU_DEP_2)
	v_cmpx_gt_u64_e32 0x43e00001, v[2:3]
	s_xor_b32 s45, exec_lo, s13
	s_cbranch_execz .LBB4_4898
; %bb.4889:                             ;   in Loop: Header=BB4_4811 Depth=3
	v_mov_b32_e32 v79, 0
	s_mov_b32 s74, exec_lo
	v_cmpx_ne_u32_e32 0, v24
	s_cbranch_execz .LBB4_4897
; %bb.4890:                             ;   in Loop: Header=BB4_4811 Depth=3
	v_bfe_u32 v25, v24, 23, 8
	s_delay_alu instid0(VALU_DEP_1) | instskip(SKIP_1) | instid1(VALU_DEP_2)
	v_sub_nc_u32_e32 v2, 0x79, v25
	v_cmp_gt_u32_e32 vcc_lo, 0x7a, v25
	v_cndmask_b32_e32 v2, 0, v2, vcc_lo
	v_cmp_eq_u32_e32 vcc_lo, 0, v25
	s_delay_alu instid0(VALU_DEP_2) | instskip(SKIP_1) | instid1(VALU_DEP_2)
	v_cndmask_b32_e64 v27, v2, 0x78, vcc_lo
	v_and_b32_e32 v2, 0x7fffff, v24
	v_add_nc_u32_e32 v24, 20, v27
	s_delay_alu instid0(VALU_DEP_2) | instskip(NEXT) | instid1(VALU_DEP_2)
	v_or_b32_e32 v68, 0x800000, v2
	v_lshlrev_b64_e64 v[28:29], v24, -1
	s_delay_alu instid0(VALU_DEP_2) | instskip(NEXT) | instid1(VALU_DEP_1)
	v_dual_add_nc_u32 v24, 19, v27 :: v_dual_cndmask_b32 v2, v68, v2, vcc_lo
	v_lshlrev_b64_e64 v[74:75], v24, 1
	s_delay_alu instid0(VALU_DEP_2) | instskip(NEXT) | instid1(VALU_DEP_4)
	v_lshrrev_b64 v[72:73], v27, v[2:3]
	v_bfi_b32 v29, v29, 0, 0
	v_bfi_b32 v28, v28, 0, v2
	s_delay_alu instid0(VALU_DEP_1) | instskip(NEXT) | instid1(VALU_DEP_4)
	v_cmp_eq_u64_e64 s13, v[28:29], v[74:75]
	v_mov_b64_e32 v[74:75], v[72:73]
	s_and_saveexec_b32 s75, s13
; %bb.4891:                             ;   in Loop: Header=BB4_4811 Depth=3
	v_bfe_u32 v2, v72, 20, 1
	s_delay_alu instid0(VALU_DEP_1) | instskip(NEXT) | instid1(VALU_DEP_1)
	v_add_nc_u64_e32 v[28:29], v[72:73], v[2:3]
	v_add_nc_u64_e32 v[74:75], -1, v[28:29]
; %bb.4892:                             ;   in Loop: Header=BB4_4811 Depth=3
	s_or_b32 exec_lo, exec_lo, s75
	v_add_nc_u32_e32 v2, 0xffffff81, v25
	v_lshrrev_b32_e32 v24, 23, v72
	s_mov_b32 s13, exec_lo
	s_delay_alu instid0(VALU_DEP_2) | instskip(NEXT) | instid1(VALU_DEP_1)
	v_cndmask_b32_e64 v2, v2, 0xffffff82, vcc_lo
	v_add3_u32 v25, v27, v2, v24
	v_and_b32_e32 v2, 0xfffff, v74
                                        ; implicit-def: $vgpr24
	s_delay_alu instid0(VALU_DEP_1) | instskip(NEXT) | instid1(VALU_DEP_1)
	v_dual_add_nc_u32 v27, 6, v25 :: v_dual_add_nc_u32 v2, v2, v72
                                        ; implicit-def: $vgpr72_vgpr73
	v_cmpx_ne_u32_e32 0, v27
	s_xor_b32 s13, exec_lo, s13
; %bb.4893:                             ;   in Loop: Header=BB4_4811 Depth=3
	s_delay_alu instid0(VALU_DEP_2) | instskip(SKIP_2) | instid1(VALU_DEP_2)
	v_cmp_lt_u64_e32 vcc_lo, 0xffffff, v[2:3]
	v_add_nc_u32_e32 v24, 7, v25
	v_cndmask_b32_e64 v25, 0, 1, vcc_lo
	v_cndmask_b32_e32 v24, v27, v24, vcc_lo
	s_delay_alu instid0(VALU_DEP_2)
	v_lshrrev_b64 v[72:73], v25, v[2:3]
; %bb.4894:                             ;   in Loop: Header=BB4_4811 Depth=3
	s_and_not1_saveexec_b32 s13, s13
; %bb.4895:                             ;   in Loop: Header=BB4_4811 Depth=3
	v_mov_b64_e32 v[72:73], v[2:3]
	v_bfe_u32 v24, v2, 23, 1
; %bb.4896:                             ;   in Loop: Header=BB4_4811 Depth=3
	s_or_b32 exec_lo, exec_lo, s13
	s_delay_alu instid0(VALU_DEP_2) | instskip(NEXT) | instid1(VALU_DEP_2)
	v_lshrrev_b64 v[28:29], 20, v[72:73]
	v_cmp_gt_i32_e32 vcc_lo, 16, v24
	v_min_i32_e32 v2, 15, v24
	v_cmp_eq_u32_e64 s13, 0, v24
	s_delay_alu instid0(VALU_DEP_2) | instskip(SKIP_1) | instid1(VALU_DEP_2)
	v_dual_cndmask_b32 v29, 0, v29 :: v_dual_lshlrev_b32 v2, 3, v2
	v_cndmask_b32_e32 v28, 7, v28, vcc_lo
	v_and_b32_e32 v2, 0xf8, v2
	s_delay_alu instid0(VALU_DEP_2) | instskip(NEXT) | instid1(VALU_DEP_2)
	v_cmp_eq_u64_e32 vcc_lo, 0, v[28:29]
	v_and_or_b32 v2, v28, 7, v2
	s_and_b32 s13, s13, vcc_lo
	s_delay_alu instid0(VALU_DEP_1) | instid1(SALU_CYCLE_1)
	v_cndmask_b32_e64 v2, v2, 0, s13
	s_delay_alu instid0(VALU_DEP_1)
	v_or_b32_e32 v79, v2, v26
.LBB4_4897:                             ;   in Loop: Header=BB4_4811 Depth=3
	s_or_b32 exec_lo, exec_lo, s74
                                        ; implicit-def: $vgpr26
.LBB4_4898:                             ;   in Loop: Header=BB4_4811 Depth=3
	s_and_not1_saveexec_b32 s13, s45
; %bb.4899:                             ;   in Loop: Header=BB4_4811 Depth=3
	v_or_b32_e32 v79, 0x7e, v26
; %bb.4900:                             ;   in Loop: Header=BB4_4811 Depth=3
	s_or_b32 exec_lo, exec_lo, s13
                                        ; implicit-def: $vgpr25
.LBB4_4901:                             ;   in Loop: Header=BB4_4811 Depth=3
	s_and_not1_saveexec_b32 s13, s44
; %bb.4902:                             ;   in Loop: Header=BB4_4811 Depth=3
	v_or_b32_e32 v79, 0x7f, v25
; %bb.4903:                             ;   in Loop: Header=BB4_4811 Depth=3
	s_or_b32 exec_lo, exec_lo, s13
	v_dual_mov_b32 v26, 0 :: v_dual_mov_b32 v27, 0
	s_mov_b32 s13, exec_lo
	v_cmpx_lt_u32_e32 0xffffff, v20
	s_cbranch_execz .LBB4_4911
; %bb.4904:                             ;   in Loop: Header=BB4_4811 Depth=3
	v_lshrrev_b32_e32 v24, 24, v20
	v_bfrev_b32_e32 v27, 1
	s_mov_b32 s44, exec_lo
	s_delay_alu instid0(VALU_DEP_2)
	v_cmpx_ne_u32_e32 0x80, v24
	s_cbranch_execz .LBB4_4910
; %bb.4905:                             ;   in Loop: Header=BB4_4811 Depth=3
	v_bfe_u32 v28, v20, 24, 7
	v_mov_b32_e32 v27, 0x7f800001
	s_mov_b32 s45, exec_lo
	s_delay_alu instid0(VALU_DEP_2)
	v_cmpx_ne_u32_e32 0x7f, v28
	s_cbranch_execz .LBB4_4909
; %bb.4906:                             ;   in Loop: Header=BB4_4811 Depth=3
	v_and_b32_e32 v2, 7, v24
	v_lshrrev_b32_e32 v25, 3, v28
	s_mov_b32 s74, exec_lo
	v_cmpx_gt_u32_e32 8, v28
; %bb.4907:                             ;   in Loop: Header=BB4_4811 Depth=3
	s_delay_alu instid0(VALU_DEP_3) | instskip(NEXT) | instid1(VALU_DEP_1)
	v_clz_i32_u32_e32 v25, v2
	v_min_u32_e32 v25, 32, v25
	s_delay_alu instid0(VALU_DEP_1) | instskip(NEXT) | instid1(VALU_DEP_1)
	v_subrev_nc_u32_e32 v27, 28, v25
	v_lshlrev_b64_e32 v[28:29], v27, v[2:3]
	s_delay_alu instid0(VALU_DEP_1)
	v_dual_sub_nc_u32 v25, 29, v25 :: v_dual_bitop2_b32 v2, 7, v28 bitop3:0x40
; %bb.4908:                             ;   in Loop: Header=BB4_4811 Depth=3
	s_or_b32 exec_lo, exec_lo, s74
	s_delay_alu instid0(VALU_DEP_1) | instskip(NEXT) | instid1(VALU_DEP_2)
	v_dual_lshlrev_b32 v24, 24, v24 :: v_dual_lshlrev_b32 v2, 20, v2
	v_lshl_add_u32 v25, v25, 23, 0x3c000000
	s_delay_alu instid0(VALU_DEP_2) | instskip(NEXT) | instid1(VALU_DEP_1)
	v_and_b32_e32 v24, 0x80000000, v24
	v_or3_b32 v27, v2, v24, v25
.LBB4_4909:                             ;   in Loop: Header=BB4_4811 Depth=3
	s_or_b32 exec_lo, exec_lo, s45
.LBB4_4910:                             ;   in Loop: Header=BB4_4811 Depth=3
	s_delay_alu instid0(SALU_CYCLE_1)
	s_or_b32 exec_lo, exec_lo, s44
.LBB4_4911:                             ;   in Loop: Header=BB4_4811 Depth=3
	s_delay_alu instid0(SALU_CYCLE_1) | instskip(NEXT) | instid1(SALU_CYCLE_1)
	s_or_b32 exec_lo, exec_lo, s13
	s_mov_b32 s13, exec_lo
	v_cmpx_lt_u32_e32 0xffffff, v16
	s_cbranch_execz .LBB4_4919
; %bb.4912:                             ;   in Loop: Header=BB4_4811 Depth=3
	v_lshrrev_b32_e32 v24, 24, v16
	v_bfrev_b32_e32 v26, 1
	s_mov_b32 s44, exec_lo
	s_delay_alu instid0(VALU_DEP_2)
	v_cmpx_ne_u32_e32 0x80, v24
	s_cbranch_execz .LBB4_4918
; %bb.4913:                             ;   in Loop: Header=BB4_4811 Depth=3
	v_bfe_u32 v28, v16, 24, 7
	v_mov_b32_e32 v26, 0x7f800001
	s_mov_b32 s45, exec_lo
	s_delay_alu instid0(VALU_DEP_2)
	v_cmpx_ne_u32_e32 0x7f, v28
	s_cbranch_execz .LBB4_4917
; %bb.4914:                             ;   in Loop: Header=BB4_4811 Depth=3
	v_and_b32_e32 v2, 7, v24
	v_lshrrev_b32_e32 v25, 3, v28
	s_mov_b32 s74, exec_lo
	v_cmpx_gt_u32_e32 8, v28
; %bb.4915:                             ;   in Loop: Header=BB4_4811 Depth=3
	s_delay_alu instid0(VALU_DEP_3) | instskip(NEXT) | instid1(VALU_DEP_1)
	v_clz_i32_u32_e32 v25, v2
	v_min_u32_e32 v25, 32, v25
	s_delay_alu instid0(VALU_DEP_1) | instskip(NEXT) | instid1(VALU_DEP_1)
	v_subrev_nc_u32_e32 v26, 28, v25
	v_lshlrev_b64_e32 v[28:29], v26, v[2:3]
	s_delay_alu instid0(VALU_DEP_1)
	v_dual_sub_nc_u32 v25, 29, v25 :: v_dual_bitop2_b32 v2, 7, v28 bitop3:0x40
; %bb.4916:                             ;   in Loop: Header=BB4_4811 Depth=3
	s_or_b32 exec_lo, exec_lo, s74
	s_delay_alu instid0(VALU_DEP_1) | instskip(NEXT) | instid1(VALU_DEP_2)
	v_dual_lshlrev_b32 v24, 24, v24 :: v_dual_lshlrev_b32 v2, 20, v2
	v_lshl_add_u32 v25, v25, 23, 0x3c000000
	s_delay_alu instid0(VALU_DEP_2) | instskip(NEXT) | instid1(VALU_DEP_1)
	v_and_b32_e32 v24, 0x80000000, v24
	v_or3_b32 v26, v2, v24, v25
.LBB4_4917:                             ;   in Loop: Header=BB4_4811 Depth=3
	s_or_b32 exec_lo, exec_lo, s45
.LBB4_4918:                             ;   in Loop: Header=BB4_4811 Depth=3
	s_delay_alu instid0(SALU_CYCLE_1)
	s_or_b32 exec_lo, exec_lo, s44
.LBB4_4919:                             ;   in Loop: Header=BB4_4811 Depth=3
	s_delay_alu instid0(SALU_CYCLE_1) | instskip(NEXT) | instid1(VALU_DEP_1)
	s_or_b32 exec_lo, exec_lo, s13
	v_add_f32_e32 v24, v27, v26
                                        ; implicit-def: $vgpr104
	s_mov_b32 s13, exec_lo
	s_delay_alu instid0(VALU_DEP_1) | instskip(SKIP_1) | instid1(VALU_DEP_2)
	v_and_b32_e32 v2, 0x7f800000, v24
	v_lshrrev_b32_e32 v25, 24, v24
	v_cmpx_ne_u64_e32 0x7f800000, v[2:3]
	s_xor_b32 s44, exec_lo, s13
	s_cbranch_execz .LBB4_4933
; %bb.4920:                             ;   in Loop: Header=BB4_4811 Depth=3
	v_and_b32_e32 v2, 0x7fffffff, v24
	v_and_b32_e32 v26, 0x80, v25
                                        ; implicit-def: $vgpr104
	s_mov_b32 s13, exec_lo
	s_delay_alu instid0(VALU_DEP_2)
	v_cmpx_gt_u64_e32 0x43e00001, v[2:3]
	s_xor_b32 s45, exec_lo, s13
	s_cbranch_execz .LBB4_4930
; %bb.4921:                             ;   in Loop: Header=BB4_4811 Depth=3
	v_mov_b32_e32 v104, 0
	s_mov_b32 s74, exec_lo
	v_cmpx_ne_u32_e32 0, v24
	s_cbranch_execz .LBB4_4929
; %bb.4922:                             ;   in Loop: Header=BB4_4811 Depth=3
	v_bfe_u32 v25, v24, 23, 8
	s_delay_alu instid0(VALU_DEP_1) | instskip(SKIP_1) | instid1(VALU_DEP_2)
	v_sub_nc_u32_e32 v2, 0x79, v25
	v_cmp_gt_u32_e32 vcc_lo, 0x7a, v25
	v_cndmask_b32_e32 v2, 0, v2, vcc_lo
	v_cmp_eq_u32_e32 vcc_lo, 0, v25
	s_delay_alu instid0(VALU_DEP_2) | instskip(SKIP_1) | instid1(VALU_DEP_2)
	v_cndmask_b32_e64 v27, v2, 0x78, vcc_lo
	v_and_b32_e32 v2, 0x7fffff, v24
	v_add_nc_u32_e32 v24, 20, v27
	s_delay_alu instid0(VALU_DEP_2) | instskip(NEXT) | instid1(VALU_DEP_2)
	v_or_b32_e32 v68, 0x800000, v2
	v_lshlrev_b64_e64 v[28:29], v24, -1
	s_delay_alu instid0(VALU_DEP_2) | instskip(NEXT) | instid1(VALU_DEP_1)
	v_dual_add_nc_u32 v24, 19, v27 :: v_dual_cndmask_b32 v2, v68, v2, vcc_lo
	v_lshlrev_b64_e64 v[74:75], v24, 1
	s_delay_alu instid0(VALU_DEP_2) | instskip(NEXT) | instid1(VALU_DEP_4)
	v_lshrrev_b64 v[72:73], v27, v[2:3]
	v_bfi_b32 v29, v29, 0, 0
	v_bfi_b32 v28, v28, 0, v2
	s_delay_alu instid0(VALU_DEP_1) | instskip(NEXT) | instid1(VALU_DEP_4)
	v_cmp_eq_u64_e64 s13, v[28:29], v[74:75]
	v_mov_b64_e32 v[74:75], v[72:73]
	s_and_saveexec_b32 s75, s13
; %bb.4923:                             ;   in Loop: Header=BB4_4811 Depth=3
	v_bfe_u32 v2, v72, 20, 1
	s_delay_alu instid0(VALU_DEP_1) | instskip(NEXT) | instid1(VALU_DEP_1)
	v_add_nc_u64_e32 v[28:29], v[72:73], v[2:3]
	v_add_nc_u64_e32 v[74:75], -1, v[28:29]
; %bb.4924:                             ;   in Loop: Header=BB4_4811 Depth=3
	s_or_b32 exec_lo, exec_lo, s75
	v_add_nc_u32_e32 v2, 0xffffff81, v25
	v_lshrrev_b32_e32 v24, 23, v72
	s_mov_b32 s13, exec_lo
	s_delay_alu instid0(VALU_DEP_2) | instskip(NEXT) | instid1(VALU_DEP_1)
	v_cndmask_b32_e64 v2, v2, 0xffffff82, vcc_lo
	v_add3_u32 v25, v27, v2, v24
	v_and_b32_e32 v2, 0xfffff, v74
                                        ; implicit-def: $vgpr24
	s_delay_alu instid0(VALU_DEP_1) | instskip(NEXT) | instid1(VALU_DEP_1)
	v_dual_add_nc_u32 v27, 6, v25 :: v_dual_add_nc_u32 v2, v2, v72
                                        ; implicit-def: $vgpr72_vgpr73
	v_cmpx_ne_u32_e32 0, v27
	s_xor_b32 s13, exec_lo, s13
; %bb.4925:                             ;   in Loop: Header=BB4_4811 Depth=3
	s_delay_alu instid0(VALU_DEP_2) | instskip(SKIP_2) | instid1(VALU_DEP_2)
	v_cmp_lt_u64_e32 vcc_lo, 0xffffff, v[2:3]
	v_add_nc_u32_e32 v24, 7, v25
	v_cndmask_b32_e64 v25, 0, 1, vcc_lo
	v_cndmask_b32_e32 v24, v27, v24, vcc_lo
	s_delay_alu instid0(VALU_DEP_2)
	v_lshrrev_b64 v[72:73], v25, v[2:3]
; %bb.4926:                             ;   in Loop: Header=BB4_4811 Depth=3
	s_and_not1_saveexec_b32 s13, s13
; %bb.4927:                             ;   in Loop: Header=BB4_4811 Depth=3
	v_mov_b64_e32 v[72:73], v[2:3]
	v_bfe_u32 v24, v2, 23, 1
; %bb.4928:                             ;   in Loop: Header=BB4_4811 Depth=3
	s_or_b32 exec_lo, exec_lo, s13
	s_delay_alu instid0(VALU_DEP_2) | instskip(NEXT) | instid1(VALU_DEP_2)
	v_lshrrev_b64 v[28:29], 20, v[72:73]
	v_cmp_gt_i32_e32 vcc_lo, 16, v24
	v_min_i32_e32 v2, 15, v24
	v_cmp_eq_u32_e64 s13, 0, v24
	s_delay_alu instid0(VALU_DEP_2) | instskip(SKIP_1) | instid1(VALU_DEP_2)
	v_dual_cndmask_b32 v29, 0, v29 :: v_dual_lshlrev_b32 v2, 3, v2
	v_cndmask_b32_e32 v28, 7, v28, vcc_lo
	v_and_b32_e32 v2, 0xf8, v2
	s_delay_alu instid0(VALU_DEP_2) | instskip(NEXT) | instid1(VALU_DEP_2)
	v_cmp_eq_u64_e32 vcc_lo, 0, v[28:29]
	v_and_or_b32 v2, v28, 7, v2
	s_and_b32 s13, s13, vcc_lo
	s_delay_alu instid0(VALU_DEP_1) | instid1(SALU_CYCLE_1)
	v_cndmask_b32_e64 v2, v2, 0, s13
	s_delay_alu instid0(VALU_DEP_1)
	v_or_b32_e32 v104, v2, v26
.LBB4_4929:                             ;   in Loop: Header=BB4_4811 Depth=3
	s_or_b32 exec_lo, exec_lo, s74
                                        ; implicit-def: $vgpr26
.LBB4_4930:                             ;   in Loop: Header=BB4_4811 Depth=3
	s_and_not1_saveexec_b32 s13, s45
; %bb.4931:                             ;   in Loop: Header=BB4_4811 Depth=3
	v_or_b32_e32 v104, 0x7e, v26
; %bb.4932:                             ;   in Loop: Header=BB4_4811 Depth=3
	s_or_b32 exec_lo, exec_lo, s13
                                        ; implicit-def: $vgpr25
.LBB4_4933:                             ;   in Loop: Header=BB4_4811 Depth=3
	s_and_not1_saveexec_b32 s13, s44
; %bb.4934:                             ;   in Loop: Header=BB4_4811 Depth=3
	v_or_b32_e32 v104, 0x7f, v25
; %bb.4935:                             ;   in Loop: Header=BB4_4811 Depth=3
	s_or_b32 exec_lo, exec_lo, s13
	v_and_b32_e32 v24, 0xff, v21
	v_dual_mov_b32 v2, v21 :: v_dual_mov_b32 v27, 0
	v_mov_b32_e32 v26, 0
	s_mov_b32 s13, exec_lo
	s_delay_alu instid0(VALU_DEP_3)
	v_cmpx_ne_u16_e32 0, v24
	s_cbranch_execz .LBB4_4941
; %bb.4936:                             ;   in Loop: Header=BB4_4811 Depth=3
	v_bfrev_b32_e32 v26, 1
	s_mov_b32 s44, exec_lo
	v_cmpx_ne_u16_e32 0x80, v24
	s_cbranch_execz .LBB4_4940
; %bb.4937:                             ;   in Loop: Header=BB4_4811 Depth=3
	v_and_b32_e32 v24, 0x7f, v21
	v_mov_b32_e32 v26, 0x7f800001
	s_mov_b32 s45, exec_lo
	s_delay_alu instid0(VALU_DEP_2)
	v_cmpx_ne_u32_e32 0x7f, v24
	s_cbranch_execz .LBB4_4939
; %bb.4938:                             ;   in Loop: Header=BB4_4811 Depth=3
	v_dual_lshrrev_b32 v26, 3, v24 :: v_dual_bitop2_b32 v25, 7, v21 bitop3:0x40
	v_cmp_gt_u32_e32 vcc_lo, 8, v24
	s_delay_alu instid0(VALU_DEP_2) | instskip(NEXT) | instid1(VALU_DEP_1)
	v_clz_i32_u32_e32 v25, v25
	v_min_u32_e32 v25, 32, v25
	s_delay_alu instid0(VALU_DEP_1) | instskip(NEXT) | instid1(VALU_DEP_1)
	v_subrev_nc_u32_e32 v28, 28, v25
	v_dual_cndmask_b32 v24, 0, v28 :: v_dual_sub_nc_u32 v25, 29, v25
	s_delay_alu instid0(VALU_DEP_1) | instskip(NEXT) | instid1(VALU_DEP_2)
	v_cndmask_b32_e32 v26, v26, v25, vcc_lo
	v_lshlrev_b64_e32 v[24:25], v24, v[2:3]
	v_lshlrev_b32_e32 v25, 24, v2
	s_delay_alu instid0(VALU_DEP_3) | instskip(NEXT) | instid1(VALU_DEP_2)
	v_lshl_add_u32 v26, v26, 23, 0x3c000000
	v_and_b32_e32 v25, 0x80000000, v25
	s_delay_alu instid0(VALU_DEP_4) | instskip(NEXT) | instid1(VALU_DEP_1)
	v_lshlrev_b32_e32 v24, 20, v24
	v_and_b32_e32 v24, 0x700000, v24
	s_delay_alu instid0(VALU_DEP_1)
	v_or3_b32 v26, v24, v25, v26
.LBB4_4939:                             ;   in Loop: Header=BB4_4811 Depth=3
	s_or_b32 exec_lo, exec_lo, s45
.LBB4_4940:                             ;   in Loop: Header=BB4_4811 Depth=3
	s_delay_alu instid0(SALU_CYCLE_1)
	s_or_b32 exec_lo, exec_lo, s44
.LBB4_4941:                             ;   in Loop: Header=BB4_4811 Depth=3
	s_delay_alu instid0(SALU_CYCLE_1) | instskip(SKIP_2) | instid1(VALU_DEP_1)
	s_or_b32 exec_lo, exec_lo, s13
	v_and_b32_e32 v24, 0xff, v17
	s_mov_b32 s13, exec_lo
	v_cmpx_ne_u16_e32 0, v24
	s_cbranch_execz .LBB4_4947
; %bb.4942:                             ;   in Loop: Header=BB4_4811 Depth=3
	v_bfrev_b32_e32 v27, 1
	s_mov_b32 s44, exec_lo
	v_cmpx_ne_u16_e32 0x80, v24
	s_cbranch_execz .LBB4_4946
; %bb.4943:                             ;   in Loop: Header=BB4_4811 Depth=3
	v_and_b32_e32 v24, 0x7f, v17
	v_mov_b32_e32 v27, 0x7f800001
	s_mov_b32 s45, exec_lo
	s_delay_alu instid0(VALU_DEP_2)
	v_cmpx_ne_u32_e32 0x7f, v24
	s_cbranch_execz .LBB4_4945
; %bb.4944:                             ;   in Loop: Header=BB4_4811 Depth=3
	v_dual_lshrrev_b32 v27, 3, v24 :: v_dual_bitop2_b32 v25, 7, v17 bitop3:0x40
	v_cmp_gt_u32_e32 vcc_lo, 8, v24
	v_mov_b32_e32 v24, v17
	s_delay_alu instid0(VALU_DEP_3) | instskip(NEXT) | instid1(VALU_DEP_1)
	v_clz_i32_u32_e32 v25, v25
	v_min_u32_e32 v25, 32, v25
	s_delay_alu instid0(VALU_DEP_1) | instskip(SKIP_2) | instid1(VALU_DEP_2)
	v_sub_nc_u32_e32 v28, 29, v25
	v_subrev_nc_u32_e32 v29, 28, v25
	v_mov_b32_e32 v25, v3
	v_dual_cndmask_b32 v27, v27, v28 :: v_dual_cndmask_b32 v28, 0, v29
	s_delay_alu instid0(VALU_DEP_1) | instskip(SKIP_1) | instid1(VALU_DEP_1)
	v_lshlrev_b64_e32 v[28:29], v28, v[24:25]
	v_lshlrev_b32_e32 v24, 24, v24
	v_and_b32_e32 v24, 0x80000000, v24
	s_delay_alu instid0(VALU_DEP_3) | instskip(SKIP_1) | instid1(VALU_DEP_2)
	v_lshlrev_b32_e32 v25, 20, v28
	v_lshl_add_u32 v27, v27, 23, 0x3c000000
	v_and_b32_e32 v25, 0x700000, v25
	s_delay_alu instid0(VALU_DEP_1)
	v_or3_b32 v27, v25, v24, v27
.LBB4_4945:                             ;   in Loop: Header=BB4_4811 Depth=3
	s_or_b32 exec_lo, exec_lo, s45
.LBB4_4946:                             ;   in Loop: Header=BB4_4811 Depth=3
	s_delay_alu instid0(SALU_CYCLE_1)
	s_or_b32 exec_lo, exec_lo, s44
.LBB4_4947:                             ;   in Loop: Header=BB4_4811 Depth=3
	s_delay_alu instid0(SALU_CYCLE_1) | instskip(NEXT) | instid1(VALU_DEP_1)
	s_or_b32 exec_lo, exec_lo, s13
	v_dual_add_f32 v24, v26, v27 :: v_dual_mov_b32 v27, v3
                                        ; implicit-def: $vgpr105
	s_mov_b32 s13, exec_lo
	s_delay_alu instid0(VALU_DEP_1) | instskip(SKIP_1) | instid1(VALU_DEP_2)
	v_and_b32_e32 v26, 0x7f800000, v24
	v_lshrrev_b32_e32 v25, 24, v24
	v_cmpx_ne_u64_e32 0x7f800000, v[26:27]
	s_xor_b32 s44, exec_lo, s13
	s_cbranch_execz .LBB4_4961
; %bb.4948:                             ;   in Loop: Header=BB4_4811 Depth=3
	v_and_b32_e32 v26, 0x7fffffff, v24
	v_mov_b32_e32 v27, v3
                                        ; implicit-def: $vgpr105
	s_delay_alu instid0(VALU_DEP_1) | instskip(SKIP_2) | instid1(SALU_CYCLE_1)
	v_cmp_gt_u64_e32 vcc_lo, 0x43e00001, v[26:27]
	v_and_b32_e32 v26, 0x80, v25
	s_and_saveexec_b32 s13, vcc_lo
	s_xor_b32 s45, exec_lo, s13
	s_cbranch_execz .LBB4_4958
; %bb.4949:                             ;   in Loop: Header=BB4_4811 Depth=3
	v_mov_b32_e32 v105, 0
	s_mov_b32 s74, exec_lo
	v_cmpx_ne_u32_e32 0, v24
	s_cbranch_execz .LBB4_4957
; %bb.4950:                             ;   in Loop: Header=BB4_4811 Depth=3
	v_bfe_u32 v25, v24, 23, 8
	v_and_b32_e32 v24, 0x7fffff, v24
	v_mov_b32_e32 v73, v3
	s_delay_alu instid0(VALU_DEP_3) | instskip(NEXT) | instid1(VALU_DEP_3)
	v_cmp_gt_u32_e32 vcc_lo, 0x7a, v25
	v_or_b32_e32 v68, 0x800000, v24
	v_sub_nc_u32_e32 v27, 0x79, v25
	s_delay_alu instid0(VALU_DEP_1) | instskip(SKIP_1) | instid1(VALU_DEP_2)
	v_cndmask_b32_e32 v27, 0, v27, vcc_lo
	v_cmp_eq_u32_e32 vcc_lo, 0, v25
	v_cndmask_b32_e64 v27, v27, 0x78, vcc_lo
	s_delay_alu instid0(VALU_DEP_1) | instskip(SKIP_1) | instid1(VALU_DEP_2)
	v_dual_cndmask_b32 v72, v68, v24, vcc_lo :: v_dual_add_nc_u32 v28, 20, v27
	v_add_nc_u32_e32 v69, 19, v27
	v_lshlrev_b64_e64 v[28:29], v28, -1
	s_delay_alu instid0(VALU_DEP_2) | instskip(NEXT) | instid1(VALU_DEP_2)
	v_lshlrev_b64_e64 v[74:75], v69, 1
	v_bfi_b32 v28, v28, 0, v72
	v_lshrrev_b64 v[72:73], v27, v[72:73]
	s_delay_alu instid0(VALU_DEP_4) | instskip(NEXT) | instid1(VALU_DEP_1)
	v_bfi_b32 v29, v29, 0, 0
	v_cmp_eq_u64_e64 s13, v[28:29], v[74:75]
	s_delay_alu instid0(VALU_DEP_3)
	v_mov_b64_e32 v[74:75], v[72:73]
	s_and_saveexec_b32 s75, s13
; %bb.4951:                             ;   in Loop: Header=BB4_4811 Depth=3
	v_bfe_u32 v28, v72, 20, 1
	v_mov_b32_e32 v29, v3
	s_delay_alu instid0(VALU_DEP_1) | instskip(NEXT) | instid1(VALU_DEP_1)
	v_add_nc_u64_e32 v[28:29], v[72:73], v[28:29]
	v_add_nc_u64_e32 v[74:75], -1, v[28:29]
; %bb.4952:                             ;   in Loop: Header=BB4_4811 Depth=3
	s_or_b32 exec_lo, exec_lo, s75
	v_dual_mov_b32 v73, v3 :: v_dual_add_nc_u32 v24, 0xffffff81, v25
	v_lshrrev_b32_e32 v25, 23, v72
	s_mov_b32 s13, exec_lo
	s_delay_alu instid0(VALU_DEP_2) | instskip(NEXT) | instid1(VALU_DEP_1)
	v_cndmask_b32_e64 v24, v24, 0xffffff82, vcc_lo
	v_add3_u32 v25, v27, v24, v25
	v_and_b32_e32 v24, 0xfffff, v74
	s_delay_alu instid0(VALU_DEP_1) | instskip(NEXT) | instid1(VALU_DEP_1)
	v_dual_add_nc_u32 v27, 6, v25 :: v_dual_add_nc_u32 v72, v24, v72
                                        ; implicit-def: $vgpr24
	v_cmpx_ne_u32_e32 0, v27
	s_xor_b32 s13, exec_lo, s13
; %bb.4953:                             ;   in Loop: Header=BB4_4811 Depth=3
	s_delay_alu instid0(VALU_DEP_2) | instskip(SKIP_2) | instid1(VALU_DEP_2)
	v_cmp_lt_u64_e32 vcc_lo, 0xffffff, v[72:73]
	v_add_nc_u32_e32 v24, 7, v25
	v_cndmask_b32_e64 v25, 0, 1, vcc_lo
	v_cndmask_b32_e32 v24, v27, v24, vcc_lo
	s_delay_alu instid0(VALU_DEP_2)
	v_lshrrev_b64 v[72:73], v25, v[72:73]
; %bb.4954:                             ;   in Loop: Header=BB4_4811 Depth=3
	s_and_not1_saveexec_b32 s13, s13
; %bb.4955:                             ;   in Loop: Header=BB4_4811 Depth=3
	s_delay_alu instid0(VALU_DEP_1)
	v_bfe_u32 v24, v72, 23, 1
; %bb.4956:                             ;   in Loop: Header=BB4_4811 Depth=3
	s_or_b32 exec_lo, exec_lo, s13
	s_delay_alu instid0(VALU_DEP_2) | instskip(NEXT) | instid1(VALU_DEP_2)
	v_lshrrev_b64 v[28:29], 20, v[72:73]
	v_cmp_gt_i32_e32 vcc_lo, 16, v24
	v_min_i32_e32 v25, 15, v24
	v_cmp_eq_u32_e64 s13, 0, v24
	s_delay_alu instid0(VALU_DEP_4) | instskip(NEXT) | instid1(VALU_DEP_3)
	v_cndmask_b32_e32 v29, 0, v29, vcc_lo
	v_dual_cndmask_b32 v28, 7, v28 :: v_dual_lshlrev_b32 v25, 3, v25
	s_delay_alu instid0(VALU_DEP_1) | instskip(NEXT) | instid1(VALU_DEP_2)
	v_and_b32_e32 v25, 0xf8, v25
	v_cmp_eq_u64_e32 vcc_lo, 0, v[28:29]
	s_delay_alu instid0(VALU_DEP_2)
	v_and_or_b32 v24, v28, 7, v25
	s_and_b32 s13, s13, vcc_lo
	s_delay_alu instid0(VALU_DEP_1) | instid1(SALU_CYCLE_1)
	v_cndmask_b32_e64 v24, v24, 0, s13
	s_delay_alu instid0(VALU_DEP_1)
	v_or_b32_e32 v105, v24, v26
.LBB4_4957:                             ;   in Loop: Header=BB4_4811 Depth=3
	s_or_b32 exec_lo, exec_lo, s74
                                        ; implicit-def: $vgpr26
.LBB4_4958:                             ;   in Loop: Header=BB4_4811 Depth=3
	s_and_not1_saveexec_b32 s13, s45
; %bb.4959:                             ;   in Loop: Header=BB4_4811 Depth=3
	v_or_b32_e32 v105, 0x7e, v26
; %bb.4960:                             ;   in Loop: Header=BB4_4811 Depth=3
	s_or_b32 exec_lo, exec_lo, s13
                                        ; implicit-def: $vgpr25
.LBB4_4961:                             ;   in Loop: Header=BB4_4811 Depth=3
	s_and_not1_saveexec_b32 s13, s44
; %bb.4962:                             ;   in Loop: Header=BB4_4811 Depth=3
	v_or_b32_e32 v105, 0x7f, v25
; %bb.4963:                             ;   in Loop: Header=BB4_4811 Depth=3
	s_or_b32 exec_lo, exec_lo, s13
	v_lshrrev_b16 v24, 8, v2
	v_dual_mov_b32 v26, 0 :: v_dual_mov_b32 v27, 0
	s_mov_b32 s13, exec_lo
	s_delay_alu instid0(VALU_DEP_2)
	v_cmpx_ne_u16_e32 0, v24
	s_cbranch_execz .LBB4_4971
; %bb.4964:                             ;   in Loop: Header=BB4_4811 Depth=3
	v_bfrev_b32_e32 v27, 1
	s_mov_b32 s44, exec_lo
	v_cmpx_ne_u16_e32 0x80, v24
	s_cbranch_execz .LBB4_4970
; %bb.4965:                             ;   in Loop: Header=BB4_4811 Depth=3
	v_and_b32_e32 v24, 0xffff, v24
	v_mov_b32_e32 v27, 0x7f800001
	s_mov_b32 s45, exec_lo
	s_delay_alu instid0(VALU_DEP_2) | instskip(NEXT) | instid1(VALU_DEP_1)
	v_and_b32_e32 v25, 0x7f, v24
	v_cmpx_ne_u32_e32 0x7f, v25
	s_cbranch_execz .LBB4_4969
; %bb.4966:                             ;   in Loop: Header=BB4_4811 Depth=3
	v_dual_mov_b32 v73, v3 :: v_dual_bitop2_b32 v72, 7, v24 bitop3:0x40
	v_lshrrev_b32_e32 v24, 3, v25
	s_mov_b32 s74, exec_lo
	v_cmpx_gt_u32_e32 8, v25
; %bb.4967:                             ;   in Loop: Header=BB4_4811 Depth=3
	s_delay_alu instid0(VALU_DEP_3) | instskip(NEXT) | instid1(VALU_DEP_1)
	v_clz_i32_u32_e32 v24, v72
	v_min_u32_e32 v24, 32, v24
	s_delay_alu instid0(VALU_DEP_1) | instskip(SKIP_1) | instid1(VALU_DEP_2)
	v_subrev_nc_u32_e32 v25, 28, v24
	v_sub_nc_u32_e32 v24, 29, v24
	v_lshlrev_b64_e32 v[28:29], v25, v[72:73]
	s_delay_alu instid0(VALU_DEP_1)
	v_and_b32_e32 v72, 7, v28
; %bb.4968:                             ;   in Loop: Header=BB4_4811 Depth=3
	s_or_b32 exec_lo, exec_lo, s74
	s_delay_alu instid0(VALU_DEP_1) | instskip(SKIP_1) | instid1(VALU_DEP_2)
	v_dual_lshlrev_b32 v2, 16, v2 :: v_dual_lshlrev_b32 v25, 20, v72
	v_lshl_add_u32 v24, v24, 23, 0x3c000000
	v_and_b32_e32 v2, 0x80000000, v2
	s_delay_alu instid0(VALU_DEP_1)
	v_or3_b32 v27, v25, v2, v24
.LBB4_4969:                             ;   in Loop: Header=BB4_4811 Depth=3
	s_or_b32 exec_lo, exec_lo, s45
.LBB4_4970:                             ;   in Loop: Header=BB4_4811 Depth=3
	s_delay_alu instid0(SALU_CYCLE_1)
	s_or_b32 exec_lo, exec_lo, s44
.LBB4_4971:                             ;   in Loop: Header=BB4_4811 Depth=3
	s_delay_alu instid0(SALU_CYCLE_1) | instskip(SKIP_2) | instid1(VALU_DEP_1)
	s_or_b32 exec_lo, exec_lo, s13
	v_lshrrev_b16 v2, 8, v17
	s_mov_b32 s13, exec_lo
	v_cmpx_ne_u16_e32 0, v2
	s_cbranch_execz .LBB4_4979
; %bb.4972:                             ;   in Loop: Header=BB4_4811 Depth=3
	v_bfrev_b32_e32 v26, 1
	s_mov_b32 s44, exec_lo
	v_cmpx_ne_u16_e32 0x80, v2
	s_cbranch_execz .LBB4_4978
; %bb.4973:                             ;   in Loop: Header=BB4_4811 Depth=3
	v_and_b32_e32 v2, 0xffff, v2
	v_mov_b32_e32 v26, 0x7f800001
	s_mov_b32 s45, exec_lo
	s_delay_alu instid0(VALU_DEP_2) | instskip(NEXT) | instid1(VALU_DEP_1)
	v_and_b32_e32 v25, 0x7f, v2
	v_cmpx_ne_u32_e32 0x7f, v25
	s_cbranch_execz .LBB4_4977
; %bb.4974:                             ;   in Loop: Header=BB4_4811 Depth=3
	v_dual_lshrrev_b32 v24, 3, v25 :: v_dual_bitop2_b32 v2, 7, v2 bitop3:0x40
	s_mov_b32 s74, exec_lo
	v_cmpx_gt_u32_e32 8, v25
; %bb.4975:                             ;   in Loop: Header=BB4_4811 Depth=3
	s_delay_alu instid0(VALU_DEP_2) | instskip(NEXT) | instid1(VALU_DEP_1)
	v_clz_i32_u32_e32 v24, v2
	v_min_u32_e32 v24, 32, v24
	s_delay_alu instid0(VALU_DEP_1) | instskip(SKIP_1) | instid1(VALU_DEP_2)
	v_subrev_nc_u32_e32 v25, 28, v24
	v_sub_nc_u32_e32 v24, 29, v24
	v_lshlrev_b64_e32 v[28:29], v25, v[2:3]
	s_delay_alu instid0(VALU_DEP_1)
	v_and_b32_e32 v2, 7, v28
; %bb.4976:                             ;   in Loop: Header=BB4_4811 Depth=3
	s_or_b32 exec_lo, exec_lo, s74
	s_delay_alu instid0(VALU_DEP_1) | instskip(SKIP_1) | instid1(VALU_DEP_2)
	v_dual_lshlrev_b32 v25, 16, v17 :: v_dual_lshlrev_b32 v2, 20, v2
	v_lshl_add_u32 v24, v24, 23, 0x3c000000
	v_and_b32_e32 v25, 0x80000000, v25
	s_delay_alu instid0(VALU_DEP_1)
	v_or3_b32 v26, v2, v25, v24
.LBB4_4977:                             ;   in Loop: Header=BB4_4811 Depth=3
	s_or_b32 exec_lo, exec_lo, s45
.LBB4_4978:                             ;   in Loop: Header=BB4_4811 Depth=3
	s_delay_alu instid0(SALU_CYCLE_1)
	s_or_b32 exec_lo, exec_lo, s44
.LBB4_4979:                             ;   in Loop: Header=BB4_4811 Depth=3
	s_delay_alu instid0(SALU_CYCLE_1) | instskip(NEXT) | instid1(VALU_DEP_1)
	s_or_b32 exec_lo, exec_lo, s13
	v_add_f32_e32 v24, v27, v26
                                        ; implicit-def: $vgpr106
	s_mov_b32 s13, exec_lo
	s_delay_alu instid0(VALU_DEP_1) | instskip(SKIP_1) | instid1(VALU_DEP_2)
	v_and_b32_e32 v2, 0x7f800000, v24
	v_lshrrev_b32_e32 v25, 24, v24
	v_cmpx_ne_u64_e32 0x7f800000, v[2:3]
	s_xor_b32 s44, exec_lo, s13
	s_cbranch_execz .LBB4_4993
; %bb.4980:                             ;   in Loop: Header=BB4_4811 Depth=3
	v_and_b32_e32 v2, 0x7fffffff, v24
	v_and_b32_e32 v26, 0x80, v25
                                        ; implicit-def: $vgpr106
	s_mov_b32 s13, exec_lo
	s_delay_alu instid0(VALU_DEP_2)
	v_cmpx_gt_u64_e32 0x43e00001, v[2:3]
	s_xor_b32 s45, exec_lo, s13
	s_cbranch_execz .LBB4_4990
; %bb.4981:                             ;   in Loop: Header=BB4_4811 Depth=3
	v_mov_b32_e32 v106, 0
	s_mov_b32 s74, exec_lo
	v_cmpx_ne_u32_e32 0, v24
	s_cbranch_execz .LBB4_4989
; %bb.4982:                             ;   in Loop: Header=BB4_4811 Depth=3
	v_bfe_u32 v25, v24, 23, 8
	s_delay_alu instid0(VALU_DEP_1) | instskip(SKIP_1) | instid1(VALU_DEP_2)
	v_sub_nc_u32_e32 v2, 0x79, v25
	v_cmp_gt_u32_e32 vcc_lo, 0x7a, v25
	v_cndmask_b32_e32 v2, 0, v2, vcc_lo
	v_cmp_eq_u32_e32 vcc_lo, 0, v25
	s_delay_alu instid0(VALU_DEP_2) | instskip(SKIP_1) | instid1(VALU_DEP_2)
	v_cndmask_b32_e64 v27, v2, 0x78, vcc_lo
	v_and_b32_e32 v2, 0x7fffff, v24
	v_add_nc_u32_e32 v24, 20, v27
	s_delay_alu instid0(VALU_DEP_2) | instskip(NEXT) | instid1(VALU_DEP_2)
	v_or_b32_e32 v68, 0x800000, v2
	v_lshlrev_b64_e64 v[28:29], v24, -1
	s_delay_alu instid0(VALU_DEP_2) | instskip(NEXT) | instid1(VALU_DEP_1)
	v_dual_add_nc_u32 v24, 19, v27 :: v_dual_cndmask_b32 v2, v68, v2, vcc_lo
	v_lshlrev_b64_e64 v[74:75], v24, 1
	s_delay_alu instid0(VALU_DEP_2) | instskip(NEXT) | instid1(VALU_DEP_4)
	v_lshrrev_b64 v[72:73], v27, v[2:3]
	v_bfi_b32 v29, v29, 0, 0
	v_bfi_b32 v28, v28, 0, v2
	s_delay_alu instid0(VALU_DEP_1) | instskip(NEXT) | instid1(VALU_DEP_4)
	v_cmp_eq_u64_e64 s13, v[28:29], v[74:75]
	v_mov_b64_e32 v[74:75], v[72:73]
	s_and_saveexec_b32 s75, s13
; %bb.4983:                             ;   in Loop: Header=BB4_4811 Depth=3
	v_bfe_u32 v2, v72, 20, 1
	s_delay_alu instid0(VALU_DEP_1) | instskip(NEXT) | instid1(VALU_DEP_1)
	v_add_nc_u64_e32 v[28:29], v[72:73], v[2:3]
	v_add_nc_u64_e32 v[74:75], -1, v[28:29]
; %bb.4984:                             ;   in Loop: Header=BB4_4811 Depth=3
	s_or_b32 exec_lo, exec_lo, s75
	v_add_nc_u32_e32 v2, 0xffffff81, v25
	v_lshrrev_b32_e32 v24, 23, v72
	s_mov_b32 s13, exec_lo
	s_delay_alu instid0(VALU_DEP_2) | instskip(NEXT) | instid1(VALU_DEP_1)
	v_cndmask_b32_e64 v2, v2, 0xffffff82, vcc_lo
	v_add3_u32 v25, v27, v2, v24
	v_and_b32_e32 v2, 0xfffff, v74
                                        ; implicit-def: $vgpr24
	s_delay_alu instid0(VALU_DEP_1) | instskip(NEXT) | instid1(VALU_DEP_1)
	v_dual_add_nc_u32 v27, 6, v25 :: v_dual_add_nc_u32 v2, v2, v72
                                        ; implicit-def: $vgpr72_vgpr73
	v_cmpx_ne_u32_e32 0, v27
	s_xor_b32 s13, exec_lo, s13
; %bb.4985:                             ;   in Loop: Header=BB4_4811 Depth=3
	s_delay_alu instid0(VALU_DEP_2) | instskip(SKIP_2) | instid1(VALU_DEP_2)
	v_cmp_lt_u64_e32 vcc_lo, 0xffffff, v[2:3]
	v_add_nc_u32_e32 v24, 7, v25
	v_cndmask_b32_e64 v25, 0, 1, vcc_lo
	v_cndmask_b32_e32 v24, v27, v24, vcc_lo
	s_delay_alu instid0(VALU_DEP_2)
	v_lshrrev_b64 v[72:73], v25, v[2:3]
; %bb.4986:                             ;   in Loop: Header=BB4_4811 Depth=3
	s_and_not1_saveexec_b32 s13, s13
; %bb.4987:                             ;   in Loop: Header=BB4_4811 Depth=3
	v_mov_b64_e32 v[72:73], v[2:3]
	v_bfe_u32 v24, v2, 23, 1
; %bb.4988:                             ;   in Loop: Header=BB4_4811 Depth=3
	s_or_b32 exec_lo, exec_lo, s13
	s_delay_alu instid0(VALU_DEP_2) | instskip(NEXT) | instid1(VALU_DEP_2)
	v_lshrrev_b64 v[28:29], 20, v[72:73]
	v_cmp_gt_i32_e32 vcc_lo, 16, v24
	v_min_i32_e32 v2, 15, v24
	v_cmp_eq_u32_e64 s13, 0, v24
	s_delay_alu instid0(VALU_DEP_2) | instskip(SKIP_1) | instid1(VALU_DEP_2)
	v_dual_cndmask_b32 v29, 0, v29 :: v_dual_lshlrev_b32 v2, 3, v2
	v_cndmask_b32_e32 v28, 7, v28, vcc_lo
	v_and_b32_e32 v2, 0xf8, v2
	s_delay_alu instid0(VALU_DEP_2) | instskip(NEXT) | instid1(VALU_DEP_2)
	v_cmp_eq_u64_e32 vcc_lo, 0, v[28:29]
	v_and_or_b32 v2, v28, 7, v2
	s_and_b32 s13, s13, vcc_lo
	s_delay_alu instid0(VALU_DEP_1) | instid1(SALU_CYCLE_1)
	v_cndmask_b32_e64 v2, v2, 0, s13
	s_delay_alu instid0(VALU_DEP_1)
	v_or_b32_e32 v106, v2, v26
.LBB4_4989:                             ;   in Loop: Header=BB4_4811 Depth=3
	s_or_b32 exec_lo, exec_lo, s74
                                        ; implicit-def: $vgpr26
.LBB4_4990:                             ;   in Loop: Header=BB4_4811 Depth=3
	s_and_not1_saveexec_b32 s13, s45
; %bb.4991:                             ;   in Loop: Header=BB4_4811 Depth=3
	v_or_b32_e32 v106, 0x7e, v26
; %bb.4992:                             ;   in Loop: Header=BB4_4811 Depth=3
	s_or_b32 exec_lo, exec_lo, s13
                                        ; implicit-def: $vgpr25
.LBB4_4993:                             ;   in Loop: Header=BB4_4811 Depth=3
	s_and_not1_saveexec_b32 s13, s44
; %bb.4994:                             ;   in Loop: Header=BB4_4811 Depth=3
	v_or_b32_e32 v106, 0x7f, v25
; %bb.4995:                             ;   in Loop: Header=BB4_4811 Depth=3
	s_or_b32 exec_lo, exec_lo, s13
	v_dual_lshrrev_b32 v24, 16, v21 :: v_dual_mov_b32 v26, 0
	v_mov_b32_e32 v27, 0
	s_mov_b32 s13, exec_lo
	s_delay_alu instid0(VALU_DEP_2) | instskip(NEXT) | instid1(VALU_DEP_1)
	v_and_b32_e32 v2, 0xff, v24
	v_cmpx_ne_u16_e32 0, v2
	s_cbranch_execz .LBB4_5003
; %bb.4996:                             ;   in Loop: Header=BB4_4811 Depth=3
	v_bfrev_b32_e32 v27, 1
	s_mov_b32 s44, exec_lo
	v_cmpx_ne_u16_e32 0x80, v2
	s_cbranch_execz .LBB4_5002
; %bb.4997:                             ;   in Loop: Header=BB4_4811 Depth=3
	v_bfe_u32 v28, v21, 16, 7
	v_mov_b32_e32 v27, 0x7f800001
	s_mov_b32 s45, exec_lo
	s_delay_alu instid0(VALU_DEP_2)
	v_cmpx_ne_u32_e32 0x7f, v28
	s_cbranch_execz .LBB4_5001
; %bb.4998:                             ;   in Loop: Header=BB4_4811 Depth=3
	v_and_b32_e32 v2, 7, v24
	v_lshrrev_b32_e32 v25, 3, v28
	s_mov_b32 s74, exec_lo
	v_cmpx_gt_u32_e32 8, v28
; %bb.4999:                             ;   in Loop: Header=BB4_4811 Depth=3
	s_delay_alu instid0(VALU_DEP_3) | instskip(NEXT) | instid1(VALU_DEP_1)
	v_clz_i32_u32_e32 v25, v2
	v_min_u32_e32 v25, 32, v25
	s_delay_alu instid0(VALU_DEP_1) | instskip(NEXT) | instid1(VALU_DEP_1)
	v_subrev_nc_u32_e32 v27, 28, v25
	v_lshlrev_b64_e32 v[28:29], v27, v[2:3]
	s_delay_alu instid0(VALU_DEP_1)
	v_dual_sub_nc_u32 v25, 29, v25 :: v_dual_bitop2_b32 v2, 7, v28 bitop3:0x40
; %bb.5000:                             ;   in Loop: Header=BB4_4811 Depth=3
	s_or_b32 exec_lo, exec_lo, s74
	s_delay_alu instid0(VALU_DEP_1) | instskip(NEXT) | instid1(VALU_DEP_2)
	v_dual_lshlrev_b32 v24, 24, v24 :: v_dual_lshlrev_b32 v2, 20, v2
	v_lshl_add_u32 v25, v25, 23, 0x3c000000
	s_delay_alu instid0(VALU_DEP_2) | instskip(NEXT) | instid1(VALU_DEP_1)
	v_and_b32_e32 v24, 0x80000000, v24
	v_or3_b32 v27, v2, v24, v25
.LBB4_5001:                             ;   in Loop: Header=BB4_4811 Depth=3
	s_or_b32 exec_lo, exec_lo, s45
.LBB4_5002:                             ;   in Loop: Header=BB4_4811 Depth=3
	s_delay_alu instid0(SALU_CYCLE_1)
	s_or_b32 exec_lo, exec_lo, s44
.LBB4_5003:                             ;   in Loop: Header=BB4_4811 Depth=3
	s_delay_alu instid0(SALU_CYCLE_1) | instskip(SKIP_2) | instid1(VALU_DEP_1)
	s_or_b32 exec_lo, exec_lo, s13
	v_lshrrev_b32_e32 v2, 16, v17
	s_mov_b32 s13, exec_lo
	v_and_b32_e32 v24, 0xff, v2
	s_delay_alu instid0(VALU_DEP_1)
	v_cmpx_ne_u16_e32 0, v24
	s_cbranch_execz .LBB4_5011
; %bb.5004:                             ;   in Loop: Header=BB4_4811 Depth=3
	v_bfrev_b32_e32 v26, 1
	s_mov_b32 s44, exec_lo
	v_cmpx_ne_u16_e32 0x80, v24
	s_cbranch_execz .LBB4_5010
; %bb.5005:                             ;   in Loop: Header=BB4_4811 Depth=3
	v_bfe_u32 v25, v17, 16, 7
	v_mov_b32_e32 v26, 0x7f800001
	s_mov_b32 s45, exec_lo
	s_delay_alu instid0(VALU_DEP_2)
	v_cmpx_ne_u32_e32 0x7f, v25
	s_cbranch_execz .LBB4_5009
; %bb.5006:                             ;   in Loop: Header=BB4_4811 Depth=3
	v_dual_lshrrev_b32 v24, 3, v25 :: v_dual_bitop2_b32 v2, 7, v2 bitop3:0x40
	s_mov_b32 s74, exec_lo
	v_cmpx_gt_u32_e32 8, v25
; %bb.5007:                             ;   in Loop: Header=BB4_4811 Depth=3
	s_delay_alu instid0(VALU_DEP_2) | instskip(NEXT) | instid1(VALU_DEP_1)
	v_clz_i32_u32_e32 v24, v2
	v_min_u32_e32 v24, 32, v24
	s_delay_alu instid0(VALU_DEP_1) | instskip(SKIP_1) | instid1(VALU_DEP_2)
	v_subrev_nc_u32_e32 v25, 28, v24
	v_sub_nc_u32_e32 v24, 29, v24
	v_lshlrev_b64_e32 v[28:29], v25, v[2:3]
	s_delay_alu instid0(VALU_DEP_1)
	v_and_b32_e32 v2, 7, v28
; %bb.5008:                             ;   in Loop: Header=BB4_4811 Depth=3
	s_or_b32 exec_lo, exec_lo, s74
	s_delay_alu instid0(VALU_DEP_1) | instskip(SKIP_1) | instid1(VALU_DEP_2)
	v_dual_lshlrev_b32 v25, 8, v17 :: v_dual_lshlrev_b32 v2, 20, v2
	v_lshl_add_u32 v24, v24, 23, 0x3c000000
	v_and_b32_e32 v25, 0x80000000, v25
	s_delay_alu instid0(VALU_DEP_1)
	v_or3_b32 v26, v2, v25, v24
.LBB4_5009:                             ;   in Loop: Header=BB4_4811 Depth=3
	s_or_b32 exec_lo, exec_lo, s45
.LBB4_5010:                             ;   in Loop: Header=BB4_4811 Depth=3
	s_delay_alu instid0(SALU_CYCLE_1)
	s_or_b32 exec_lo, exec_lo, s44
.LBB4_5011:                             ;   in Loop: Header=BB4_4811 Depth=3
	s_delay_alu instid0(SALU_CYCLE_1) | instskip(NEXT) | instid1(VALU_DEP_1)
	s_or_b32 exec_lo, exec_lo, s13
	v_add_f32_e32 v24, v27, v26
                                        ; implicit-def: $vgpr72
	s_mov_b32 s13, exec_lo
	s_delay_alu instid0(VALU_DEP_1) | instskip(SKIP_1) | instid1(VALU_DEP_2)
	v_and_b32_e32 v2, 0x7f800000, v24
	v_lshrrev_b32_e32 v25, 24, v24
	v_cmpx_ne_u64_e32 0x7f800000, v[2:3]
	s_xor_b32 s44, exec_lo, s13
	s_cbranch_execz .LBB4_5025
; %bb.5012:                             ;   in Loop: Header=BB4_4811 Depth=3
	v_and_b32_e32 v2, 0x7fffffff, v24
	v_and_b32_e32 v26, 0x80, v25
                                        ; implicit-def: $vgpr72
	s_mov_b32 s13, exec_lo
	s_delay_alu instid0(VALU_DEP_2)
	v_cmpx_gt_u64_e32 0x43e00001, v[2:3]
	s_xor_b32 s45, exec_lo, s13
	s_cbranch_execz .LBB4_5022
; %bb.5013:                             ;   in Loop: Header=BB4_4811 Depth=3
	v_mov_b32_e32 v72, 0
	s_mov_b32 s74, exec_lo
	v_cmpx_ne_u32_e32 0, v24
	s_cbranch_execz .LBB4_5021
; %bb.5014:                             ;   in Loop: Header=BB4_4811 Depth=3
	v_bfe_u32 v25, v24, 23, 8
	s_delay_alu instid0(VALU_DEP_1) | instskip(SKIP_1) | instid1(VALU_DEP_2)
	v_sub_nc_u32_e32 v2, 0x79, v25
	v_cmp_gt_u32_e32 vcc_lo, 0x7a, v25
	v_cndmask_b32_e32 v2, 0, v2, vcc_lo
	v_cmp_eq_u32_e32 vcc_lo, 0, v25
	s_delay_alu instid0(VALU_DEP_2) | instskip(SKIP_1) | instid1(VALU_DEP_2)
	v_cndmask_b32_e64 v27, v2, 0x78, vcc_lo
	v_and_b32_e32 v2, 0x7fffff, v24
	v_add_nc_u32_e32 v24, 20, v27
	s_delay_alu instid0(VALU_DEP_2) | instskip(NEXT) | instid1(VALU_DEP_2)
	v_or_b32_e32 v68, 0x800000, v2
	v_lshlrev_b64_e64 v[28:29], v24, -1
	s_delay_alu instid0(VALU_DEP_2) | instskip(NEXT) | instid1(VALU_DEP_1)
	v_dual_add_nc_u32 v24, 19, v27 :: v_dual_cndmask_b32 v2, v68, v2, vcc_lo
	v_lshlrev_b64_e64 v[74:75], v24, 1
	s_delay_alu instid0(VALU_DEP_2) | instskip(NEXT) | instid1(VALU_DEP_4)
	v_lshrrev_b64 v[72:73], v27, v[2:3]
	v_bfi_b32 v29, v29, 0, 0
	v_bfi_b32 v28, v28, 0, v2
	s_delay_alu instid0(VALU_DEP_1) | instskip(NEXT) | instid1(VALU_DEP_4)
	v_cmp_eq_u64_e64 s13, v[28:29], v[74:75]
	v_mov_b64_e32 v[74:75], v[72:73]
	s_and_saveexec_b32 s75, s13
; %bb.5015:                             ;   in Loop: Header=BB4_4811 Depth=3
	v_bfe_u32 v2, v72, 20, 1
	s_delay_alu instid0(VALU_DEP_1) | instskip(NEXT) | instid1(VALU_DEP_1)
	v_add_nc_u64_e32 v[28:29], v[72:73], v[2:3]
	v_add_nc_u64_e32 v[74:75], -1, v[28:29]
; %bb.5016:                             ;   in Loop: Header=BB4_4811 Depth=3
	s_or_b32 exec_lo, exec_lo, s75
	v_add_nc_u32_e32 v2, 0xffffff81, v25
	v_lshrrev_b32_e32 v24, 23, v72
	s_mov_b32 s13, exec_lo
	s_delay_alu instid0(VALU_DEP_2) | instskip(NEXT) | instid1(VALU_DEP_1)
	v_cndmask_b32_e64 v2, v2, 0xffffff82, vcc_lo
	v_add3_u32 v25, v27, v2, v24
	v_and_b32_e32 v2, 0xfffff, v74
                                        ; implicit-def: $vgpr24
	s_delay_alu instid0(VALU_DEP_1) | instskip(NEXT) | instid1(VALU_DEP_1)
	v_dual_add_nc_u32 v27, 6, v25 :: v_dual_add_nc_u32 v2, v2, v72
                                        ; implicit-def: $vgpr72_vgpr73
	v_cmpx_ne_u32_e32 0, v27
	s_xor_b32 s13, exec_lo, s13
; %bb.5017:                             ;   in Loop: Header=BB4_4811 Depth=3
	s_delay_alu instid0(VALU_DEP_2) | instskip(SKIP_2) | instid1(VALU_DEP_2)
	v_cmp_lt_u64_e32 vcc_lo, 0xffffff, v[2:3]
	v_add_nc_u32_e32 v24, 7, v25
	v_cndmask_b32_e64 v25, 0, 1, vcc_lo
	v_cndmask_b32_e32 v24, v27, v24, vcc_lo
	s_delay_alu instid0(VALU_DEP_2)
	v_lshrrev_b64 v[72:73], v25, v[2:3]
; %bb.5018:                             ;   in Loop: Header=BB4_4811 Depth=3
	s_and_not1_saveexec_b32 s13, s13
; %bb.5019:                             ;   in Loop: Header=BB4_4811 Depth=3
	v_mov_b64_e32 v[72:73], v[2:3]
	v_bfe_u32 v24, v2, 23, 1
; %bb.5020:                             ;   in Loop: Header=BB4_4811 Depth=3
	s_or_b32 exec_lo, exec_lo, s13
	s_delay_alu instid0(VALU_DEP_2) | instskip(NEXT) | instid1(VALU_DEP_2)
	v_lshrrev_b64 v[28:29], 20, v[72:73]
	v_cmp_gt_i32_e32 vcc_lo, 16, v24
	v_min_i32_e32 v2, 15, v24
	v_cmp_eq_u32_e64 s13, 0, v24
	s_delay_alu instid0(VALU_DEP_2) | instskip(SKIP_1) | instid1(VALU_DEP_2)
	v_dual_cndmask_b32 v29, 0, v29 :: v_dual_lshlrev_b32 v2, 3, v2
	v_cndmask_b32_e32 v28, 7, v28, vcc_lo
	v_and_b32_e32 v2, 0xf8, v2
	s_delay_alu instid0(VALU_DEP_2) | instskip(NEXT) | instid1(VALU_DEP_2)
	v_cmp_eq_u64_e32 vcc_lo, 0, v[28:29]
	v_and_or_b32 v2, v28, 7, v2
	s_and_b32 s13, s13, vcc_lo
	s_delay_alu instid0(VALU_DEP_1) | instid1(SALU_CYCLE_1)
	v_cndmask_b32_e64 v2, v2, 0, s13
	s_delay_alu instid0(VALU_DEP_1)
	v_or_b32_e32 v72, v2, v26
.LBB4_5021:                             ;   in Loop: Header=BB4_4811 Depth=3
	s_or_b32 exec_lo, exec_lo, s74
                                        ; implicit-def: $vgpr26
.LBB4_5022:                             ;   in Loop: Header=BB4_4811 Depth=3
	s_and_not1_saveexec_b32 s13, s45
; %bb.5023:                             ;   in Loop: Header=BB4_4811 Depth=3
	v_or_b32_e32 v72, 0x7e, v26
; %bb.5024:                             ;   in Loop: Header=BB4_4811 Depth=3
	s_or_b32 exec_lo, exec_lo, s13
                                        ; implicit-def: $vgpr25
.LBB4_5025:                             ;   in Loop: Header=BB4_4811 Depth=3
	s_and_not1_saveexec_b32 s13, s44
; %bb.5026:                             ;   in Loop: Header=BB4_4811 Depth=3
	v_or_b32_e32 v72, 0x7f, v25
; %bb.5027:                             ;   in Loop: Header=BB4_4811 Depth=3
	s_or_b32 exec_lo, exec_lo, s13
	v_cmp_lt_u64_e32 vcc_lo, s[22:23], v[20:21]
	v_dual_mov_b32 v20, 0 :: v_dual_mov_b32 v26, 0
	s_and_saveexec_b32 s13, vcc_lo
	s_cbranch_execz .LBB4_5035
; %bb.5028:                             ;   in Loop: Header=BB4_4811 Depth=3
	v_lshrrev_b32_e32 v24, 24, v21
	v_bfrev_b32_e32 v26, 1
	s_mov_b32 s44, exec_lo
	s_delay_alu instid0(VALU_DEP_2)
	v_cmpx_ne_u32_e32 0x80, v24
	s_cbranch_execz .LBB4_5034
; %bb.5029:                             ;   in Loop: Header=BB4_4811 Depth=3
	v_bfe_u32 v25, v21, 24, 7
	v_mov_b32_e32 v26, 0x7f800001
	s_mov_b32 s45, exec_lo
	s_delay_alu instid0(VALU_DEP_2)
	v_cmpx_ne_u32_e32 0x7f, v25
	s_cbranch_execz .LBB4_5033
; %bb.5030:                             ;   in Loop: Header=BB4_4811 Depth=3
	v_dual_lshrrev_b32 v21, 3, v25 :: v_dual_bitop2_b32 v2, 7, v24 bitop3:0x40
	s_mov_b32 s74, exec_lo
	v_cmpx_gt_u32_e32 8, v25
; %bb.5031:                             ;   in Loop: Header=BB4_4811 Depth=3
	s_delay_alu instid0(VALU_DEP_2) | instskip(NEXT) | instid1(VALU_DEP_1)
	v_clz_i32_u32_e32 v21, v2
	v_min_u32_e32 v21, 32, v21
	s_delay_alu instid0(VALU_DEP_1) | instskip(NEXT) | instid1(VALU_DEP_1)
	v_subrev_nc_u32_e32 v25, 28, v21
	v_lshlrev_b64_e32 v[26:27], v25, v[2:3]
	s_delay_alu instid0(VALU_DEP_1)
	v_dual_sub_nc_u32 v21, 29, v21 :: v_dual_bitop2_b32 v2, 7, v26 bitop3:0x40
; %bb.5032:                             ;   in Loop: Header=BB4_4811 Depth=3
	s_or_b32 exec_lo, exec_lo, s74
	s_delay_alu instid0(VALU_DEP_1) | instskip(NEXT) | instid1(VALU_DEP_2)
	v_dual_lshlrev_b32 v24, 24, v24 :: v_dual_lshlrev_b32 v2, 20, v2
	v_lshl_add_u32 v21, v21, 23, 0x3c000000
	s_delay_alu instid0(VALU_DEP_2) | instskip(NEXT) | instid1(VALU_DEP_1)
	v_and_b32_e32 v24, 0x80000000, v24
	v_or3_b32 v26, v2, v24, v21
.LBB4_5033:                             ;   in Loop: Header=BB4_4811 Depth=3
	s_or_b32 exec_lo, exec_lo, s45
.LBB4_5034:                             ;   in Loop: Header=BB4_4811 Depth=3
	s_delay_alu instid0(SALU_CYCLE_1)
	s_or_b32 exec_lo, exec_lo, s44
.LBB4_5035:                             ;   in Loop: Header=BB4_4811 Depth=3
	s_delay_alu instid0(SALU_CYCLE_1) | instskip(NEXT) | instid1(SALU_CYCLE_1)
	s_or_b32 exec_lo, exec_lo, s13
	s_mov_b32 s13, exec_lo
	v_cmpx_lt_u64_e64 s[22:23], v[16:17]
	s_cbranch_execz .LBB4_5043
; %bb.5036:                             ;   in Loop: Header=BB4_4811 Depth=3
	v_lshrrev_b32_e32 v16, 24, v17
	v_bfrev_b32_e32 v20, 1
	s_mov_b32 s44, exec_lo
	s_delay_alu instid0(VALU_DEP_2)
	v_cmpx_ne_u32_e32 0x80, v16
	s_cbranch_execz .LBB4_5042
; %bb.5037:                             ;   in Loop: Header=BB4_4811 Depth=3
	v_bfe_u32 v21, v17, 24, 7
	v_mov_b32_e32 v20, 0x7f800001
	s_mov_b32 s45, exec_lo
	s_delay_alu instid0(VALU_DEP_2)
	v_cmpx_ne_u32_e32 0x7f, v21
	s_cbranch_execz .LBB4_5041
; %bb.5038:                             ;   in Loop: Header=BB4_4811 Depth=3
	v_dual_lshrrev_b32 v17, 3, v21 :: v_dual_bitop2_b32 v2, 7, v16 bitop3:0x40
	s_mov_b32 s74, exec_lo
	v_cmpx_gt_u32_e32 8, v21
; %bb.5039:                             ;   in Loop: Header=BB4_4811 Depth=3
	s_delay_alu instid0(VALU_DEP_2) | instskip(NEXT) | instid1(VALU_DEP_1)
	v_clz_i32_u32_e32 v17, v2
	v_min_u32_e32 v17, 32, v17
	s_delay_alu instid0(VALU_DEP_1) | instskip(NEXT) | instid1(VALU_DEP_1)
	v_subrev_nc_u32_e32 v20, 28, v17
	v_lshlrev_b64_e32 v[20:21], v20, v[2:3]
	s_delay_alu instid0(VALU_DEP_1)
	v_dual_sub_nc_u32 v17, 29, v17 :: v_dual_bitop2_b32 v2, 7, v20 bitop3:0x40
; %bb.5040:                             ;   in Loop: Header=BB4_4811 Depth=3
	s_or_b32 exec_lo, exec_lo, s74
	s_delay_alu instid0(VALU_DEP_1) | instskip(NEXT) | instid1(VALU_DEP_2)
	v_dual_lshlrev_b32 v16, 24, v16 :: v_dual_lshlrev_b32 v2, 20, v2
	v_lshl_add_u32 v17, v17, 23, 0x3c000000
	s_delay_alu instid0(VALU_DEP_2) | instskip(NEXT) | instid1(VALU_DEP_1)
	v_and_b32_e32 v16, 0x80000000, v16
	v_or3_b32 v20, v2, v16, v17
.LBB4_5041:                             ;   in Loop: Header=BB4_4811 Depth=3
	s_or_b32 exec_lo, exec_lo, s45
.LBB4_5042:                             ;   in Loop: Header=BB4_4811 Depth=3
	s_delay_alu instid0(SALU_CYCLE_1)
	s_or_b32 exec_lo, exec_lo, s44
.LBB4_5043:                             ;   in Loop: Header=BB4_4811 Depth=3
	s_delay_alu instid0(SALU_CYCLE_1) | instskip(NEXT) | instid1(VALU_DEP_1)
	s_or_b32 exec_lo, exec_lo, s13
	v_add_f32_e32 v16, v26, v20
                                        ; implicit-def: $vgpr73
	s_mov_b32 s13, exec_lo
	s_delay_alu instid0(VALU_DEP_1) | instskip(SKIP_1) | instid1(VALU_DEP_2)
	v_and_b32_e32 v2, 0x7f800000, v16
	v_lshrrev_b32_e32 v17, 24, v16
	v_cmpx_ne_u64_e32 0x7f800000, v[2:3]
	s_xor_b32 s44, exec_lo, s13
	s_cbranch_execz .LBB4_5057
; %bb.5044:                             ;   in Loop: Header=BB4_4811 Depth=3
	v_and_b32_e32 v2, 0x7fffffff, v16
	v_and_b32_e32 v26, 0x80, v17
                                        ; implicit-def: $vgpr73
	s_mov_b32 s13, exec_lo
	s_delay_alu instid0(VALU_DEP_2)
	v_cmpx_gt_u64_e32 0x43e00001, v[2:3]
	s_xor_b32 s45, exec_lo, s13
	s_cbranch_execz .LBB4_5054
; %bb.5045:                             ;   in Loop: Header=BB4_4811 Depth=3
	v_mov_b32_e32 v73, 0
	s_mov_b32 s74, exec_lo
	v_cmpx_ne_u32_e32 0, v16
	s_cbranch_execz .LBB4_5053
; %bb.5046:                             ;   in Loop: Header=BB4_4811 Depth=3
	v_bfe_u32 v24, v16, 23, 8
	s_delay_alu instid0(VALU_DEP_1) | instskip(SKIP_1) | instid1(VALU_DEP_2)
	v_sub_nc_u32_e32 v2, 0x79, v24
	v_cmp_gt_u32_e32 vcc_lo, 0x7a, v24
	v_cndmask_b32_e32 v2, 0, v2, vcc_lo
	v_cmp_eq_u32_e32 vcc_lo, 0, v24
	s_delay_alu instid0(VALU_DEP_2) | instskip(SKIP_1) | instid1(VALU_DEP_2)
	v_cndmask_b32_e64 v25, v2, 0x78, vcc_lo
	v_and_b32_e32 v2, 0x7fffff, v16
	v_add_nc_u32_e32 v16, 20, v25
	s_delay_alu instid0(VALU_DEP_2) | instskip(SKIP_1) | instid1(VALU_DEP_3)
	v_or_b32_e32 v20, 0x800000, v2
	v_add_nc_u32_e32 v21, 19, v25
	v_lshlrev_b64_e64 v[16:17], v16, -1
	s_delay_alu instid0(VALU_DEP_3) | instskip(NEXT) | instid1(VALU_DEP_3)
	v_cndmask_b32_e32 v2, v20, v2, vcc_lo
	v_lshlrev_b64_e64 v[20:21], v21, 1
	s_delay_alu instid0(VALU_DEP_3) | instskip(NEXT) | instid1(VALU_DEP_3)
	v_bfi_b32 v29, v17, 0, 0
	v_bfi_b32 v28, v16, 0, v2
	v_lshrrev_b64 v[16:17], v25, v[2:3]
	s_delay_alu instid0(VALU_DEP_2) | instskip(NEXT) | instid1(VALU_DEP_2)
	v_cmp_eq_u64_e64 s13, v[28:29], v[20:21]
	v_mov_b64_e32 v[20:21], v[16:17]
	s_and_saveexec_b32 s75, s13
; %bb.5047:                             ;   in Loop: Header=BB4_4811 Depth=3
	v_bfe_u32 v2, v16, 20, 1
	s_delay_alu instid0(VALU_DEP_1) | instskip(NEXT) | instid1(VALU_DEP_1)
	v_add_nc_u64_e32 v[20:21], v[16:17], v[2:3]
	v_add_nc_u64_e32 v[20:21], -1, v[20:21]
; %bb.5048:                             ;   in Loop: Header=BB4_4811 Depth=3
	s_or_b32 exec_lo, exec_lo, s75
	v_add_nc_u32_e32 v2, 0xffffff81, v24
	v_lshrrev_b32_e32 v17, 23, v16
	s_mov_b32 s13, exec_lo
	s_delay_alu instid0(VALU_DEP_2) | instskip(NEXT) | instid1(VALU_DEP_1)
	v_cndmask_b32_e64 v2, v2, 0xffffff82, vcc_lo
	v_add3_u32 v21, v25, v2, v17
	v_and_b32_e32 v2, 0xfffff, v20
                                        ; implicit-def: $vgpr20
	s_delay_alu instid0(VALU_DEP_1) | instskip(NEXT) | instid1(VALU_DEP_1)
	v_dual_add_nc_u32 v24, 6, v21 :: v_dual_add_nc_u32 v2, v2, v16
                                        ; implicit-def: $vgpr16_vgpr17
	v_cmpx_ne_u32_e32 0, v24
	s_xor_b32 s13, exec_lo, s13
; %bb.5049:                             ;   in Loop: Header=BB4_4811 Depth=3
	s_delay_alu instid0(VALU_DEP_2) | instskip(SKIP_1) | instid1(VALU_DEP_1)
	v_cmp_lt_u64_e32 vcc_lo, 0xffffff, v[2:3]
	v_add_nc_u32_e32 v16, 7, v21
	v_cndmask_b32_e32 v20, v24, v16, vcc_lo
	v_cndmask_b32_e64 v16, 0, 1, vcc_lo
	s_delay_alu instid0(VALU_DEP_1)
	v_lshrrev_b64 v[16:17], v16, v[2:3]
; %bb.5050:                             ;   in Loop: Header=BB4_4811 Depth=3
	s_and_not1_saveexec_b32 s13, s13
; %bb.5051:                             ;   in Loop: Header=BB4_4811 Depth=3
	v_mov_b64_e32 v[16:17], v[2:3]
	v_bfe_u32 v20, v2, 23, 1
; %bb.5052:                             ;   in Loop: Header=BB4_4811 Depth=3
	s_or_b32 exec_lo, exec_lo, s13
	s_delay_alu instid0(VALU_DEP_2) | instskip(NEXT) | instid1(VALU_DEP_2)
	v_lshrrev_b64 v[16:17], 20, v[16:17]
	v_cmp_gt_i32_e32 vcc_lo, 16, v20
	v_min_i32_e32 v2, 15, v20
	v_cmp_eq_u32_e64 s13, 0, v20
	s_delay_alu instid0(VALU_DEP_2) | instskip(SKIP_1) | instid1(VALU_DEP_2)
	v_dual_cndmask_b32 v17, 0, v17 :: v_dual_lshlrev_b32 v2, 3, v2
	v_cndmask_b32_e32 v16, 7, v16, vcc_lo
	v_and_b32_e32 v2, 0xf8, v2
	s_delay_alu instid0(VALU_DEP_2) | instskip(NEXT) | instid1(VALU_DEP_2)
	v_cmp_eq_u64_e32 vcc_lo, 0, v[16:17]
	v_and_or_b32 v2, v16, 7, v2
	s_and_b32 s13, s13, vcc_lo
	s_delay_alu instid0(VALU_DEP_1) | instid1(SALU_CYCLE_1)
	v_cndmask_b32_e64 v2, v2, 0, s13
	s_delay_alu instid0(VALU_DEP_1)
	v_or_b32_e32 v73, v2, v26
.LBB4_5053:                             ;   in Loop: Header=BB4_4811 Depth=3
	s_or_b32 exec_lo, exec_lo, s74
                                        ; implicit-def: $vgpr26
.LBB4_5054:                             ;   in Loop: Header=BB4_4811 Depth=3
	s_and_not1_saveexec_b32 s13, s45
; %bb.5055:                             ;   in Loop: Header=BB4_4811 Depth=3
	v_or_b32_e32 v73, 0x7e, v26
; %bb.5056:                             ;   in Loop: Header=BB4_4811 Depth=3
	s_or_b32 exec_lo, exec_lo, s13
                                        ; implicit-def: $vgpr17
.LBB4_5057:                             ;   in Loop: Header=BB4_4811 Depth=3
	s_and_not1_saveexec_b32 s13, s44
; %bb.5058:                             ;   in Loop: Header=BB4_4811 Depth=3
	v_or_b32_e32 v73, 0x7f, v17
; %bb.5059:                             ;   in Loop: Header=BB4_4811 Depth=3
	s_or_b32 exec_lo, exec_lo, s13
	v_and_b32_e32 v17, 0xff, v22
	v_dual_mov_b32 v2, 0 :: v_dual_mov_b32 v16, 0
	s_mov_b32 s13, exec_lo
	s_delay_alu instid0(VALU_DEP_2)
	v_cmpx_ne_u16_e32 0, v17
	s_cbranch_execz .LBB4_5065
; %bb.5060:                             ;   in Loop: Header=BB4_4811 Depth=3
	v_bfrev_b32_e32 v16, 1
	s_mov_b32 s44, exec_lo
	v_cmpx_ne_u16_e32 0x80, v17
	s_cbranch_execz .LBB4_5064
; %bb.5061:                             ;   in Loop: Header=BB4_4811 Depth=3
	v_and_b32_e32 v17, 0x7f, v22
	v_mov_b32_e32 v16, 0x7f800001
	s_mov_b32 s45, exec_lo
	s_delay_alu instid0(VALU_DEP_2)
	v_cmpx_ne_u32_e32 0x7f, v17
	s_cbranch_execz .LBB4_5063
; %bb.5062:                             ;   in Loop: Header=BB4_4811 Depth=3
	v_dual_lshrrev_b32 v20, 3, v17 :: v_dual_bitop2_b32 v16, 7, v22 bitop3:0x40
	v_cmp_gt_u32_e32 vcc_lo, 8, v17
	s_delay_alu instid0(VALU_DEP_2) | instskip(NEXT) | instid1(VALU_DEP_1)
	v_clz_i32_u32_e32 v16, v16
	v_min_u32_e32 v16, 32, v16
	s_delay_alu instid0(VALU_DEP_1) | instskip(SKIP_1) | instid1(VALU_DEP_1)
	v_subrev_nc_u32_e32 v21, 28, v16
	v_sub_nc_u32_e32 v16, 29, v16
	v_dual_cndmask_b32 v20, v20, v16, vcc_lo :: v_dual_cndmask_b32 v16, 0, v21, vcc_lo
	s_delay_alu instid0(VALU_DEP_1) | instskip(NEXT) | instid1(VALU_DEP_2)
	v_lshl_add_u32 v20, v20, 23, 0x3c000000
	v_lshlrev_b64_e32 v[16:17], v16, v[22:23]
	v_lshlrev_b32_e32 v17, 24, v22
	s_delay_alu instid0(VALU_DEP_1) | instskip(NEXT) | instid1(VALU_DEP_3)
	v_and_b32_e32 v17, 0x80000000, v17
	v_lshlrev_b32_e32 v16, 20, v16
	s_delay_alu instid0(VALU_DEP_1) | instskip(NEXT) | instid1(VALU_DEP_1)
	v_and_b32_e32 v16, 0x700000, v16
	v_or3_b32 v16, v16, v17, v20
.LBB4_5063:                             ;   in Loop: Header=BB4_4811 Depth=3
	s_or_b32 exec_lo, exec_lo, s45
.LBB4_5064:                             ;   in Loop: Header=BB4_4811 Depth=3
	s_delay_alu instid0(SALU_CYCLE_1)
	s_or_b32 exec_lo, exec_lo, s44
.LBB4_5065:                             ;   in Loop: Header=BB4_4811 Depth=3
	s_delay_alu instid0(SALU_CYCLE_1) | instskip(SKIP_2) | instid1(VALU_DEP_1)
	s_or_b32 exec_lo, exec_lo, s13
	v_and_b32_e32 v17, 0xff, v18
	s_mov_b32 s13, exec_lo
	v_cmpx_ne_u16_e32 0, v17
	s_cbranch_execz .LBB4_5071
; %bb.5066:                             ;   in Loop: Header=BB4_4811 Depth=3
	v_bfrev_b32_e32 v2, 1
	s_mov_b32 s44, exec_lo
	v_cmpx_ne_u16_e32 0x80, v17
	s_cbranch_execz .LBB4_5070
; %bb.5067:                             ;   in Loop: Header=BB4_4811 Depth=3
	v_and_b32_e32 v17, 0x7f, v18
	v_mov_b32_e32 v2, 0x7f800001
	s_mov_b32 s45, exec_lo
	s_delay_alu instid0(VALU_DEP_2)
	v_cmpx_ne_u32_e32 0x7f, v17
	s_cbranch_execz .LBB4_5069
; %bb.5068:                             ;   in Loop: Header=BB4_4811 Depth=3
	v_dual_lshrrev_b32 v20, 3, v17 :: v_dual_bitop2_b32 v2, 7, v18 bitop3:0x40
	v_cmp_gt_u32_e32 vcc_lo, 8, v17
	s_delay_alu instid0(VALU_DEP_2) | instskip(NEXT) | instid1(VALU_DEP_1)
	v_clz_i32_u32_e32 v2, v2
	v_min_u32_e32 v2, 32, v2
	s_delay_alu instid0(VALU_DEP_1) | instskip(NEXT) | instid1(VALU_DEP_1)
	v_subrev_nc_u32_e32 v21, 28, v2
	v_dual_cndmask_b32 v17, 0, v21 :: v_dual_sub_nc_u32 v2, 29, v2
	s_delay_alu instid0(VALU_DEP_1) | instskip(NEXT) | instid1(VALU_DEP_2)
	v_cndmask_b32_e32 v2, v20, v2, vcc_lo
	v_lshlrev_b64_e32 v[20:21], v17, v[18:19]
	v_lshlrev_b32_e32 v17, 24, v18
	s_delay_alu instid0(VALU_DEP_1) | instskip(NEXT) | instid1(VALU_DEP_3)
	v_and_b32_e32 v17, 0x80000000, v17
	v_lshlrev_b32_e32 v20, 20, v20
	v_lshl_add_u32 v2, v2, 23, 0x3c000000
	s_delay_alu instid0(VALU_DEP_2) | instskip(NEXT) | instid1(VALU_DEP_1)
	v_and_b32_e32 v20, 0x700000, v20
	v_or3_b32 v2, v20, v17, v2
.LBB4_5069:                             ;   in Loop: Header=BB4_4811 Depth=3
	s_or_b32 exec_lo, exec_lo, s45
.LBB4_5070:                             ;   in Loop: Header=BB4_4811 Depth=3
	s_delay_alu instid0(SALU_CYCLE_1)
	s_or_b32 exec_lo, exec_lo, s44
.LBB4_5071:                             ;   in Loop: Header=BB4_4811 Depth=3
	s_delay_alu instid0(SALU_CYCLE_1) | instskip(NEXT) | instid1(VALU_DEP_1)
	s_or_b32 exec_lo, exec_lo, s13
	v_add_f32_e32 v16, v16, v2
                                        ; implicit-def: $vgpr74
	s_mov_b32 s13, exec_lo
	s_delay_alu instid0(VALU_DEP_1) | instskip(SKIP_1) | instid1(VALU_DEP_2)
	v_and_b32_e32 v2, 0x7f800000, v16
	v_lshrrev_b32_e32 v17, 24, v16
	v_cmpx_ne_u64_e32 0x7f800000, v[2:3]
	s_xor_b32 s44, exec_lo, s13
	s_cbranch_execz .LBB4_5085
; %bb.5072:                             ;   in Loop: Header=BB4_4811 Depth=3
	v_and_b32_e32 v2, 0x7fffffff, v16
	v_and_b32_e32 v26, 0x80, v17
                                        ; implicit-def: $vgpr74
	s_mov_b32 s13, exec_lo
	s_delay_alu instid0(VALU_DEP_2)
	v_cmpx_gt_u64_e32 0x43e00001, v[2:3]
	s_xor_b32 s45, exec_lo, s13
	s_cbranch_execz .LBB4_5082
; %bb.5073:                             ;   in Loop: Header=BB4_4811 Depth=3
	v_mov_b32_e32 v74, 0
	s_mov_b32 s74, exec_lo
	v_cmpx_ne_u32_e32 0, v16
	s_cbranch_execz .LBB4_5081
; %bb.5074:                             ;   in Loop: Header=BB4_4811 Depth=3
	v_bfe_u32 v24, v16, 23, 8
	s_delay_alu instid0(VALU_DEP_1) | instskip(SKIP_1) | instid1(VALU_DEP_2)
	v_sub_nc_u32_e32 v2, 0x79, v24
	v_cmp_gt_u32_e32 vcc_lo, 0x7a, v24
	v_cndmask_b32_e32 v2, 0, v2, vcc_lo
	v_cmp_eq_u32_e32 vcc_lo, 0, v24
	s_delay_alu instid0(VALU_DEP_2) | instskip(SKIP_1) | instid1(VALU_DEP_2)
	v_cndmask_b32_e64 v25, v2, 0x78, vcc_lo
	v_and_b32_e32 v2, 0x7fffff, v16
	v_add_nc_u32_e32 v16, 20, v25
	s_delay_alu instid0(VALU_DEP_2) | instskip(SKIP_1) | instid1(VALU_DEP_3)
	v_or_b32_e32 v20, 0x800000, v2
	v_add_nc_u32_e32 v21, 19, v25
	v_lshlrev_b64_e64 v[16:17], v16, -1
	s_delay_alu instid0(VALU_DEP_3) | instskip(NEXT) | instid1(VALU_DEP_3)
	v_cndmask_b32_e32 v2, v20, v2, vcc_lo
	v_lshlrev_b64_e64 v[20:21], v21, 1
	s_delay_alu instid0(VALU_DEP_3) | instskip(NEXT) | instid1(VALU_DEP_3)
	v_bfi_b32 v29, v17, 0, 0
	v_bfi_b32 v28, v16, 0, v2
	v_lshrrev_b64 v[16:17], v25, v[2:3]
	s_delay_alu instid0(VALU_DEP_2) | instskip(NEXT) | instid1(VALU_DEP_2)
	v_cmp_eq_u64_e64 s13, v[28:29], v[20:21]
	v_mov_b64_e32 v[20:21], v[16:17]
	s_and_saveexec_b32 s75, s13
; %bb.5075:                             ;   in Loop: Header=BB4_4811 Depth=3
	v_bfe_u32 v2, v16, 20, 1
	s_delay_alu instid0(VALU_DEP_1) | instskip(NEXT) | instid1(VALU_DEP_1)
	v_add_nc_u64_e32 v[20:21], v[16:17], v[2:3]
	v_add_nc_u64_e32 v[20:21], -1, v[20:21]
; %bb.5076:                             ;   in Loop: Header=BB4_4811 Depth=3
	s_or_b32 exec_lo, exec_lo, s75
	v_add_nc_u32_e32 v2, 0xffffff81, v24
	v_lshrrev_b32_e32 v17, 23, v16
	s_mov_b32 s13, exec_lo
	s_delay_alu instid0(VALU_DEP_2) | instskip(NEXT) | instid1(VALU_DEP_1)
	v_cndmask_b32_e64 v2, v2, 0xffffff82, vcc_lo
	v_add3_u32 v21, v25, v2, v17
	v_and_b32_e32 v2, 0xfffff, v20
                                        ; implicit-def: $vgpr20
	s_delay_alu instid0(VALU_DEP_1) | instskip(NEXT) | instid1(VALU_DEP_1)
	v_dual_add_nc_u32 v24, 6, v21 :: v_dual_add_nc_u32 v2, v2, v16
                                        ; implicit-def: $vgpr16_vgpr17
	v_cmpx_ne_u32_e32 0, v24
	s_xor_b32 s13, exec_lo, s13
; %bb.5077:                             ;   in Loop: Header=BB4_4811 Depth=3
	s_delay_alu instid0(VALU_DEP_2) | instskip(SKIP_1) | instid1(VALU_DEP_1)
	v_cmp_lt_u64_e32 vcc_lo, 0xffffff, v[2:3]
	v_add_nc_u32_e32 v16, 7, v21
	v_cndmask_b32_e32 v20, v24, v16, vcc_lo
	v_cndmask_b32_e64 v16, 0, 1, vcc_lo
	s_delay_alu instid0(VALU_DEP_1)
	v_lshrrev_b64 v[16:17], v16, v[2:3]
; %bb.5078:                             ;   in Loop: Header=BB4_4811 Depth=3
	s_and_not1_saveexec_b32 s13, s13
; %bb.5079:                             ;   in Loop: Header=BB4_4811 Depth=3
	v_mov_b64_e32 v[16:17], v[2:3]
	v_bfe_u32 v20, v2, 23, 1
; %bb.5080:                             ;   in Loop: Header=BB4_4811 Depth=3
	s_or_b32 exec_lo, exec_lo, s13
	s_delay_alu instid0(VALU_DEP_2) | instskip(NEXT) | instid1(VALU_DEP_2)
	v_lshrrev_b64 v[16:17], 20, v[16:17]
	v_cmp_gt_i32_e32 vcc_lo, 16, v20
	v_min_i32_e32 v2, 15, v20
	v_cmp_eq_u32_e64 s13, 0, v20
	s_delay_alu instid0(VALU_DEP_2) | instskip(SKIP_1) | instid1(VALU_DEP_2)
	v_dual_cndmask_b32 v17, 0, v17 :: v_dual_lshlrev_b32 v2, 3, v2
	v_cndmask_b32_e32 v16, 7, v16, vcc_lo
	v_and_b32_e32 v2, 0xf8, v2
	s_delay_alu instid0(VALU_DEP_2) | instskip(NEXT) | instid1(VALU_DEP_2)
	v_cmp_eq_u64_e32 vcc_lo, 0, v[16:17]
	v_and_or_b32 v2, v16, 7, v2
	s_and_b32 s13, s13, vcc_lo
	s_delay_alu instid0(VALU_DEP_1) | instid1(SALU_CYCLE_1)
	v_cndmask_b32_e64 v2, v2, 0, s13
	s_delay_alu instid0(VALU_DEP_1)
	v_or_b32_e32 v74, v2, v26
.LBB4_5081:                             ;   in Loop: Header=BB4_4811 Depth=3
	s_or_b32 exec_lo, exec_lo, s74
                                        ; implicit-def: $vgpr26
.LBB4_5082:                             ;   in Loop: Header=BB4_4811 Depth=3
	s_and_not1_saveexec_b32 s13, s45
; %bb.5083:                             ;   in Loop: Header=BB4_4811 Depth=3
	v_or_b32_e32 v74, 0x7e, v26
; %bb.5084:                             ;   in Loop: Header=BB4_4811 Depth=3
	s_or_b32 exec_lo, exec_lo, s13
                                        ; implicit-def: $vgpr17
.LBB4_5085:                             ;   in Loop: Header=BB4_4811 Depth=3
	s_and_not1_saveexec_b32 s13, s44
; %bb.5086:                             ;   in Loop: Header=BB4_4811 Depth=3
	v_or_b32_e32 v74, 0x7f, v17
; %bb.5087:                             ;   in Loop: Header=BB4_4811 Depth=3
	s_or_b32 exec_lo, exec_lo, s13
	v_lshrrev_b16 v2, 8, v22
	v_dual_mov_b32 v16, 0 :: v_dual_mov_b32 v17, 0
	s_mov_b32 s13, exec_lo
	s_delay_alu instid0(VALU_DEP_2)
	v_cmpx_ne_u16_e32 0, v2
	s_cbranch_execz .LBB4_5095
; %bb.5088:                             ;   in Loop: Header=BB4_4811 Depth=3
	v_bfrev_b32_e32 v17, 1
	s_mov_b32 s44, exec_lo
	v_cmpx_ne_u16_e32 0x80, v2
	s_cbranch_execz .LBB4_5094
; %bb.5089:                             ;   in Loop: Header=BB4_4811 Depth=3
	v_and_b32_e32 v2, 0xffff, v2
	v_mov_b32_e32 v17, 0x7f800001
	s_mov_b32 s45, exec_lo
	s_delay_alu instid0(VALU_DEP_2) | instskip(NEXT) | instid1(VALU_DEP_1)
	v_and_b32_e32 v20, 0x7f, v2
	v_cmpx_ne_u32_e32 0x7f, v20
	s_cbranch_execz .LBB4_5093
; %bb.5090:                             ;   in Loop: Header=BB4_4811 Depth=3
	v_dual_lshrrev_b32 v17, 3, v20 :: v_dual_bitop2_b32 v2, 7, v2 bitop3:0x40
	s_mov_b32 s74, exec_lo
	v_cmpx_gt_u32_e32 8, v20
; %bb.5091:                             ;   in Loop: Header=BB4_4811 Depth=3
	s_delay_alu instid0(VALU_DEP_2) | instskip(NEXT) | instid1(VALU_DEP_1)
	v_clz_i32_u32_e32 v17, v2
	v_min_u32_e32 v17, 32, v17
	s_delay_alu instid0(VALU_DEP_1) | instskip(NEXT) | instid1(VALU_DEP_1)
	v_subrev_nc_u32_e32 v20, 28, v17
	v_lshlrev_b64_e32 v[20:21], v20, v[2:3]
	s_delay_alu instid0(VALU_DEP_1)
	v_dual_sub_nc_u32 v17, 29, v17 :: v_dual_bitop2_b32 v2, 7, v20 bitop3:0x40
; %bb.5092:                             ;   in Loop: Header=BB4_4811 Depth=3
	s_or_b32 exec_lo, exec_lo, s74
	v_lshlrev_b32_e32 v20, 16, v22
	s_delay_alu instid0(VALU_DEP_2) | instskip(NEXT) | instid1(VALU_DEP_3)
	v_lshlrev_b32_e32 v2, 20, v2
	v_lshl_add_u32 v17, v17, 23, 0x3c000000
	s_delay_alu instid0(VALU_DEP_3) | instskip(NEXT) | instid1(VALU_DEP_1)
	v_and_b32_e32 v20, 0x80000000, v20
	v_or3_b32 v17, v2, v20, v17
.LBB4_5093:                             ;   in Loop: Header=BB4_4811 Depth=3
	s_or_b32 exec_lo, exec_lo, s45
.LBB4_5094:                             ;   in Loop: Header=BB4_4811 Depth=3
	s_delay_alu instid0(SALU_CYCLE_1)
	s_or_b32 exec_lo, exec_lo, s44
.LBB4_5095:                             ;   in Loop: Header=BB4_4811 Depth=3
	s_delay_alu instid0(SALU_CYCLE_1) | instskip(SKIP_2) | instid1(VALU_DEP_1)
	s_or_b32 exec_lo, exec_lo, s13
	v_lshrrev_b16 v2, 8, v18
	s_mov_b32 s13, exec_lo
	v_cmpx_ne_u16_e32 0, v2
	s_cbranch_execz .LBB4_5103
; %bb.5096:                             ;   in Loop: Header=BB4_4811 Depth=3
	v_bfrev_b32_e32 v16, 1
	s_mov_b32 s44, exec_lo
	v_cmpx_ne_u16_e32 0x80, v2
	s_cbranch_execz .LBB4_5102
; %bb.5097:                             ;   in Loop: Header=BB4_4811 Depth=3
	v_and_b32_e32 v2, 0xffff, v2
	v_mov_b32_e32 v16, 0x7f800001
	s_mov_b32 s45, exec_lo
	s_delay_alu instid0(VALU_DEP_2) | instskip(NEXT) | instid1(VALU_DEP_1)
	v_and_b32_e32 v20, 0x7f, v2
	v_cmpx_ne_u32_e32 0x7f, v20
	s_cbranch_execz .LBB4_5101
; %bb.5098:                             ;   in Loop: Header=BB4_4811 Depth=3
	v_dual_lshrrev_b32 v16, 3, v20 :: v_dual_bitop2_b32 v2, 7, v2 bitop3:0x40
	s_mov_b32 s74, exec_lo
	v_cmpx_gt_u32_e32 8, v20
; %bb.5099:                             ;   in Loop: Header=BB4_4811 Depth=3
	s_delay_alu instid0(VALU_DEP_2) | instskip(NEXT) | instid1(VALU_DEP_1)
	v_clz_i32_u32_e32 v16, v2
	v_min_u32_e32 v16, 32, v16
	s_delay_alu instid0(VALU_DEP_1) | instskip(SKIP_1) | instid1(VALU_DEP_2)
	v_subrev_nc_u32_e32 v20, 28, v16
	v_sub_nc_u32_e32 v16, 29, v16
	v_lshlrev_b64_e32 v[20:21], v20, v[2:3]
	s_delay_alu instid0(VALU_DEP_1)
	v_and_b32_e32 v2, 7, v20
; %bb.5100:                             ;   in Loop: Header=BB4_4811 Depth=3
	s_or_b32 exec_lo, exec_lo, s74
	v_lshlrev_b32_e32 v20, 16, v18
	s_delay_alu instid0(VALU_DEP_2) | instskip(SKIP_1) | instid1(VALU_DEP_3)
	v_lshlrev_b32_e32 v2, 20, v2
	v_lshl_add_u32 v16, v16, 23, 0x3c000000
	v_and_b32_e32 v20, 0x80000000, v20
	s_delay_alu instid0(VALU_DEP_1)
	v_or3_b32 v16, v2, v20, v16
.LBB4_5101:                             ;   in Loop: Header=BB4_4811 Depth=3
	s_or_b32 exec_lo, exec_lo, s45
.LBB4_5102:                             ;   in Loop: Header=BB4_4811 Depth=3
	s_delay_alu instid0(SALU_CYCLE_1)
	s_or_b32 exec_lo, exec_lo, s44
.LBB4_5103:                             ;   in Loop: Header=BB4_4811 Depth=3
	s_delay_alu instid0(SALU_CYCLE_1) | instskip(NEXT) | instid1(VALU_DEP_1)
	s_or_b32 exec_lo, exec_lo, s13
	v_add_f32_e32 v16, v17, v16
                                        ; implicit-def: $vgpr75
	s_mov_b32 s13, exec_lo
	s_delay_alu instid0(VALU_DEP_1) | instskip(SKIP_1) | instid1(VALU_DEP_2)
	v_and_b32_e32 v2, 0x7f800000, v16
	v_lshrrev_b32_e32 v17, 24, v16
	v_cmpx_ne_u64_e32 0x7f800000, v[2:3]
	s_xor_b32 s44, exec_lo, s13
	s_cbranch_execz .LBB4_5117
; %bb.5104:                             ;   in Loop: Header=BB4_4811 Depth=3
	v_and_b32_e32 v2, 0x7fffffff, v16
	v_and_b32_e32 v26, 0x80, v17
                                        ; implicit-def: $vgpr75
	s_mov_b32 s13, exec_lo
	s_delay_alu instid0(VALU_DEP_2)
	v_cmpx_gt_u64_e32 0x43e00001, v[2:3]
	s_xor_b32 s45, exec_lo, s13
	s_cbranch_execz .LBB4_5114
; %bb.5105:                             ;   in Loop: Header=BB4_4811 Depth=3
	v_mov_b32_e32 v75, 0
	s_mov_b32 s74, exec_lo
	v_cmpx_ne_u32_e32 0, v16
	s_cbranch_execz .LBB4_5113
; %bb.5106:                             ;   in Loop: Header=BB4_4811 Depth=3
	v_bfe_u32 v24, v16, 23, 8
	s_delay_alu instid0(VALU_DEP_1) | instskip(SKIP_1) | instid1(VALU_DEP_2)
	v_sub_nc_u32_e32 v2, 0x79, v24
	v_cmp_gt_u32_e32 vcc_lo, 0x7a, v24
	v_cndmask_b32_e32 v2, 0, v2, vcc_lo
	v_cmp_eq_u32_e32 vcc_lo, 0, v24
	s_delay_alu instid0(VALU_DEP_2) | instskip(SKIP_1) | instid1(VALU_DEP_2)
	v_cndmask_b32_e64 v25, v2, 0x78, vcc_lo
	v_and_b32_e32 v2, 0x7fffff, v16
	v_add_nc_u32_e32 v16, 20, v25
	s_delay_alu instid0(VALU_DEP_2) | instskip(SKIP_1) | instid1(VALU_DEP_3)
	v_or_b32_e32 v20, 0x800000, v2
	v_add_nc_u32_e32 v21, 19, v25
	v_lshlrev_b64_e64 v[16:17], v16, -1
	s_delay_alu instid0(VALU_DEP_3) | instskip(NEXT) | instid1(VALU_DEP_3)
	v_cndmask_b32_e32 v2, v20, v2, vcc_lo
	v_lshlrev_b64_e64 v[20:21], v21, 1
	s_delay_alu instid0(VALU_DEP_3) | instskip(NEXT) | instid1(VALU_DEP_3)
	v_bfi_b32 v29, v17, 0, 0
	v_bfi_b32 v28, v16, 0, v2
	v_lshrrev_b64 v[16:17], v25, v[2:3]
	s_delay_alu instid0(VALU_DEP_2) | instskip(NEXT) | instid1(VALU_DEP_2)
	v_cmp_eq_u64_e64 s13, v[28:29], v[20:21]
	v_mov_b64_e32 v[20:21], v[16:17]
	s_and_saveexec_b32 s75, s13
; %bb.5107:                             ;   in Loop: Header=BB4_4811 Depth=3
	v_bfe_u32 v2, v16, 20, 1
	s_delay_alu instid0(VALU_DEP_1) | instskip(NEXT) | instid1(VALU_DEP_1)
	v_add_nc_u64_e32 v[20:21], v[16:17], v[2:3]
	v_add_nc_u64_e32 v[20:21], -1, v[20:21]
; %bb.5108:                             ;   in Loop: Header=BB4_4811 Depth=3
	s_or_b32 exec_lo, exec_lo, s75
	v_add_nc_u32_e32 v2, 0xffffff81, v24
	v_lshrrev_b32_e32 v17, 23, v16
	s_mov_b32 s13, exec_lo
	s_delay_alu instid0(VALU_DEP_2) | instskip(NEXT) | instid1(VALU_DEP_1)
	v_cndmask_b32_e64 v2, v2, 0xffffff82, vcc_lo
	v_add3_u32 v21, v25, v2, v17
	v_and_b32_e32 v2, 0xfffff, v20
                                        ; implicit-def: $vgpr20
	s_delay_alu instid0(VALU_DEP_1) | instskip(NEXT) | instid1(VALU_DEP_1)
	v_dual_add_nc_u32 v24, 6, v21 :: v_dual_add_nc_u32 v2, v2, v16
                                        ; implicit-def: $vgpr16_vgpr17
	v_cmpx_ne_u32_e32 0, v24
	s_xor_b32 s13, exec_lo, s13
; %bb.5109:                             ;   in Loop: Header=BB4_4811 Depth=3
	s_delay_alu instid0(VALU_DEP_2) | instskip(SKIP_1) | instid1(VALU_DEP_1)
	v_cmp_lt_u64_e32 vcc_lo, 0xffffff, v[2:3]
	v_add_nc_u32_e32 v16, 7, v21
	v_cndmask_b32_e32 v20, v24, v16, vcc_lo
	v_cndmask_b32_e64 v16, 0, 1, vcc_lo
	s_delay_alu instid0(VALU_DEP_1)
	v_lshrrev_b64 v[16:17], v16, v[2:3]
; %bb.5110:                             ;   in Loop: Header=BB4_4811 Depth=3
	s_and_not1_saveexec_b32 s13, s13
; %bb.5111:                             ;   in Loop: Header=BB4_4811 Depth=3
	v_mov_b64_e32 v[16:17], v[2:3]
	v_bfe_u32 v20, v2, 23, 1
; %bb.5112:                             ;   in Loop: Header=BB4_4811 Depth=3
	s_or_b32 exec_lo, exec_lo, s13
	s_delay_alu instid0(VALU_DEP_2) | instskip(NEXT) | instid1(VALU_DEP_2)
	v_lshrrev_b64 v[16:17], 20, v[16:17]
	v_cmp_gt_i32_e32 vcc_lo, 16, v20
	v_min_i32_e32 v2, 15, v20
	v_cmp_eq_u32_e64 s13, 0, v20
	s_delay_alu instid0(VALU_DEP_2) | instskip(SKIP_1) | instid1(VALU_DEP_2)
	v_dual_cndmask_b32 v17, 0, v17 :: v_dual_lshlrev_b32 v2, 3, v2
	v_cndmask_b32_e32 v16, 7, v16, vcc_lo
	v_and_b32_e32 v2, 0xf8, v2
	s_delay_alu instid0(VALU_DEP_2) | instskip(NEXT) | instid1(VALU_DEP_2)
	v_cmp_eq_u64_e32 vcc_lo, 0, v[16:17]
	v_and_or_b32 v2, v16, 7, v2
	s_and_b32 s13, s13, vcc_lo
	s_delay_alu instid0(VALU_DEP_1) | instid1(SALU_CYCLE_1)
	v_cndmask_b32_e64 v2, v2, 0, s13
	s_delay_alu instid0(VALU_DEP_1)
	v_or_b32_e32 v75, v2, v26
.LBB4_5113:                             ;   in Loop: Header=BB4_4811 Depth=3
	s_or_b32 exec_lo, exec_lo, s74
                                        ; implicit-def: $vgpr26
.LBB4_5114:                             ;   in Loop: Header=BB4_4811 Depth=3
	s_and_not1_saveexec_b32 s13, s45
; %bb.5115:                             ;   in Loop: Header=BB4_4811 Depth=3
	v_or_b32_e32 v75, 0x7e, v26
; %bb.5116:                             ;   in Loop: Header=BB4_4811 Depth=3
	s_or_b32 exec_lo, exec_lo, s13
                                        ; implicit-def: $vgpr17
.LBB4_5117:                             ;   in Loop: Header=BB4_4811 Depth=3
	s_and_not1_saveexec_b32 s13, s44
; %bb.5118:                             ;   in Loop: Header=BB4_4811 Depth=3
	v_or_b32_e32 v75, 0x7f, v17
; %bb.5119:                             ;   in Loop: Header=BB4_4811 Depth=3
	s_or_b32 exec_lo, exec_lo, s13
	v_dual_lshrrev_b32 v20, 16, v22 :: v_dual_mov_b32 v16, 0
	v_mov_b32_e32 v17, 0
	s_mov_b32 s13, exec_lo
	s_delay_alu instid0(VALU_DEP_2) | instskip(NEXT) | instid1(VALU_DEP_1)
	v_and_b32_e32 v2, 0xff, v20
	v_cmpx_ne_u16_e32 0, v2
	s_cbranch_execz .LBB4_5127
; %bb.5120:                             ;   in Loop: Header=BB4_4811 Depth=3
	v_bfrev_b32_e32 v17, 1
	s_mov_b32 s44, exec_lo
	v_cmpx_ne_u16_e32 0x80, v2
	s_cbranch_execz .LBB4_5126
; %bb.5121:                             ;   in Loop: Header=BB4_4811 Depth=3
	v_bfe_u32 v21, v22, 16, 7
	v_mov_b32_e32 v17, 0x7f800001
	s_mov_b32 s45, exec_lo
	s_delay_alu instid0(VALU_DEP_2)
	v_cmpx_ne_u32_e32 0x7f, v21
	s_cbranch_execz .LBB4_5125
; %bb.5122:                             ;   in Loop: Header=BB4_4811 Depth=3
	v_dual_lshrrev_b32 v17, 3, v21 :: v_dual_bitop2_b32 v2, 7, v20 bitop3:0x40
	s_mov_b32 s74, exec_lo
	v_cmpx_gt_u32_e32 8, v21
; %bb.5123:                             ;   in Loop: Header=BB4_4811 Depth=3
	s_delay_alu instid0(VALU_DEP_2) | instskip(NEXT) | instid1(VALU_DEP_1)
	v_clz_i32_u32_e32 v17, v2
	v_min_u32_e32 v17, 32, v17
	s_delay_alu instid0(VALU_DEP_1) | instskip(NEXT) | instid1(VALU_DEP_1)
	v_subrev_nc_u32_e32 v21, 28, v17
	v_lshlrev_b64_e32 v[24:25], v21, v[2:3]
	s_delay_alu instid0(VALU_DEP_1)
	v_dual_sub_nc_u32 v17, 29, v17 :: v_dual_bitop2_b32 v2, 7, v24 bitop3:0x40
; %bb.5124:                             ;   in Loop: Header=BB4_4811 Depth=3
	s_or_b32 exec_lo, exec_lo, s74
	s_delay_alu instid0(VALU_DEP_1) | instskip(NEXT) | instid1(VALU_DEP_2)
	v_dual_lshlrev_b32 v20, 24, v20 :: v_dual_lshlrev_b32 v2, 20, v2
	v_lshl_add_u32 v17, v17, 23, 0x3c000000
	s_delay_alu instid0(VALU_DEP_2) | instskip(NEXT) | instid1(VALU_DEP_1)
	v_and_b32_e32 v20, 0x80000000, v20
	v_or3_b32 v17, v2, v20, v17
.LBB4_5125:                             ;   in Loop: Header=BB4_4811 Depth=3
	s_or_b32 exec_lo, exec_lo, s45
.LBB4_5126:                             ;   in Loop: Header=BB4_4811 Depth=3
	s_delay_alu instid0(SALU_CYCLE_1)
	s_or_b32 exec_lo, exec_lo, s44
.LBB4_5127:                             ;   in Loop: Header=BB4_4811 Depth=3
	s_delay_alu instid0(SALU_CYCLE_1) | instskip(SKIP_2) | instid1(VALU_DEP_1)
	s_or_b32 exec_lo, exec_lo, s13
	v_lshrrev_b32_e32 v2, 16, v18
	s_mov_b32 s13, exec_lo
	v_and_b32_e32 v20, 0xff, v2
	s_delay_alu instid0(VALU_DEP_1)
	v_cmpx_ne_u16_e32 0, v20
	s_cbranch_execz .LBB4_5135
; %bb.5128:                             ;   in Loop: Header=BB4_4811 Depth=3
	v_bfrev_b32_e32 v16, 1
	s_mov_b32 s44, exec_lo
	v_cmpx_ne_u16_e32 0x80, v20
	s_cbranch_execz .LBB4_5134
; %bb.5129:                             ;   in Loop: Header=BB4_4811 Depth=3
	v_bfe_u32 v20, v18, 16, 7
	v_mov_b32_e32 v16, 0x7f800001
	s_mov_b32 s45, exec_lo
	s_delay_alu instid0(VALU_DEP_2)
	v_cmpx_ne_u32_e32 0x7f, v20
	s_cbranch_execz .LBB4_5133
; %bb.5130:                             ;   in Loop: Header=BB4_4811 Depth=3
	v_dual_lshrrev_b32 v16, 3, v20 :: v_dual_bitop2_b32 v2, 7, v2 bitop3:0x40
	s_mov_b32 s74, exec_lo
	v_cmpx_gt_u32_e32 8, v20
; %bb.5131:                             ;   in Loop: Header=BB4_4811 Depth=3
	s_delay_alu instid0(VALU_DEP_2) | instskip(NEXT) | instid1(VALU_DEP_1)
	v_clz_i32_u32_e32 v16, v2
	v_min_u32_e32 v16, 32, v16
	s_delay_alu instid0(VALU_DEP_1) | instskip(SKIP_1) | instid1(VALU_DEP_2)
	v_subrev_nc_u32_e32 v20, 28, v16
	v_sub_nc_u32_e32 v16, 29, v16
	v_lshlrev_b64_e32 v[20:21], v20, v[2:3]
	s_delay_alu instid0(VALU_DEP_1)
	v_and_b32_e32 v2, 7, v20
; %bb.5132:                             ;   in Loop: Header=BB4_4811 Depth=3
	s_or_b32 exec_lo, exec_lo, s74
	v_lshlrev_b32_e32 v20, 8, v18
	s_delay_alu instid0(VALU_DEP_2) | instskip(SKIP_1) | instid1(VALU_DEP_3)
	v_lshlrev_b32_e32 v2, 20, v2
	v_lshl_add_u32 v16, v16, 23, 0x3c000000
	v_and_b32_e32 v20, 0x80000000, v20
	s_delay_alu instid0(VALU_DEP_1)
	v_or3_b32 v16, v2, v20, v16
.LBB4_5133:                             ;   in Loop: Header=BB4_4811 Depth=3
	s_or_b32 exec_lo, exec_lo, s45
.LBB4_5134:                             ;   in Loop: Header=BB4_4811 Depth=3
	s_delay_alu instid0(SALU_CYCLE_1)
	s_or_b32 exec_lo, exec_lo, s44
.LBB4_5135:                             ;   in Loop: Header=BB4_4811 Depth=3
	s_delay_alu instid0(SALU_CYCLE_1) | instskip(NEXT) | instid1(VALU_DEP_1)
	s_or_b32 exec_lo, exec_lo, s13
	v_add_f32_e32 v16, v17, v16
                                        ; implicit-def: $vgpr107
	s_mov_b32 s13, exec_lo
	s_delay_alu instid0(VALU_DEP_1) | instskip(SKIP_1) | instid1(VALU_DEP_2)
	v_and_b32_e32 v2, 0x7f800000, v16
	v_lshrrev_b32_e32 v17, 24, v16
	v_cmpx_ne_u64_e32 0x7f800000, v[2:3]
	s_xor_b32 s44, exec_lo, s13
	s_cbranch_execz .LBB4_5149
; %bb.5136:                             ;   in Loop: Header=BB4_4811 Depth=3
	v_and_b32_e32 v2, 0x7fffffff, v16
	v_and_b32_e32 v26, 0x80, v17
                                        ; implicit-def: $vgpr107
	s_mov_b32 s13, exec_lo
	s_delay_alu instid0(VALU_DEP_2)
	v_cmpx_gt_u64_e32 0x43e00001, v[2:3]
	s_xor_b32 s45, exec_lo, s13
	s_cbranch_execz .LBB4_5146
; %bb.5137:                             ;   in Loop: Header=BB4_4811 Depth=3
	v_mov_b32_e32 v107, 0
	s_mov_b32 s74, exec_lo
	v_cmpx_ne_u32_e32 0, v16
	s_cbranch_execz .LBB4_5145
; %bb.5138:                             ;   in Loop: Header=BB4_4811 Depth=3
	v_bfe_u32 v24, v16, 23, 8
	s_delay_alu instid0(VALU_DEP_1) | instskip(SKIP_1) | instid1(VALU_DEP_2)
	v_sub_nc_u32_e32 v2, 0x79, v24
	v_cmp_gt_u32_e32 vcc_lo, 0x7a, v24
	v_cndmask_b32_e32 v2, 0, v2, vcc_lo
	v_cmp_eq_u32_e32 vcc_lo, 0, v24
	s_delay_alu instid0(VALU_DEP_2) | instskip(SKIP_1) | instid1(VALU_DEP_2)
	v_cndmask_b32_e64 v25, v2, 0x78, vcc_lo
	v_and_b32_e32 v2, 0x7fffff, v16
	v_add_nc_u32_e32 v16, 20, v25
	s_delay_alu instid0(VALU_DEP_2) | instskip(SKIP_1) | instid1(VALU_DEP_3)
	v_or_b32_e32 v20, 0x800000, v2
	v_add_nc_u32_e32 v21, 19, v25
	v_lshlrev_b64_e64 v[16:17], v16, -1
	s_delay_alu instid0(VALU_DEP_3) | instskip(NEXT) | instid1(VALU_DEP_3)
	v_cndmask_b32_e32 v2, v20, v2, vcc_lo
	v_lshlrev_b64_e64 v[20:21], v21, 1
	s_delay_alu instid0(VALU_DEP_3) | instskip(NEXT) | instid1(VALU_DEP_3)
	v_bfi_b32 v29, v17, 0, 0
	v_bfi_b32 v28, v16, 0, v2
	v_lshrrev_b64 v[16:17], v25, v[2:3]
	s_delay_alu instid0(VALU_DEP_2) | instskip(NEXT) | instid1(VALU_DEP_2)
	v_cmp_eq_u64_e64 s13, v[28:29], v[20:21]
	v_mov_b64_e32 v[20:21], v[16:17]
	s_and_saveexec_b32 s75, s13
; %bb.5139:                             ;   in Loop: Header=BB4_4811 Depth=3
	v_bfe_u32 v2, v16, 20, 1
	s_delay_alu instid0(VALU_DEP_1) | instskip(NEXT) | instid1(VALU_DEP_1)
	v_add_nc_u64_e32 v[20:21], v[16:17], v[2:3]
	v_add_nc_u64_e32 v[20:21], -1, v[20:21]
; %bb.5140:                             ;   in Loop: Header=BB4_4811 Depth=3
	s_or_b32 exec_lo, exec_lo, s75
	v_add_nc_u32_e32 v2, 0xffffff81, v24
	v_lshrrev_b32_e32 v17, 23, v16
	s_mov_b32 s13, exec_lo
	s_delay_alu instid0(VALU_DEP_2) | instskip(NEXT) | instid1(VALU_DEP_1)
	v_cndmask_b32_e64 v2, v2, 0xffffff82, vcc_lo
	v_add3_u32 v21, v25, v2, v17
	v_and_b32_e32 v2, 0xfffff, v20
                                        ; implicit-def: $vgpr20
	s_delay_alu instid0(VALU_DEP_1) | instskip(NEXT) | instid1(VALU_DEP_1)
	v_dual_add_nc_u32 v24, 6, v21 :: v_dual_add_nc_u32 v2, v2, v16
                                        ; implicit-def: $vgpr16_vgpr17
	v_cmpx_ne_u32_e32 0, v24
	s_xor_b32 s13, exec_lo, s13
; %bb.5141:                             ;   in Loop: Header=BB4_4811 Depth=3
	s_delay_alu instid0(VALU_DEP_2) | instskip(SKIP_1) | instid1(VALU_DEP_1)
	v_cmp_lt_u64_e32 vcc_lo, 0xffffff, v[2:3]
	v_add_nc_u32_e32 v16, 7, v21
	v_cndmask_b32_e32 v20, v24, v16, vcc_lo
	v_cndmask_b32_e64 v16, 0, 1, vcc_lo
	s_delay_alu instid0(VALU_DEP_1)
	v_lshrrev_b64 v[16:17], v16, v[2:3]
; %bb.5142:                             ;   in Loop: Header=BB4_4811 Depth=3
	s_and_not1_saveexec_b32 s13, s13
; %bb.5143:                             ;   in Loop: Header=BB4_4811 Depth=3
	v_mov_b64_e32 v[16:17], v[2:3]
	v_bfe_u32 v20, v2, 23, 1
; %bb.5144:                             ;   in Loop: Header=BB4_4811 Depth=3
	s_or_b32 exec_lo, exec_lo, s13
	s_delay_alu instid0(VALU_DEP_2) | instskip(NEXT) | instid1(VALU_DEP_2)
	v_lshrrev_b64 v[16:17], 20, v[16:17]
	v_cmp_gt_i32_e32 vcc_lo, 16, v20
	v_min_i32_e32 v2, 15, v20
	v_cmp_eq_u32_e64 s13, 0, v20
	s_delay_alu instid0(VALU_DEP_2) | instskip(SKIP_1) | instid1(VALU_DEP_2)
	v_dual_cndmask_b32 v17, 0, v17 :: v_dual_lshlrev_b32 v2, 3, v2
	v_cndmask_b32_e32 v16, 7, v16, vcc_lo
	v_and_b32_e32 v2, 0xf8, v2
	s_delay_alu instid0(VALU_DEP_2) | instskip(NEXT) | instid1(VALU_DEP_2)
	v_cmp_eq_u64_e32 vcc_lo, 0, v[16:17]
	v_and_or_b32 v2, v16, 7, v2
	s_and_b32 s13, s13, vcc_lo
	s_delay_alu instid0(VALU_DEP_1) | instid1(SALU_CYCLE_1)
	v_cndmask_b32_e64 v2, v2, 0, s13
	s_delay_alu instid0(VALU_DEP_1)
	v_or_b32_e32 v107, v2, v26
.LBB4_5145:                             ;   in Loop: Header=BB4_4811 Depth=3
	s_or_b32 exec_lo, exec_lo, s74
                                        ; implicit-def: $vgpr26
.LBB4_5146:                             ;   in Loop: Header=BB4_4811 Depth=3
	s_and_not1_saveexec_b32 s13, s45
; %bb.5147:                             ;   in Loop: Header=BB4_4811 Depth=3
	v_or_b32_e32 v107, 0x7e, v26
; %bb.5148:                             ;   in Loop: Header=BB4_4811 Depth=3
	s_or_b32 exec_lo, exec_lo, s13
                                        ; implicit-def: $vgpr17
.LBB4_5149:                             ;   in Loop: Header=BB4_4811 Depth=3
	s_and_not1_saveexec_b32 s13, s44
; %bb.5150:                             ;   in Loop: Header=BB4_4811 Depth=3
	v_or_b32_e32 v107, 0x7f, v17
; %bb.5151:                             ;   in Loop: Header=BB4_4811 Depth=3
	s_or_b32 exec_lo, exec_lo, s13
	v_dual_mov_b32 v16, 0 :: v_dual_mov_b32 v17, 0
	s_mov_b32 s13, exec_lo
	v_cmpx_lt_u32_e32 0xffffff, v22
	s_cbranch_execz .LBB4_5159
; %bb.5152:                             ;   in Loop: Header=BB4_4811 Depth=3
	v_lshrrev_b32_e32 v20, 24, v22
	v_bfrev_b32_e32 v17, 1
	s_mov_b32 s44, exec_lo
	s_delay_alu instid0(VALU_DEP_2)
	v_cmpx_ne_u32_e32 0x80, v20
	s_cbranch_execz .LBB4_5158
; %bb.5153:                             ;   in Loop: Header=BB4_4811 Depth=3
	v_bfe_u32 v21, v22, 24, 7
	v_mov_b32_e32 v17, 0x7f800001
	s_mov_b32 s45, exec_lo
	s_delay_alu instid0(VALU_DEP_2)
	v_cmpx_ne_u32_e32 0x7f, v21
	s_cbranch_execz .LBB4_5157
; %bb.5154:                             ;   in Loop: Header=BB4_4811 Depth=3
	v_dual_lshrrev_b32 v17, 3, v21 :: v_dual_bitop2_b32 v2, 7, v20 bitop3:0x40
	s_mov_b32 s74, exec_lo
	v_cmpx_gt_u32_e32 8, v21
; %bb.5155:                             ;   in Loop: Header=BB4_4811 Depth=3
	s_delay_alu instid0(VALU_DEP_2) | instskip(NEXT) | instid1(VALU_DEP_1)
	v_clz_i32_u32_e32 v17, v2
	v_min_u32_e32 v17, 32, v17
	s_delay_alu instid0(VALU_DEP_1) | instskip(NEXT) | instid1(VALU_DEP_1)
	v_subrev_nc_u32_e32 v21, 28, v17
	v_lshlrev_b64_e32 v[24:25], v21, v[2:3]
	s_delay_alu instid0(VALU_DEP_1)
	v_dual_sub_nc_u32 v17, 29, v17 :: v_dual_bitop2_b32 v2, 7, v24 bitop3:0x40
; %bb.5156:                             ;   in Loop: Header=BB4_4811 Depth=3
	s_or_b32 exec_lo, exec_lo, s74
	s_delay_alu instid0(VALU_DEP_1) | instskip(NEXT) | instid1(VALU_DEP_2)
	v_dual_lshlrev_b32 v20, 24, v20 :: v_dual_lshlrev_b32 v2, 20, v2
	v_lshl_add_u32 v17, v17, 23, 0x3c000000
	s_delay_alu instid0(VALU_DEP_2) | instskip(NEXT) | instid1(VALU_DEP_1)
	v_and_b32_e32 v20, 0x80000000, v20
	v_or3_b32 v17, v2, v20, v17
.LBB4_5157:                             ;   in Loop: Header=BB4_4811 Depth=3
	s_or_b32 exec_lo, exec_lo, s45
.LBB4_5158:                             ;   in Loop: Header=BB4_4811 Depth=3
	s_delay_alu instid0(SALU_CYCLE_1)
	s_or_b32 exec_lo, exec_lo, s44
.LBB4_5159:                             ;   in Loop: Header=BB4_4811 Depth=3
	s_delay_alu instid0(SALU_CYCLE_1) | instskip(NEXT) | instid1(SALU_CYCLE_1)
	s_or_b32 exec_lo, exec_lo, s13
	s_mov_b32 s13, exec_lo
	v_cmpx_lt_u32_e32 0xffffff, v18
	s_cbranch_execz .LBB4_5167
; %bb.5160:                             ;   in Loop: Header=BB4_4811 Depth=3
	v_lshrrev_b32_e32 v20, 24, v18
	v_bfrev_b32_e32 v16, 1
	s_mov_b32 s44, exec_lo
	s_delay_alu instid0(VALU_DEP_2)
	v_cmpx_ne_u32_e32 0x80, v20
	s_cbranch_execz .LBB4_5166
; %bb.5161:                             ;   in Loop: Header=BB4_4811 Depth=3
	v_bfe_u32 v21, v18, 24, 7
	v_mov_b32_e32 v16, 0x7f800001
	s_mov_b32 s45, exec_lo
	s_delay_alu instid0(VALU_DEP_2)
	v_cmpx_ne_u32_e32 0x7f, v21
	s_cbranch_execz .LBB4_5165
; %bb.5162:                             ;   in Loop: Header=BB4_4811 Depth=3
	v_dual_lshrrev_b32 v16, 3, v21 :: v_dual_bitop2_b32 v2, 7, v20 bitop3:0x40
	s_mov_b32 s74, exec_lo
	v_cmpx_gt_u32_e32 8, v21
; %bb.5163:                             ;   in Loop: Header=BB4_4811 Depth=3
	s_delay_alu instid0(VALU_DEP_2) | instskip(NEXT) | instid1(VALU_DEP_1)
	v_clz_i32_u32_e32 v16, v2
	v_min_u32_e32 v16, 32, v16
	s_delay_alu instid0(VALU_DEP_1) | instskip(SKIP_1) | instid1(VALU_DEP_2)
	v_subrev_nc_u32_e32 v21, 28, v16
	v_sub_nc_u32_e32 v16, 29, v16
	v_lshlrev_b64_e32 v[24:25], v21, v[2:3]
	s_delay_alu instid0(VALU_DEP_1)
	v_and_b32_e32 v2, 7, v24
; %bb.5164:                             ;   in Loop: Header=BB4_4811 Depth=3
	s_or_b32 exec_lo, exec_lo, s74
	s_delay_alu instid0(VALU_DEP_1) | instskip(SKIP_1) | instid1(VALU_DEP_2)
	v_dual_lshlrev_b32 v20, 24, v20 :: v_dual_lshlrev_b32 v2, 20, v2
	v_lshl_add_u32 v16, v16, 23, 0x3c000000
	v_and_b32_e32 v20, 0x80000000, v20
	s_delay_alu instid0(VALU_DEP_1)
	v_or3_b32 v16, v2, v20, v16
.LBB4_5165:                             ;   in Loop: Header=BB4_4811 Depth=3
	s_or_b32 exec_lo, exec_lo, s45
.LBB4_5166:                             ;   in Loop: Header=BB4_4811 Depth=3
	s_delay_alu instid0(SALU_CYCLE_1)
	s_or_b32 exec_lo, exec_lo, s44
.LBB4_5167:                             ;   in Loop: Header=BB4_4811 Depth=3
	s_delay_alu instid0(SALU_CYCLE_1) | instskip(NEXT) | instid1(VALU_DEP_1)
	s_or_b32 exec_lo, exec_lo, s13
	v_add_f32_e32 v16, v17, v16
                                        ; implicit-def: $vgpr108
	s_mov_b32 s13, exec_lo
	s_delay_alu instid0(VALU_DEP_1) | instskip(SKIP_1) | instid1(VALU_DEP_2)
	v_and_b32_e32 v2, 0x7f800000, v16
	v_lshrrev_b32_e32 v17, 24, v16
	v_cmpx_ne_u64_e32 0x7f800000, v[2:3]
	s_xor_b32 s44, exec_lo, s13
	s_cbranch_execz .LBB4_5181
; %bb.5168:                             ;   in Loop: Header=BB4_4811 Depth=3
	v_and_b32_e32 v2, 0x7fffffff, v16
	v_and_b32_e32 v26, 0x80, v17
                                        ; implicit-def: $vgpr108
	s_mov_b32 s13, exec_lo
	s_delay_alu instid0(VALU_DEP_2)
	v_cmpx_gt_u64_e32 0x43e00001, v[2:3]
	s_xor_b32 s45, exec_lo, s13
	s_cbranch_execz .LBB4_5178
; %bb.5169:                             ;   in Loop: Header=BB4_4811 Depth=3
	v_mov_b32_e32 v108, 0
	s_mov_b32 s74, exec_lo
	v_cmpx_ne_u32_e32 0, v16
	s_cbranch_execz .LBB4_5177
; %bb.5170:                             ;   in Loop: Header=BB4_4811 Depth=3
	v_bfe_u32 v24, v16, 23, 8
	s_delay_alu instid0(VALU_DEP_1) | instskip(SKIP_1) | instid1(VALU_DEP_2)
	v_sub_nc_u32_e32 v2, 0x79, v24
	v_cmp_gt_u32_e32 vcc_lo, 0x7a, v24
	v_cndmask_b32_e32 v2, 0, v2, vcc_lo
	v_cmp_eq_u32_e32 vcc_lo, 0, v24
	s_delay_alu instid0(VALU_DEP_2) | instskip(SKIP_1) | instid1(VALU_DEP_2)
	v_cndmask_b32_e64 v25, v2, 0x78, vcc_lo
	v_and_b32_e32 v2, 0x7fffff, v16
	v_add_nc_u32_e32 v16, 20, v25
	s_delay_alu instid0(VALU_DEP_2) | instskip(SKIP_1) | instid1(VALU_DEP_3)
	v_or_b32_e32 v20, 0x800000, v2
	v_add_nc_u32_e32 v21, 19, v25
	v_lshlrev_b64_e64 v[16:17], v16, -1
	s_delay_alu instid0(VALU_DEP_3) | instskip(NEXT) | instid1(VALU_DEP_3)
	v_cndmask_b32_e32 v2, v20, v2, vcc_lo
	v_lshlrev_b64_e64 v[20:21], v21, 1
	s_delay_alu instid0(VALU_DEP_3) | instskip(NEXT) | instid1(VALU_DEP_3)
	v_bfi_b32 v29, v17, 0, 0
	v_bfi_b32 v28, v16, 0, v2
	v_lshrrev_b64 v[16:17], v25, v[2:3]
	s_delay_alu instid0(VALU_DEP_2) | instskip(NEXT) | instid1(VALU_DEP_2)
	v_cmp_eq_u64_e64 s13, v[28:29], v[20:21]
	v_mov_b64_e32 v[20:21], v[16:17]
	s_and_saveexec_b32 s75, s13
; %bb.5171:                             ;   in Loop: Header=BB4_4811 Depth=3
	v_bfe_u32 v2, v16, 20, 1
	s_delay_alu instid0(VALU_DEP_1) | instskip(NEXT) | instid1(VALU_DEP_1)
	v_add_nc_u64_e32 v[20:21], v[16:17], v[2:3]
	v_add_nc_u64_e32 v[20:21], -1, v[20:21]
; %bb.5172:                             ;   in Loop: Header=BB4_4811 Depth=3
	s_or_b32 exec_lo, exec_lo, s75
	v_add_nc_u32_e32 v2, 0xffffff81, v24
	v_lshrrev_b32_e32 v17, 23, v16
	s_mov_b32 s13, exec_lo
	s_delay_alu instid0(VALU_DEP_2) | instskip(NEXT) | instid1(VALU_DEP_1)
	v_cndmask_b32_e64 v2, v2, 0xffffff82, vcc_lo
	v_add3_u32 v21, v25, v2, v17
	v_and_b32_e32 v2, 0xfffff, v20
                                        ; implicit-def: $vgpr20
	s_delay_alu instid0(VALU_DEP_1) | instskip(NEXT) | instid1(VALU_DEP_1)
	v_dual_add_nc_u32 v24, 6, v21 :: v_dual_add_nc_u32 v2, v2, v16
                                        ; implicit-def: $vgpr16_vgpr17
	v_cmpx_ne_u32_e32 0, v24
	s_xor_b32 s13, exec_lo, s13
; %bb.5173:                             ;   in Loop: Header=BB4_4811 Depth=3
	s_delay_alu instid0(VALU_DEP_2) | instskip(SKIP_1) | instid1(VALU_DEP_1)
	v_cmp_lt_u64_e32 vcc_lo, 0xffffff, v[2:3]
	v_add_nc_u32_e32 v16, 7, v21
	v_cndmask_b32_e32 v20, v24, v16, vcc_lo
	v_cndmask_b32_e64 v16, 0, 1, vcc_lo
	s_delay_alu instid0(VALU_DEP_1)
	v_lshrrev_b64 v[16:17], v16, v[2:3]
; %bb.5174:                             ;   in Loop: Header=BB4_4811 Depth=3
	s_and_not1_saveexec_b32 s13, s13
; %bb.5175:                             ;   in Loop: Header=BB4_4811 Depth=3
	v_mov_b64_e32 v[16:17], v[2:3]
	v_bfe_u32 v20, v2, 23, 1
; %bb.5176:                             ;   in Loop: Header=BB4_4811 Depth=3
	s_or_b32 exec_lo, exec_lo, s13
	s_delay_alu instid0(VALU_DEP_2) | instskip(NEXT) | instid1(VALU_DEP_2)
	v_lshrrev_b64 v[16:17], 20, v[16:17]
	v_cmp_gt_i32_e32 vcc_lo, 16, v20
	v_min_i32_e32 v2, 15, v20
	v_cmp_eq_u32_e64 s13, 0, v20
	s_delay_alu instid0(VALU_DEP_2) | instskip(SKIP_1) | instid1(VALU_DEP_2)
	v_dual_cndmask_b32 v17, 0, v17 :: v_dual_lshlrev_b32 v2, 3, v2
	v_cndmask_b32_e32 v16, 7, v16, vcc_lo
	v_and_b32_e32 v2, 0xf8, v2
	s_delay_alu instid0(VALU_DEP_2) | instskip(NEXT) | instid1(VALU_DEP_2)
	v_cmp_eq_u64_e32 vcc_lo, 0, v[16:17]
	v_and_or_b32 v2, v16, 7, v2
	s_and_b32 s13, s13, vcc_lo
	s_delay_alu instid0(VALU_DEP_1) | instid1(SALU_CYCLE_1)
	v_cndmask_b32_e64 v2, v2, 0, s13
	s_delay_alu instid0(VALU_DEP_1)
	v_or_b32_e32 v108, v2, v26
.LBB4_5177:                             ;   in Loop: Header=BB4_4811 Depth=3
	s_or_b32 exec_lo, exec_lo, s74
                                        ; implicit-def: $vgpr26
.LBB4_5178:                             ;   in Loop: Header=BB4_4811 Depth=3
	s_and_not1_saveexec_b32 s13, s45
; %bb.5179:                             ;   in Loop: Header=BB4_4811 Depth=3
	v_or_b32_e32 v108, 0x7e, v26
; %bb.5180:                             ;   in Loop: Header=BB4_4811 Depth=3
	s_or_b32 exec_lo, exec_lo, s13
                                        ; implicit-def: $vgpr17
.LBB4_5181:                             ;   in Loop: Header=BB4_4811 Depth=3
	s_and_not1_saveexec_b32 s13, s44
; %bb.5182:                             ;   in Loop: Header=BB4_4811 Depth=3
	v_or_b32_e32 v108, 0x7f, v17
; %bb.5183:                             ;   in Loop: Header=BB4_4811 Depth=3
	s_or_b32 exec_lo, exec_lo, s13
	v_and_b32_e32 v20, 0xff, v23
	v_dual_mov_b32 v2, v23 :: v_dual_mov_b32 v17, 0
	v_mov_b32_e32 v16, 0
	s_mov_b32 s13, exec_lo
	s_delay_alu instid0(VALU_DEP_3)
	v_cmpx_ne_u16_e32 0, v20
	s_cbranch_execz .LBB4_5189
; %bb.5184:                             ;   in Loop: Header=BB4_4811 Depth=3
	v_bfrev_b32_e32 v16, 1
	s_mov_b32 s44, exec_lo
	v_cmpx_ne_u16_e32 0x80, v20
	s_cbranch_execz .LBB4_5188
; %bb.5185:                             ;   in Loop: Header=BB4_4811 Depth=3
	v_and_b32_e32 v20, 0x7f, v23
	v_mov_b32_e32 v16, 0x7f800001
	s_mov_b32 s45, exec_lo
	s_delay_alu instid0(VALU_DEP_2)
	v_cmpx_ne_u32_e32 0x7f, v20
	s_cbranch_execz .LBB4_5187
; %bb.5186:                             ;   in Loop: Header=BB4_4811 Depth=3
	v_dual_lshrrev_b32 v21, 3, v20 :: v_dual_bitop2_b32 v16, 7, v23 bitop3:0x40
	v_cmp_gt_u32_e32 vcc_lo, 8, v20
	s_delay_alu instid0(VALU_DEP_2) | instskip(NEXT) | instid1(VALU_DEP_1)
	v_clz_i32_u32_e32 v16, v16
	v_min_u32_e32 v16, 32, v16
	s_delay_alu instid0(VALU_DEP_1) | instskip(SKIP_1) | instid1(VALU_DEP_2)
	v_subrev_nc_u32_e32 v24, 28, v16
	v_sub_nc_u32_e32 v16, 29, v16
	v_cndmask_b32_e32 v20, 0, v24, vcc_lo
	s_delay_alu instid0(VALU_DEP_2) | instskip(NEXT) | instid1(VALU_DEP_2)
	v_cndmask_b32_e32 v16, v21, v16, vcc_lo
	v_lshlrev_b64_e32 v[20:21], v20, v[2:3]
	v_lshlrev_b32_e32 v21, 24, v2
	s_delay_alu instid0(VALU_DEP_3) | instskip(NEXT) | instid1(VALU_DEP_2)
	v_lshl_add_u32 v16, v16, 23, 0x3c000000
	v_and_b32_e32 v21, 0x80000000, v21
	s_delay_alu instid0(VALU_DEP_4) | instskip(NEXT) | instid1(VALU_DEP_1)
	v_lshlrev_b32_e32 v20, 20, v20
	v_and_b32_e32 v20, 0x700000, v20
	s_delay_alu instid0(VALU_DEP_1)
	v_or3_b32 v16, v20, v21, v16
.LBB4_5187:                             ;   in Loop: Header=BB4_4811 Depth=3
	s_or_b32 exec_lo, exec_lo, s45
.LBB4_5188:                             ;   in Loop: Header=BB4_4811 Depth=3
	s_delay_alu instid0(SALU_CYCLE_1)
	s_or_b32 exec_lo, exec_lo, s44
.LBB4_5189:                             ;   in Loop: Header=BB4_4811 Depth=3
	s_delay_alu instid0(SALU_CYCLE_1) | instskip(SKIP_2) | instid1(VALU_DEP_1)
	s_or_b32 exec_lo, exec_lo, s13
	v_and_b32_e32 v20, 0xff, v19
	s_mov_b32 s13, exec_lo
	v_cmpx_ne_u16_e32 0, v20
	s_cbranch_execz .LBB4_5195
; %bb.5190:                             ;   in Loop: Header=BB4_4811 Depth=3
	v_bfrev_b32_e32 v17, 1
	s_mov_b32 s44, exec_lo
	v_cmpx_ne_u16_e32 0x80, v20
	s_cbranch_execz .LBB4_5194
; %bb.5191:                             ;   in Loop: Header=BB4_4811 Depth=3
	v_and_b32_e32 v20, 0x7f, v19
	v_mov_b32_e32 v17, 0x7f800001
	s_mov_b32 s45, exec_lo
	s_delay_alu instid0(VALU_DEP_2)
	v_cmpx_ne_u32_e32 0x7f, v20
	s_cbranch_execz .LBB4_5193
; %bb.5192:                             ;   in Loop: Header=BB4_4811 Depth=3
	v_dual_lshrrev_b32 v24, 3, v20 :: v_dual_bitop2_b32 v17, 7, v19 bitop3:0x40
	v_cmp_gt_u32_e32 vcc_lo, 8, v20
	v_mov_b32_e32 v20, v19
	s_delay_alu instid0(VALU_DEP_3) | instskip(NEXT) | instid1(VALU_DEP_1)
	v_clz_i32_u32_e32 v17, v17
	v_min_u32_e32 v17, 32, v17
	s_delay_alu instid0(VALU_DEP_1) | instskip(SKIP_1) | instid1(VALU_DEP_2)
	v_sub_nc_u32_e32 v25, 29, v17
	v_subrev_nc_u32_e32 v17, 28, v17
	v_dual_mov_b32 v21, v3 :: v_dual_cndmask_b32 v26, v24, v25
	s_delay_alu instid0(VALU_DEP_2) | instskip(NEXT) | instid1(VALU_DEP_1)
	v_cndmask_b32_e32 v17, 0, v17, vcc_lo
	v_lshlrev_b64_e32 v[24:25], v17, v[20:21]
	v_lshlrev_b32_e32 v17, 24, v20
	s_delay_alu instid0(VALU_DEP_4) | instskip(NEXT) | instid1(VALU_DEP_2)
	v_lshl_add_u32 v21, v26, 23, 0x3c000000
	v_and_b32_e32 v17, 0x80000000, v17
	s_delay_alu instid0(VALU_DEP_4) | instskip(NEXT) | instid1(VALU_DEP_1)
	v_lshlrev_b32_e32 v20, 20, v24
	v_and_b32_e32 v20, 0x700000, v20
	s_delay_alu instid0(VALU_DEP_1)
	v_or3_b32 v17, v20, v17, v21
.LBB4_5193:                             ;   in Loop: Header=BB4_4811 Depth=3
	s_or_b32 exec_lo, exec_lo, s45
.LBB4_5194:                             ;   in Loop: Header=BB4_4811 Depth=3
	s_delay_alu instid0(SALU_CYCLE_1)
	s_or_b32 exec_lo, exec_lo, s44
.LBB4_5195:                             ;   in Loop: Header=BB4_4811 Depth=3
	s_delay_alu instid0(SALU_CYCLE_1) | instskip(NEXT) | instid1(VALU_DEP_1)
	s_or_b32 exec_lo, exec_lo, s13
	v_dual_add_f32 v16, v16, v17 :: v_dual_mov_b32 v21, v3
                                        ; implicit-def: $vgpr109
	s_mov_b32 s13, exec_lo
	s_delay_alu instid0(VALU_DEP_1) | instskip(SKIP_1) | instid1(VALU_DEP_2)
	v_and_b32_e32 v20, 0x7f800000, v16
	v_lshrrev_b32_e32 v17, 24, v16
	v_cmpx_ne_u64_e32 0x7f800000, v[20:21]
	s_xor_b32 s44, exec_lo, s13
	s_cbranch_execz .LBB4_5209
; %bb.5196:                             ;   in Loop: Header=BB4_4811 Depth=3
	v_and_b32_e32 v20, 0x7fffffff, v16
	v_mov_b32_e32 v21, v3
	v_and_b32_e32 v26, 0x80, v17
                                        ; implicit-def: $vgpr109
	s_mov_b32 s13, exec_lo
	s_delay_alu instid0(VALU_DEP_2)
	v_cmpx_gt_u64_e32 0x43e00001, v[20:21]
	s_xor_b32 s45, exec_lo, s13
	s_cbranch_execz .LBB4_5206
; %bb.5197:                             ;   in Loop: Header=BB4_4811 Depth=3
	v_mov_b32_e32 v109, 0
	s_mov_b32 s74, exec_lo
	v_cmpx_ne_u32_e32 0, v16
	s_cbranch_execz .LBB4_5205
; %bb.5198:                             ;   in Loop: Header=BB4_4811 Depth=3
	v_bfe_u32 v24, v16, 23, 8
	v_and_b32_e32 v20, 0x7fffff, v16
	s_mov_b32 s75, exec_lo
	s_delay_alu instid0(VALU_DEP_2) | instskip(SKIP_1) | instid1(VALU_DEP_3)
	v_sub_nc_u32_e32 v17, 0x79, v24
	v_cmp_gt_u32_e32 vcc_lo, 0x7a, v24
	v_or_b32_e32 v21, 0x800000, v20
	s_delay_alu instid0(VALU_DEP_3) | instskip(SKIP_1) | instid1(VALU_DEP_3)
	v_cndmask_b32_e32 v17, 0, v17, vcc_lo
	v_cmp_eq_u32_e32 vcc_lo, 0, v24
	v_cndmask_b32_e32 v20, v21, v20, vcc_lo
	s_delay_alu instid0(VALU_DEP_3) | instskip(NEXT) | instid1(VALU_DEP_1)
	v_cndmask_b32_e64 v25, v17, 0x78, vcc_lo
	v_dual_mov_b32 v21, v3 :: v_dual_add_nc_u32 v16, 20, v25
	v_add_nc_u32_e32 v27, 19, v25
	s_delay_alu instid0(VALU_DEP_2) | instskip(NEXT) | instid1(VALU_DEP_2)
	v_lshlrev_b64_e64 v[16:17], v16, -1
	v_lshlrev_b64_e64 v[28:29], v27, 1
	s_delay_alu instid0(VALU_DEP_2) | instskip(NEXT) | instid1(VALU_DEP_3)
	v_bfi_b32 v111, v17, 0, 0
	v_bfi_b32 v110, v16, 0, v20
	v_lshrrev_b64 v[16:17], v25, v[20:21]
	s_delay_alu instid0(VALU_DEP_1) | instskip(NEXT) | instid1(VALU_DEP_3)
	v_mov_b64_e32 v[20:21], v[16:17]
	v_cmpx_eq_u64_e64 v[110:111], v[28:29]
; %bb.5199:                             ;   in Loop: Header=BB4_4811 Depth=3
	v_bfe_u32 v20, v16, 20, 1
	v_mov_b32_e32 v21, v3
	s_delay_alu instid0(VALU_DEP_1) | instskip(NEXT) | instid1(VALU_DEP_1)
	v_add_nc_u64_e32 v[20:21], v[16:17], v[20:21]
	v_add_nc_u64_e32 v[20:21], -1, v[20:21]
; %bb.5200:                             ;   in Loop: Header=BB4_4811 Depth=3
	s_or_b32 exec_lo, exec_lo, s75
	v_add_nc_u32_e32 v17, 0xffffff81, v24
	v_lshrrev_b32_e32 v21, 23, v16
	s_mov_b32 s13, exec_lo
	s_delay_alu instid0(VALU_DEP_2) | instskip(NEXT) | instid1(VALU_DEP_1)
	v_cndmask_b32_e64 v17, v17, 0xffffff82, vcc_lo
	v_add3_u32 v21, v25, v17, v21
	v_and_b32_e32 v17, 0xfffff, v20
                                        ; implicit-def: $vgpr20
	s_delay_alu instid0(VALU_DEP_1) | instskip(SKIP_1) | instid1(VALU_DEP_2)
	v_dual_add_nc_u32 v24, 6, v21 :: v_dual_add_nc_u32 v16, v17, v16
	v_mov_b32_e32 v17, v3
	v_cmpx_ne_u32_e32 0, v24
	s_xor_b32 s13, exec_lo, s13
; %bb.5201:                             ;   in Loop: Header=BB4_4811 Depth=3
	s_delay_alu instid0(VALU_DEP_2) | instskip(SKIP_2) | instid1(VALU_DEP_2)
	v_cmp_lt_u64_e32 vcc_lo, 0xffffff, v[16:17]
	v_add_nc_u32_e32 v20, 7, v21
	v_cndmask_b32_e64 v21, 0, 1, vcc_lo
	v_cndmask_b32_e32 v20, v24, v20, vcc_lo
	s_delay_alu instid0(VALU_DEP_2)
	v_lshrrev_b64 v[16:17], v21, v[16:17]
; %bb.5202:                             ;   in Loop: Header=BB4_4811 Depth=3
	s_and_not1_saveexec_b32 s13, s13
; %bb.5203:                             ;   in Loop: Header=BB4_4811 Depth=3
	s_delay_alu instid0(VALU_DEP_1)
	v_bfe_u32 v20, v16, 23, 1
; %bb.5204:                             ;   in Loop: Header=BB4_4811 Depth=3
	s_or_b32 exec_lo, exec_lo, s13
	s_delay_alu instid0(VALU_DEP_2) | instskip(NEXT) | instid1(VALU_DEP_2)
	v_lshrrev_b64 v[16:17], 20, v[16:17]
	v_cmp_gt_i32_e32 vcc_lo, 16, v20
	v_min_i32_e32 v21, 15, v20
	v_cmp_eq_u32_e64 s13, 0, v20
	s_delay_alu instid0(VALU_DEP_4) | instskip(NEXT) | instid1(VALU_DEP_3)
	v_cndmask_b32_e32 v17, 0, v17, vcc_lo
	v_dual_cndmask_b32 v16, 7, v16 :: v_dual_lshlrev_b32 v21, 3, v21
	s_delay_alu instid0(VALU_DEP_1) | instskip(NEXT) | instid1(VALU_DEP_2)
	v_and_b32_e32 v21, 0xf8, v21
	v_cmp_eq_u64_e32 vcc_lo, 0, v[16:17]
	s_delay_alu instid0(VALU_DEP_2)
	v_and_or_b32 v16, v16, 7, v21
	s_and_b32 s13, s13, vcc_lo
	s_delay_alu instid0(VALU_DEP_1) | instid1(SALU_CYCLE_1)
	v_cndmask_b32_e64 v16, v16, 0, s13
	s_delay_alu instid0(VALU_DEP_1)
	v_or_b32_e32 v109, v16, v26
.LBB4_5205:                             ;   in Loop: Header=BB4_4811 Depth=3
	s_or_b32 exec_lo, exec_lo, s74
                                        ; implicit-def: $vgpr26
.LBB4_5206:                             ;   in Loop: Header=BB4_4811 Depth=3
	s_and_not1_saveexec_b32 s13, s45
; %bb.5207:                             ;   in Loop: Header=BB4_4811 Depth=3
	v_or_b32_e32 v109, 0x7e, v26
; %bb.5208:                             ;   in Loop: Header=BB4_4811 Depth=3
	s_or_b32 exec_lo, exec_lo, s13
                                        ; implicit-def: $vgpr17
.LBB4_5209:                             ;   in Loop: Header=BB4_4811 Depth=3
	s_and_not1_saveexec_b32 s13, s44
; %bb.5210:                             ;   in Loop: Header=BB4_4811 Depth=3
	v_or_b32_e32 v109, 0x7f, v17
; %bb.5211:                             ;   in Loop: Header=BB4_4811 Depth=3
	s_or_b32 exec_lo, exec_lo, s13
	v_lshrrev_b16 v17, 8, v2
	v_dual_mov_b32 v20, 0 :: v_dual_mov_b32 v16, 0
	s_mov_b32 s13, exec_lo
	s_delay_alu instid0(VALU_DEP_2)
	v_cmpx_ne_u16_e32 0, v17
	s_cbranch_execz .LBB4_5219
; %bb.5212:                             ;   in Loop: Header=BB4_4811 Depth=3
	v_bfrev_b32_e32 v16, 1
	s_mov_b32 s44, exec_lo
	v_cmpx_ne_u16_e32 0x80, v17
	s_cbranch_execz .LBB4_5218
; %bb.5213:                             ;   in Loop: Header=BB4_4811 Depth=3
	v_and_b32_e32 v17, 0xffff, v17
	v_mov_b32_e32 v16, 0x7f800001
	s_mov_b32 s45, exec_lo
	s_delay_alu instid0(VALU_DEP_2) | instskip(NEXT) | instid1(VALU_DEP_1)
	v_and_b32_e32 v24, 0x7f, v17
	v_cmpx_ne_u32_e32 0x7f, v24
	s_cbranch_execz .LBB4_5217
; %bb.5214:                             ;   in Loop: Header=BB4_4811 Depth=3
	v_dual_mov_b32 v17, v3 :: v_dual_bitop2_b32 v16, 7, v17 bitop3:0x40
	v_lshrrev_b32_e32 v21, 3, v24
	s_mov_b32 s74, exec_lo
	v_cmpx_gt_u32_e32 8, v24
; %bb.5215:                             ;   in Loop: Header=BB4_4811 Depth=3
	s_delay_alu instid0(VALU_DEP_3) | instskip(NEXT) | instid1(VALU_DEP_1)
	v_clz_i32_u32_e32 v21, v16
	v_min_u32_e32 v21, 32, v21
	s_delay_alu instid0(VALU_DEP_1) | instskip(NEXT) | instid1(VALU_DEP_1)
	v_subrev_nc_u32_e32 v24, 28, v21
	v_lshlrev_b64_e32 v[16:17], v24, v[16:17]
	s_delay_alu instid0(VALU_DEP_1)
	v_dual_sub_nc_u32 v21, 29, v21 :: v_dual_bitop2_b32 v16, 7, v16 bitop3:0x40
; %bb.5216:                             ;   in Loop: Header=BB4_4811 Depth=3
	s_or_b32 exec_lo, exec_lo, s74
	s_delay_alu instid0(VALU_DEP_1) | instskip(NEXT) | instid1(VALU_DEP_2)
	v_dual_lshlrev_b32 v2, 16, v2 :: v_dual_lshlrev_b32 v16, 20, v16
	v_lshl_add_u32 v17, v21, 23, 0x3c000000
	s_delay_alu instid0(VALU_DEP_2) | instskip(NEXT) | instid1(VALU_DEP_1)
	v_and_b32_e32 v2, 0x80000000, v2
	v_or3_b32 v16, v16, v2, v17
.LBB4_5217:                             ;   in Loop: Header=BB4_4811 Depth=3
	s_or_b32 exec_lo, exec_lo, s45
.LBB4_5218:                             ;   in Loop: Header=BB4_4811 Depth=3
	s_delay_alu instid0(SALU_CYCLE_1)
	s_or_b32 exec_lo, exec_lo, s44
.LBB4_5219:                             ;   in Loop: Header=BB4_4811 Depth=3
	s_delay_alu instid0(SALU_CYCLE_1) | instskip(SKIP_2) | instid1(VALU_DEP_1)
	s_or_b32 exec_lo, exec_lo, s13
	v_lshrrev_b16 v2, 8, v19
	s_mov_b32 s13, exec_lo
	v_cmpx_ne_u16_e32 0, v2
	s_cbranch_execz .LBB4_5227
; %bb.5220:                             ;   in Loop: Header=BB4_4811 Depth=3
	v_bfrev_b32_e32 v20, 1
	s_mov_b32 s44, exec_lo
	v_cmpx_ne_u16_e32 0x80, v2
	s_cbranch_execz .LBB4_5226
; %bb.5221:                             ;   in Loop: Header=BB4_4811 Depth=3
	v_and_b32_e32 v2, 0xffff, v2
	v_mov_b32_e32 v20, 0x7f800001
	s_mov_b32 s45, exec_lo
	s_delay_alu instid0(VALU_DEP_2) | instskip(NEXT) | instid1(VALU_DEP_1)
	v_and_b32_e32 v21, 0x7f, v2
	v_cmpx_ne_u32_e32 0x7f, v21
	s_cbranch_execz .LBB4_5225
; %bb.5222:                             ;   in Loop: Header=BB4_4811 Depth=3
	v_dual_lshrrev_b32 v17, 3, v21 :: v_dual_bitop2_b32 v2, 7, v2 bitop3:0x40
	s_mov_b32 s74, exec_lo
	v_cmpx_gt_u32_e32 8, v21
; %bb.5223:                             ;   in Loop: Header=BB4_4811 Depth=3
	s_delay_alu instid0(VALU_DEP_2) | instskip(NEXT) | instid1(VALU_DEP_1)
	v_clz_i32_u32_e32 v17, v2
	v_min_u32_e32 v17, 32, v17
	s_delay_alu instid0(VALU_DEP_1) | instskip(NEXT) | instid1(VALU_DEP_1)
	v_subrev_nc_u32_e32 v20, 28, v17
	v_lshlrev_b64_e32 v[20:21], v20, v[2:3]
	s_delay_alu instid0(VALU_DEP_1)
	v_dual_sub_nc_u32 v17, 29, v17 :: v_dual_bitop2_b32 v2, 7, v20 bitop3:0x40
; %bb.5224:                             ;   in Loop: Header=BB4_4811 Depth=3
	s_or_b32 exec_lo, exec_lo, s74
	s_delay_alu instid0(VALU_DEP_1) | instskip(NEXT) | instid1(VALU_DEP_2)
	v_dual_lshlrev_b32 v20, 16, v19 :: v_dual_lshlrev_b32 v2, 20, v2
	v_lshl_add_u32 v17, v17, 23, 0x3c000000
	s_delay_alu instid0(VALU_DEP_2) | instskip(NEXT) | instid1(VALU_DEP_1)
	v_and_b32_e32 v20, 0x80000000, v20
	v_or3_b32 v20, v2, v20, v17
.LBB4_5225:                             ;   in Loop: Header=BB4_4811 Depth=3
	s_or_b32 exec_lo, exec_lo, s45
.LBB4_5226:                             ;   in Loop: Header=BB4_4811 Depth=3
	s_delay_alu instid0(SALU_CYCLE_1)
	s_or_b32 exec_lo, exec_lo, s44
.LBB4_5227:                             ;   in Loop: Header=BB4_4811 Depth=3
	s_delay_alu instid0(SALU_CYCLE_1) | instskip(NEXT) | instid1(VALU_DEP_1)
	s_or_b32 exec_lo, exec_lo, s13
	v_add_f32_e32 v16, v16, v20
                                        ; implicit-def: $vgpr110
	s_mov_b32 s13, exec_lo
	s_delay_alu instid0(VALU_DEP_1) | instskip(SKIP_1) | instid1(VALU_DEP_2)
	v_and_b32_e32 v2, 0x7f800000, v16
	v_lshrrev_b32_e32 v17, 24, v16
	v_cmpx_ne_u64_e32 0x7f800000, v[2:3]
	s_xor_b32 s44, exec_lo, s13
	s_cbranch_execz .LBB4_5241
; %bb.5228:                             ;   in Loop: Header=BB4_4811 Depth=3
	v_and_b32_e32 v2, 0x7fffffff, v16
	v_and_b32_e32 v26, 0x80, v17
                                        ; implicit-def: $vgpr110
	s_mov_b32 s13, exec_lo
	s_delay_alu instid0(VALU_DEP_2)
	v_cmpx_gt_u64_e32 0x43e00001, v[2:3]
	s_xor_b32 s45, exec_lo, s13
	s_cbranch_execz .LBB4_5238
; %bb.5229:                             ;   in Loop: Header=BB4_4811 Depth=3
	v_mov_b32_e32 v110, 0
	s_mov_b32 s74, exec_lo
	v_cmpx_ne_u32_e32 0, v16
	s_cbranch_execz .LBB4_5237
; %bb.5230:                             ;   in Loop: Header=BB4_4811 Depth=3
	v_bfe_u32 v24, v16, 23, 8
	s_delay_alu instid0(VALU_DEP_1) | instskip(SKIP_1) | instid1(VALU_DEP_2)
	v_sub_nc_u32_e32 v2, 0x79, v24
	v_cmp_gt_u32_e32 vcc_lo, 0x7a, v24
	v_cndmask_b32_e32 v2, 0, v2, vcc_lo
	v_cmp_eq_u32_e32 vcc_lo, 0, v24
	s_delay_alu instid0(VALU_DEP_2) | instskip(SKIP_1) | instid1(VALU_DEP_2)
	v_cndmask_b32_e64 v25, v2, 0x78, vcc_lo
	v_and_b32_e32 v2, 0x7fffff, v16
	v_add_nc_u32_e32 v16, 20, v25
	s_delay_alu instid0(VALU_DEP_2) | instskip(SKIP_1) | instid1(VALU_DEP_3)
	v_or_b32_e32 v20, 0x800000, v2
	v_add_nc_u32_e32 v21, 19, v25
	v_lshlrev_b64_e64 v[16:17], v16, -1
	s_delay_alu instid0(VALU_DEP_3) | instskip(NEXT) | instid1(VALU_DEP_3)
	v_cndmask_b32_e32 v2, v20, v2, vcc_lo
	v_lshlrev_b64_e64 v[20:21], v21, 1
	s_delay_alu instid0(VALU_DEP_3) | instskip(NEXT) | instid1(VALU_DEP_3)
	v_bfi_b32 v29, v17, 0, 0
	v_bfi_b32 v28, v16, 0, v2
	v_lshrrev_b64 v[16:17], v25, v[2:3]
	s_delay_alu instid0(VALU_DEP_2) | instskip(NEXT) | instid1(VALU_DEP_2)
	v_cmp_eq_u64_e64 s13, v[28:29], v[20:21]
	v_mov_b64_e32 v[20:21], v[16:17]
	s_and_saveexec_b32 s75, s13
; %bb.5231:                             ;   in Loop: Header=BB4_4811 Depth=3
	v_bfe_u32 v2, v16, 20, 1
	s_delay_alu instid0(VALU_DEP_1) | instskip(NEXT) | instid1(VALU_DEP_1)
	v_add_nc_u64_e32 v[20:21], v[16:17], v[2:3]
	v_add_nc_u64_e32 v[20:21], -1, v[20:21]
; %bb.5232:                             ;   in Loop: Header=BB4_4811 Depth=3
	s_or_b32 exec_lo, exec_lo, s75
	v_add_nc_u32_e32 v2, 0xffffff81, v24
	v_lshrrev_b32_e32 v17, 23, v16
	s_mov_b32 s13, exec_lo
	s_delay_alu instid0(VALU_DEP_2) | instskip(NEXT) | instid1(VALU_DEP_1)
	v_cndmask_b32_e64 v2, v2, 0xffffff82, vcc_lo
	v_add3_u32 v21, v25, v2, v17
	v_and_b32_e32 v2, 0xfffff, v20
                                        ; implicit-def: $vgpr20
	s_delay_alu instid0(VALU_DEP_1) | instskip(NEXT) | instid1(VALU_DEP_1)
	v_dual_add_nc_u32 v24, 6, v21 :: v_dual_add_nc_u32 v2, v2, v16
                                        ; implicit-def: $vgpr16_vgpr17
	v_cmpx_ne_u32_e32 0, v24
	s_xor_b32 s13, exec_lo, s13
; %bb.5233:                             ;   in Loop: Header=BB4_4811 Depth=3
	s_delay_alu instid0(VALU_DEP_2) | instskip(SKIP_1) | instid1(VALU_DEP_1)
	v_cmp_lt_u64_e32 vcc_lo, 0xffffff, v[2:3]
	v_add_nc_u32_e32 v16, 7, v21
	v_cndmask_b32_e32 v20, v24, v16, vcc_lo
	v_cndmask_b32_e64 v16, 0, 1, vcc_lo
	s_delay_alu instid0(VALU_DEP_1)
	v_lshrrev_b64 v[16:17], v16, v[2:3]
; %bb.5234:                             ;   in Loop: Header=BB4_4811 Depth=3
	s_and_not1_saveexec_b32 s13, s13
; %bb.5235:                             ;   in Loop: Header=BB4_4811 Depth=3
	v_mov_b64_e32 v[16:17], v[2:3]
	v_bfe_u32 v20, v2, 23, 1
; %bb.5236:                             ;   in Loop: Header=BB4_4811 Depth=3
	s_or_b32 exec_lo, exec_lo, s13
	s_delay_alu instid0(VALU_DEP_2) | instskip(NEXT) | instid1(VALU_DEP_2)
	v_lshrrev_b64 v[16:17], 20, v[16:17]
	v_cmp_gt_i32_e32 vcc_lo, 16, v20
	v_min_i32_e32 v2, 15, v20
	v_cmp_eq_u32_e64 s13, 0, v20
	s_delay_alu instid0(VALU_DEP_2) | instskip(SKIP_1) | instid1(VALU_DEP_2)
	v_dual_cndmask_b32 v17, 0, v17 :: v_dual_lshlrev_b32 v2, 3, v2
	v_cndmask_b32_e32 v16, 7, v16, vcc_lo
	v_and_b32_e32 v2, 0xf8, v2
	s_delay_alu instid0(VALU_DEP_2) | instskip(NEXT) | instid1(VALU_DEP_2)
	v_cmp_eq_u64_e32 vcc_lo, 0, v[16:17]
	v_and_or_b32 v2, v16, 7, v2
	s_and_b32 s13, s13, vcc_lo
	s_delay_alu instid0(VALU_DEP_1) | instid1(SALU_CYCLE_1)
	v_cndmask_b32_e64 v2, v2, 0, s13
	s_delay_alu instid0(VALU_DEP_1)
	v_or_b32_e32 v110, v2, v26
.LBB4_5237:                             ;   in Loop: Header=BB4_4811 Depth=3
	s_or_b32 exec_lo, exec_lo, s74
                                        ; implicit-def: $vgpr26
.LBB4_5238:                             ;   in Loop: Header=BB4_4811 Depth=3
	s_and_not1_saveexec_b32 s13, s45
; %bb.5239:                             ;   in Loop: Header=BB4_4811 Depth=3
	v_or_b32_e32 v110, 0x7e, v26
; %bb.5240:                             ;   in Loop: Header=BB4_4811 Depth=3
	s_or_b32 exec_lo, exec_lo, s13
                                        ; implicit-def: $vgpr17
.LBB4_5241:                             ;   in Loop: Header=BB4_4811 Depth=3
	s_and_not1_saveexec_b32 s13, s44
; %bb.5242:                             ;   in Loop: Header=BB4_4811 Depth=3
	v_or_b32_e32 v110, 0x7f, v17
; %bb.5243:                             ;   in Loop: Header=BB4_4811 Depth=3
	s_or_b32 exec_lo, exec_lo, s13
	v_dual_lshrrev_b32 v20, 16, v23 :: v_dual_mov_b32 v16, 0
	v_mov_b32_e32 v17, 0
	s_mov_b32 s13, exec_lo
	s_delay_alu instid0(VALU_DEP_2) | instskip(NEXT) | instid1(VALU_DEP_1)
	v_and_b32_e32 v2, 0xff, v20
	v_cmpx_ne_u16_e32 0, v2
	s_cbranch_execz .LBB4_5251
; %bb.5244:                             ;   in Loop: Header=BB4_4811 Depth=3
	v_bfrev_b32_e32 v17, 1
	s_mov_b32 s44, exec_lo
	v_cmpx_ne_u16_e32 0x80, v2
	s_cbranch_execz .LBB4_5250
; %bb.5245:                             ;   in Loop: Header=BB4_4811 Depth=3
	v_bfe_u32 v21, v23, 16, 7
	v_mov_b32_e32 v17, 0x7f800001
	s_mov_b32 s45, exec_lo
	s_delay_alu instid0(VALU_DEP_2)
	v_cmpx_ne_u32_e32 0x7f, v21
	s_cbranch_execz .LBB4_5249
; %bb.5246:                             ;   in Loop: Header=BB4_4811 Depth=3
	v_dual_lshrrev_b32 v17, 3, v21 :: v_dual_bitop2_b32 v2, 7, v20 bitop3:0x40
	s_mov_b32 s74, exec_lo
	v_cmpx_gt_u32_e32 8, v21
; %bb.5247:                             ;   in Loop: Header=BB4_4811 Depth=3
	s_delay_alu instid0(VALU_DEP_2) | instskip(NEXT) | instid1(VALU_DEP_1)
	v_clz_i32_u32_e32 v17, v2
	v_min_u32_e32 v17, 32, v17
	s_delay_alu instid0(VALU_DEP_1) | instskip(NEXT) | instid1(VALU_DEP_1)
	v_subrev_nc_u32_e32 v21, 28, v17
	v_lshlrev_b64_e32 v[24:25], v21, v[2:3]
	s_delay_alu instid0(VALU_DEP_1)
	v_dual_sub_nc_u32 v17, 29, v17 :: v_dual_bitop2_b32 v2, 7, v24 bitop3:0x40
; %bb.5248:                             ;   in Loop: Header=BB4_4811 Depth=3
	s_or_b32 exec_lo, exec_lo, s74
	s_delay_alu instid0(VALU_DEP_1) | instskip(NEXT) | instid1(VALU_DEP_2)
	v_dual_lshlrev_b32 v20, 24, v20 :: v_dual_lshlrev_b32 v2, 20, v2
	v_lshl_add_u32 v17, v17, 23, 0x3c000000
	s_delay_alu instid0(VALU_DEP_2) | instskip(NEXT) | instid1(VALU_DEP_1)
	v_and_b32_e32 v20, 0x80000000, v20
	v_or3_b32 v17, v2, v20, v17
.LBB4_5249:                             ;   in Loop: Header=BB4_4811 Depth=3
	s_or_b32 exec_lo, exec_lo, s45
.LBB4_5250:                             ;   in Loop: Header=BB4_4811 Depth=3
	s_delay_alu instid0(SALU_CYCLE_1)
	s_or_b32 exec_lo, exec_lo, s44
.LBB4_5251:                             ;   in Loop: Header=BB4_4811 Depth=3
	s_delay_alu instid0(SALU_CYCLE_1) | instskip(SKIP_2) | instid1(VALU_DEP_1)
	s_or_b32 exec_lo, exec_lo, s13
	v_lshrrev_b32_e32 v2, 16, v19
	s_mov_b32 s13, exec_lo
	v_and_b32_e32 v20, 0xff, v2
	s_delay_alu instid0(VALU_DEP_1)
	v_cmpx_ne_u16_e32 0, v20
	s_cbranch_execz .LBB4_5259
; %bb.5252:                             ;   in Loop: Header=BB4_4811 Depth=3
	v_bfrev_b32_e32 v16, 1
	s_mov_b32 s44, exec_lo
	v_cmpx_ne_u16_e32 0x80, v20
	s_cbranch_execz .LBB4_5258
; %bb.5253:                             ;   in Loop: Header=BB4_4811 Depth=3
	v_bfe_u32 v20, v19, 16, 7
	v_mov_b32_e32 v16, 0x7f800001
	s_mov_b32 s45, exec_lo
	s_delay_alu instid0(VALU_DEP_2)
	v_cmpx_ne_u32_e32 0x7f, v20
	s_cbranch_execz .LBB4_5257
; %bb.5254:                             ;   in Loop: Header=BB4_4811 Depth=3
	v_dual_lshrrev_b32 v16, 3, v20 :: v_dual_bitop2_b32 v2, 7, v2 bitop3:0x40
	s_mov_b32 s74, exec_lo
	v_cmpx_gt_u32_e32 8, v20
; %bb.5255:                             ;   in Loop: Header=BB4_4811 Depth=3
	s_delay_alu instid0(VALU_DEP_2) | instskip(NEXT) | instid1(VALU_DEP_1)
	v_clz_i32_u32_e32 v16, v2
	v_min_u32_e32 v16, 32, v16
	s_delay_alu instid0(VALU_DEP_1) | instskip(SKIP_1) | instid1(VALU_DEP_2)
	v_subrev_nc_u32_e32 v20, 28, v16
	v_sub_nc_u32_e32 v16, 29, v16
	v_lshlrev_b64_e32 v[20:21], v20, v[2:3]
	s_delay_alu instid0(VALU_DEP_1)
	v_and_b32_e32 v2, 7, v20
; %bb.5256:                             ;   in Loop: Header=BB4_4811 Depth=3
	s_or_b32 exec_lo, exec_lo, s74
	s_delay_alu instid0(VALU_DEP_1) | instskip(SKIP_1) | instid1(VALU_DEP_2)
	v_dual_lshlrev_b32 v20, 8, v19 :: v_dual_lshlrev_b32 v2, 20, v2
	v_lshl_add_u32 v16, v16, 23, 0x3c000000
	v_and_b32_e32 v20, 0x80000000, v20
	s_delay_alu instid0(VALU_DEP_1)
	v_or3_b32 v16, v2, v20, v16
.LBB4_5257:                             ;   in Loop: Header=BB4_4811 Depth=3
	s_or_b32 exec_lo, exec_lo, s45
.LBB4_5258:                             ;   in Loop: Header=BB4_4811 Depth=3
	s_delay_alu instid0(SALU_CYCLE_1)
	s_or_b32 exec_lo, exec_lo, s44
.LBB4_5259:                             ;   in Loop: Header=BB4_4811 Depth=3
	s_delay_alu instid0(SALU_CYCLE_1) | instskip(NEXT) | instid1(VALU_DEP_1)
	s_or_b32 exec_lo, exec_lo, s13
	v_add_f32_e32 v16, v17, v16
                                        ; implicit-def: $vgpr20
	s_mov_b32 s13, exec_lo
	s_delay_alu instid0(VALU_DEP_1) | instskip(SKIP_1) | instid1(VALU_DEP_2)
	v_and_b32_e32 v2, 0x7f800000, v16
	v_lshrrev_b32_e32 v17, 24, v16
	v_cmpx_ne_u64_e32 0x7f800000, v[2:3]
	s_xor_b32 s44, exec_lo, s13
	s_cbranch_execz .LBB4_5273
; %bb.5260:                             ;   in Loop: Header=BB4_4811 Depth=3
	v_and_b32_e32 v2, 0x7fffffff, v16
	v_and_b32_e32 v26, 0x80, v17
                                        ; implicit-def: $vgpr20
	s_mov_b32 s13, exec_lo
	s_delay_alu instid0(VALU_DEP_2)
	v_cmpx_gt_u64_e32 0x43e00001, v[2:3]
	s_xor_b32 s45, exec_lo, s13
	s_cbranch_execz .LBB4_5270
; %bb.5261:                             ;   in Loop: Header=BB4_4811 Depth=3
	v_mov_b32_e32 v20, 0
	s_mov_b32 s74, exec_lo
	v_cmpx_ne_u32_e32 0, v16
	s_cbranch_execz .LBB4_5269
; %bb.5262:                             ;   in Loop: Header=BB4_4811 Depth=3
	v_bfe_u32 v24, v16, 23, 8
	s_delay_alu instid0(VALU_DEP_1) | instskip(SKIP_1) | instid1(VALU_DEP_2)
	v_sub_nc_u32_e32 v2, 0x79, v24
	v_cmp_gt_u32_e32 vcc_lo, 0x7a, v24
	v_cndmask_b32_e32 v2, 0, v2, vcc_lo
	v_cmp_eq_u32_e32 vcc_lo, 0, v24
	s_delay_alu instid0(VALU_DEP_2) | instskip(SKIP_1) | instid1(VALU_DEP_2)
	v_cndmask_b32_e64 v25, v2, 0x78, vcc_lo
	v_and_b32_e32 v2, 0x7fffff, v16
	v_add_nc_u32_e32 v16, 20, v25
	s_delay_alu instid0(VALU_DEP_2) | instskip(SKIP_1) | instid1(VALU_DEP_3)
	v_or_b32_e32 v20, 0x800000, v2
	v_add_nc_u32_e32 v21, 19, v25
	v_lshlrev_b64_e64 v[16:17], v16, -1
	s_delay_alu instid0(VALU_DEP_3) | instskip(NEXT) | instid1(VALU_DEP_3)
	v_cndmask_b32_e32 v2, v20, v2, vcc_lo
	v_lshlrev_b64_e64 v[20:21], v21, 1
	s_delay_alu instid0(VALU_DEP_3) | instskip(NEXT) | instid1(VALU_DEP_3)
	v_bfi_b32 v29, v17, 0, 0
	v_bfi_b32 v28, v16, 0, v2
	v_lshrrev_b64 v[16:17], v25, v[2:3]
	s_delay_alu instid0(VALU_DEP_2) | instskip(NEXT) | instid1(VALU_DEP_2)
	v_cmp_eq_u64_e64 s13, v[28:29], v[20:21]
	v_mov_b64_e32 v[20:21], v[16:17]
	s_and_saveexec_b32 s75, s13
; %bb.5263:                             ;   in Loop: Header=BB4_4811 Depth=3
	v_bfe_u32 v2, v16, 20, 1
	s_delay_alu instid0(VALU_DEP_1) | instskip(NEXT) | instid1(VALU_DEP_1)
	v_add_nc_u64_e32 v[20:21], v[16:17], v[2:3]
	v_add_nc_u64_e32 v[20:21], -1, v[20:21]
; %bb.5264:                             ;   in Loop: Header=BB4_4811 Depth=3
	s_or_b32 exec_lo, exec_lo, s75
	v_add_nc_u32_e32 v2, 0xffffff81, v24
	v_lshrrev_b32_e32 v17, 23, v16
	s_mov_b32 s13, exec_lo
	s_delay_alu instid0(VALU_DEP_2) | instskip(NEXT) | instid1(VALU_DEP_1)
	v_cndmask_b32_e64 v2, v2, 0xffffff82, vcc_lo
	v_add3_u32 v21, v25, v2, v17
	v_and_b32_e32 v2, 0xfffff, v20
                                        ; implicit-def: $vgpr20
	s_delay_alu instid0(VALU_DEP_1) | instskip(NEXT) | instid1(VALU_DEP_1)
	v_dual_add_nc_u32 v24, 6, v21 :: v_dual_add_nc_u32 v2, v2, v16
                                        ; implicit-def: $vgpr16_vgpr17
	v_cmpx_ne_u32_e32 0, v24
	s_xor_b32 s13, exec_lo, s13
; %bb.5265:                             ;   in Loop: Header=BB4_4811 Depth=3
	s_delay_alu instid0(VALU_DEP_2) | instskip(SKIP_1) | instid1(VALU_DEP_1)
	v_cmp_lt_u64_e32 vcc_lo, 0xffffff, v[2:3]
	v_add_nc_u32_e32 v16, 7, v21
	v_cndmask_b32_e32 v20, v24, v16, vcc_lo
	v_cndmask_b32_e64 v16, 0, 1, vcc_lo
	s_delay_alu instid0(VALU_DEP_1)
	v_lshrrev_b64 v[16:17], v16, v[2:3]
; %bb.5266:                             ;   in Loop: Header=BB4_4811 Depth=3
	s_and_not1_saveexec_b32 s13, s13
; %bb.5267:                             ;   in Loop: Header=BB4_4811 Depth=3
	v_mov_b64_e32 v[16:17], v[2:3]
	v_bfe_u32 v20, v2, 23, 1
; %bb.5268:                             ;   in Loop: Header=BB4_4811 Depth=3
	s_or_b32 exec_lo, exec_lo, s13
	s_delay_alu instid0(VALU_DEP_2) | instskip(NEXT) | instid1(VALU_DEP_2)
	v_lshrrev_b64 v[16:17], 20, v[16:17]
	v_cmp_gt_i32_e32 vcc_lo, 16, v20
	v_min_i32_e32 v2, 15, v20
	v_cmp_eq_u32_e64 s13, 0, v20
	s_delay_alu instid0(VALU_DEP_2) | instskip(SKIP_1) | instid1(VALU_DEP_2)
	v_dual_cndmask_b32 v17, 0, v17 :: v_dual_lshlrev_b32 v2, 3, v2
	v_cndmask_b32_e32 v16, 7, v16, vcc_lo
	v_and_b32_e32 v2, 0xf8, v2
	s_delay_alu instid0(VALU_DEP_2) | instskip(NEXT) | instid1(VALU_DEP_2)
	v_cmp_eq_u64_e32 vcc_lo, 0, v[16:17]
	v_and_or_b32 v2, v16, 7, v2
	s_and_b32 s13, s13, vcc_lo
	s_delay_alu instid0(VALU_DEP_1) | instid1(SALU_CYCLE_1)
	v_cndmask_b32_e64 v2, v2, 0, s13
	s_delay_alu instid0(VALU_DEP_1)
	v_or_b32_e32 v20, v2, v26
.LBB4_5269:                             ;   in Loop: Header=BB4_4811 Depth=3
	s_or_b32 exec_lo, exec_lo, s74
                                        ; implicit-def: $vgpr26
.LBB4_5270:                             ;   in Loop: Header=BB4_4811 Depth=3
	s_and_not1_saveexec_b32 s13, s45
; %bb.5271:                             ;   in Loop: Header=BB4_4811 Depth=3
	v_or_b32_e32 v20, 0x7e, v26
; %bb.5272:                             ;   in Loop: Header=BB4_4811 Depth=3
	s_or_b32 exec_lo, exec_lo, s13
                                        ; implicit-def: $vgpr17
.LBB4_5273:                             ;   in Loop: Header=BB4_4811 Depth=3
	s_and_not1_saveexec_b32 s13, s44
; %bb.5274:                             ;   in Loop: Header=BB4_4811 Depth=3
	v_or_b32_e32 v20, 0x7f, v17
; %bb.5275:                             ;   in Loop: Header=BB4_4811 Depth=3
	s_or_b32 exec_lo, exec_lo, s13
	v_dual_mov_b32 v16, 0 :: v_dual_mov_b32 v21, 0
	s_mov_b32 s13, exec_lo
	v_cmpx_lt_u64_e64 s[22:23], v[22:23]
	s_cbranch_execz .LBB4_5283
; %bb.5276:                             ;   in Loop: Header=BB4_4811 Depth=3
	v_lshrrev_b32_e32 v17, 24, v23
	v_bfrev_b32_e32 v21, 1
	s_mov_b32 s44, exec_lo
	s_delay_alu instid0(VALU_DEP_2)
	v_cmpx_ne_u32_e32 0x80, v17
	s_cbranch_execz .LBB4_5282
; %bb.5277:                             ;   in Loop: Header=BB4_4811 Depth=3
	v_bfe_u32 v22, v23, 24, 7
	v_mov_b32_e32 v21, 0x7f800001
	s_mov_b32 s45, exec_lo
	s_delay_alu instid0(VALU_DEP_2)
	v_cmpx_ne_u32_e32 0x7f, v22
	s_cbranch_execz .LBB4_5281
; %bb.5278:                             ;   in Loop: Header=BB4_4811 Depth=3
	v_dual_lshrrev_b32 v21, 3, v22 :: v_dual_bitop2_b32 v2, 7, v17 bitop3:0x40
	s_mov_b32 s74, exec_lo
	v_cmpx_gt_u32_e32 8, v22
; %bb.5279:                             ;   in Loop: Header=BB4_4811 Depth=3
	s_delay_alu instid0(VALU_DEP_2) | instskip(NEXT) | instid1(VALU_DEP_1)
	v_clz_i32_u32_e32 v21, v2
	v_min_u32_e32 v21, 32, v21
	s_delay_alu instid0(VALU_DEP_1) | instskip(NEXT) | instid1(VALU_DEP_1)
	v_subrev_nc_u32_e32 v22, 28, v21
	v_lshlrev_b64_e32 v[22:23], v22, v[2:3]
	s_delay_alu instid0(VALU_DEP_1)
	v_dual_sub_nc_u32 v21, 29, v21 :: v_dual_bitop2_b32 v2, 7, v22 bitop3:0x40
; %bb.5280:                             ;   in Loop: Header=BB4_4811 Depth=3
	s_or_b32 exec_lo, exec_lo, s74
	s_delay_alu instid0(VALU_DEP_1) | instskip(NEXT) | instid1(VALU_DEP_2)
	v_dual_lshlrev_b32 v17, 24, v17 :: v_dual_lshlrev_b32 v2, 20, v2
	v_lshl_add_u32 v21, v21, 23, 0x3c000000
	s_delay_alu instid0(VALU_DEP_2) | instskip(NEXT) | instid1(VALU_DEP_1)
	v_and_b32_e32 v17, 0x80000000, v17
	v_or3_b32 v21, v2, v17, v21
.LBB4_5281:                             ;   in Loop: Header=BB4_4811 Depth=3
	s_or_b32 exec_lo, exec_lo, s45
.LBB4_5282:                             ;   in Loop: Header=BB4_4811 Depth=3
	s_delay_alu instid0(SALU_CYCLE_1)
	s_or_b32 exec_lo, exec_lo, s44
.LBB4_5283:                             ;   in Loop: Header=BB4_4811 Depth=3
	s_delay_alu instid0(SALU_CYCLE_1) | instskip(NEXT) | instid1(SALU_CYCLE_1)
	s_or_b32 exec_lo, exec_lo, s13
	s_mov_b32 s13, exec_lo
	v_cmpx_lt_u64_e64 s[22:23], v[18:19]
	s_cbranch_execz .LBB4_5291
; %bb.5284:                             ;   in Loop: Header=BB4_4811 Depth=3
	v_lshrrev_b32_e32 v18, 24, v19
	v_bfrev_b32_e32 v16, 1
	s_mov_b32 s44, exec_lo
	s_delay_alu instid0(VALU_DEP_2)
	v_cmpx_ne_u32_e32 0x80, v18
	s_cbranch_execz .LBB4_5290
; %bb.5285:                             ;   in Loop: Header=BB4_4811 Depth=3
	v_bfe_u32 v17, v19, 24, 7
	v_mov_b32_e32 v16, 0x7f800001
	s_mov_b32 s45, exec_lo
	s_delay_alu instid0(VALU_DEP_2)
	v_cmpx_ne_u32_e32 0x7f, v17
	s_cbranch_execz .LBB4_5289
; %bb.5286:                             ;   in Loop: Header=BB4_4811 Depth=3
	v_dual_lshrrev_b32 v19, 3, v17 :: v_dual_bitop2_b32 v2, 7, v18 bitop3:0x40
	v_cmp_gt_u32_e32 vcc_lo, 8, v17
	s_delay_alu instid0(VALU_DEP_2)
	v_mov_b64_e32 v[16:17], v[2:3]
	s_and_saveexec_b32 s74, vcc_lo
; %bb.5287:                             ;   in Loop: Header=BB4_4811 Depth=3
	v_clz_i32_u32_e32 v16, v2
	s_delay_alu instid0(VALU_DEP_1) | instskip(NEXT) | instid1(VALU_DEP_1)
	v_min_u32_e32 v19, 32, v16
	v_subrev_nc_u32_e32 v16, 28, v19
	s_delay_alu instid0(VALU_DEP_1) | instskip(NEXT) | instid1(VALU_DEP_1)
	v_lshlrev_b64_e32 v[16:17], v16, v[2:3]
	v_dual_sub_nc_u32 v19, 29, v19 :: v_dual_bitop2_b32 v16, 7, v16 bitop3:0x40
; %bb.5288:                             ;   in Loop: Header=BB4_4811 Depth=3
	s_or_b32 exec_lo, exec_lo, s74
	s_delay_alu instid0(VALU_DEP_1) | instskip(NEXT) | instid1(VALU_DEP_2)
	v_dual_lshlrev_b32 v2, 24, v18 :: v_dual_lshlrev_b32 v16, 20, v16
	v_lshl_add_u32 v17, v19, 23, 0x3c000000
	s_delay_alu instid0(VALU_DEP_2) | instskip(NEXT) | instid1(VALU_DEP_1)
	v_and_b32_e32 v2, 0x80000000, v2
	v_or3_b32 v16, v16, v2, v17
.LBB4_5289:                             ;   in Loop: Header=BB4_4811 Depth=3
	s_or_b32 exec_lo, exec_lo, s45
.LBB4_5290:                             ;   in Loop: Header=BB4_4811 Depth=3
	s_delay_alu instid0(SALU_CYCLE_1)
	s_or_b32 exec_lo, exec_lo, s44
.LBB4_5291:                             ;   in Loop: Header=BB4_4811 Depth=3
	s_delay_alu instid0(SALU_CYCLE_1) | instskip(NEXT) | instid1(VALU_DEP_1)
	s_or_b32 exec_lo, exec_lo, s13
	v_add_f32_e32 v16, v21, v16
                                        ; implicit-def: $vgpr21
	s_mov_b32 s13, exec_lo
	s_delay_alu instid0(VALU_DEP_1) | instskip(SKIP_1) | instid1(VALU_DEP_2)
	v_and_b32_e32 v2, 0x7f800000, v16
	v_lshrrev_b32_e32 v17, 24, v16
	v_cmpx_ne_u64_e32 0x7f800000, v[2:3]
	s_xor_b32 s44, exec_lo, s13
	s_cbranch_execz .LBB4_5305
; %bb.5292:                             ;   in Loop: Header=BB4_4811 Depth=3
	v_and_b32_e32 v2, 0x7fffffff, v16
	v_and_b32_e32 v22, 0x80, v17
                                        ; implicit-def: $vgpr21
	s_mov_b32 s13, exec_lo
	s_delay_alu instid0(VALU_DEP_2)
	v_cmpx_gt_u64_e32 0x43e00001, v[2:3]
	s_xor_b32 s45, exec_lo, s13
	s_cbranch_execz .LBB4_5302
; %bb.5293:                             ;   in Loop: Header=BB4_4811 Depth=3
	v_mov_b32_e32 v21, 0
	s_mov_b32 s74, exec_lo
	v_cmpx_ne_u32_e32 0, v16
	s_cbranch_execz .LBB4_5301
; %bb.5294:                             ;   in Loop: Header=BB4_4811 Depth=3
	v_bfe_u32 v21, v16, 23, 8
	s_delay_alu instid0(VALU_DEP_1) | instskip(SKIP_1) | instid1(VALU_DEP_2)
	v_sub_nc_u32_e32 v2, 0x79, v21
	v_cmp_gt_u32_e32 vcc_lo, 0x7a, v21
	v_cndmask_b32_e32 v2, 0, v2, vcc_lo
	v_cmp_eq_u32_e32 vcc_lo, 0, v21
	s_delay_alu instid0(VALU_DEP_2) | instskip(SKIP_1) | instid1(VALU_DEP_2)
	v_cndmask_b32_e64 v23, v2, 0x78, vcc_lo
	v_and_b32_e32 v2, 0x7fffff, v16
	v_add_nc_u32_e32 v16, 20, v23
	s_delay_alu instid0(VALU_DEP_2) | instskip(SKIP_1) | instid1(VALU_DEP_3)
	v_or_b32_e32 v18, 0x800000, v2
	v_add_nc_u32_e32 v19, 19, v23
	v_lshlrev_b64_e64 v[16:17], v16, -1
	s_delay_alu instid0(VALU_DEP_3) | instskip(NEXT) | instid1(VALU_DEP_3)
	v_cndmask_b32_e32 v2, v18, v2, vcc_lo
	v_lshlrev_b64_e64 v[18:19], v19, 1
	s_delay_alu instid0(VALU_DEP_3) | instskip(NEXT) | instid1(VALU_DEP_3)
	v_bfi_b32 v25, v17, 0, 0
	v_bfi_b32 v24, v16, 0, v2
	v_lshrrev_b64 v[16:17], v23, v[2:3]
	s_delay_alu instid0(VALU_DEP_2) | instskip(NEXT) | instid1(VALU_DEP_2)
	v_cmp_eq_u64_e64 s13, v[24:25], v[18:19]
	v_mov_b64_e32 v[18:19], v[16:17]
	s_and_saveexec_b32 s75, s13
; %bb.5295:                             ;   in Loop: Header=BB4_4811 Depth=3
	v_bfe_u32 v2, v16, 20, 1
	s_delay_alu instid0(VALU_DEP_1) | instskip(NEXT) | instid1(VALU_DEP_1)
	v_add_nc_u64_e32 v[18:19], v[16:17], v[2:3]
	v_add_nc_u64_e32 v[18:19], -1, v[18:19]
; %bb.5296:                             ;   in Loop: Header=BB4_4811 Depth=3
	s_or_b32 exec_lo, exec_lo, s75
	v_add_nc_u32_e32 v2, 0xffffff81, v21
	v_lshrrev_b32_e32 v17, 23, v16
	s_mov_b32 s13, exec_lo
	s_delay_alu instid0(VALU_DEP_2) | instskip(NEXT) | instid1(VALU_DEP_1)
	v_cndmask_b32_e64 v2, v2, 0xffffff82, vcc_lo
	v_add3_u32 v19, v23, v2, v17
	v_and_b32_e32 v2, 0xfffff, v18
                                        ; implicit-def: $vgpr18
	s_delay_alu instid0(VALU_DEP_1) | instskip(NEXT) | instid1(VALU_DEP_1)
	v_dual_add_nc_u32 v21, 6, v19 :: v_dual_add_nc_u32 v2, v2, v16
                                        ; implicit-def: $vgpr16_vgpr17
	v_cmpx_ne_u32_e32 0, v21
	s_xor_b32 s13, exec_lo, s13
; %bb.5297:                             ;   in Loop: Header=BB4_4811 Depth=3
	s_delay_alu instid0(VALU_DEP_2) | instskip(SKIP_1) | instid1(VALU_DEP_1)
	v_cmp_lt_u64_e32 vcc_lo, 0xffffff, v[2:3]
	v_add_nc_u32_e32 v16, 7, v19
	v_cndmask_b32_e32 v18, v21, v16, vcc_lo
	v_cndmask_b32_e64 v16, 0, 1, vcc_lo
	s_delay_alu instid0(VALU_DEP_1)
	v_lshrrev_b64 v[16:17], v16, v[2:3]
; %bb.5298:                             ;   in Loop: Header=BB4_4811 Depth=3
	s_and_not1_saveexec_b32 s13, s13
; %bb.5299:                             ;   in Loop: Header=BB4_4811 Depth=3
	v_mov_b64_e32 v[16:17], v[2:3]
	v_bfe_u32 v18, v2, 23, 1
; %bb.5300:                             ;   in Loop: Header=BB4_4811 Depth=3
	s_or_b32 exec_lo, exec_lo, s13
	s_delay_alu instid0(VALU_DEP_2) | instskip(NEXT) | instid1(VALU_DEP_2)
	v_lshrrev_b64 v[16:17], 20, v[16:17]
	v_cmp_gt_i32_e32 vcc_lo, 16, v18
	v_min_i32_e32 v2, 15, v18
	v_cmp_eq_u32_e64 s13, 0, v18
	s_delay_alu instid0(VALU_DEP_2) | instskip(SKIP_1) | instid1(VALU_DEP_2)
	v_dual_cndmask_b32 v17, 0, v17 :: v_dual_lshlrev_b32 v2, 3, v2
	v_cndmask_b32_e32 v16, 7, v16, vcc_lo
	v_and_b32_e32 v2, 0xf8, v2
	s_delay_alu instid0(VALU_DEP_2) | instskip(NEXT) | instid1(VALU_DEP_2)
	v_cmp_eq_u64_e32 vcc_lo, 0, v[16:17]
	v_and_or_b32 v2, v16, 7, v2
	s_and_b32 s13, s13, vcc_lo
	s_delay_alu instid0(VALU_DEP_1) | instid1(SALU_CYCLE_1)
	v_cndmask_b32_e64 v2, v2, 0, s13
	s_delay_alu instid0(VALU_DEP_1)
	v_or_b32_e32 v21, v2, v22
.LBB4_5301:                             ;   in Loop: Header=BB4_4811 Depth=3
	s_or_b32 exec_lo, exec_lo, s74
                                        ; implicit-def: $vgpr22
.LBB4_5302:                             ;   in Loop: Header=BB4_4811 Depth=3
	s_and_not1_saveexec_b32 s13, s45
; %bb.5303:                             ;   in Loop: Header=BB4_4811 Depth=3
	v_or_b32_e32 v21, 0x7e, v22
; %bb.5304:                             ;   in Loop: Header=BB4_4811 Depth=3
	s_or_b32 exec_lo, exec_lo, s13
                                        ; implicit-def: $vgpr17
.LBB4_5305:                             ;   in Loop: Header=BB4_4811 Depth=3
	s_and_not1_saveexec_b32 s13, s44
; %bb.5306:                             ;   in Loop: Header=BB4_4811 Depth=3
	v_or_b32_e32 v21, 0x7f, v17
; %bb.5307:                             ;   in Loop: Header=BB4_4811 Depth=3
	s_or_b32 exec_lo, exec_lo, s13
	v_and_b32_e32 v17, 0xff, v12
	v_dual_mov_b32 v2, 0 :: v_dual_mov_b32 v16, 0
	s_mov_b32 s13, exec_lo
	s_delay_alu instid0(VALU_DEP_2)
	v_cmpx_ne_u16_e32 0, v17
	s_cbranch_execz .LBB4_5313
; %bb.5308:                             ;   in Loop: Header=BB4_4811 Depth=3
	v_bfrev_b32_e32 v16, 1
	s_mov_b32 s44, exec_lo
	v_cmpx_ne_u16_e32 0x80, v17
	s_cbranch_execz .LBB4_5312
; %bb.5309:                             ;   in Loop: Header=BB4_4811 Depth=3
	v_and_b32_e32 v17, 0x7f, v12
	v_mov_b32_e32 v16, 0x7f800001
	s_mov_b32 s45, exec_lo
	s_delay_alu instid0(VALU_DEP_2)
	v_cmpx_ne_u32_e32 0x7f, v17
	s_cbranch_execz .LBB4_5311
; %bb.5310:                             ;   in Loop: Header=BB4_4811 Depth=3
	v_dual_lshrrev_b32 v18, 3, v17 :: v_dual_bitop2_b32 v16, 7, v12 bitop3:0x40
	v_cmp_gt_u32_e32 vcc_lo, 8, v17
	s_delay_alu instid0(VALU_DEP_2) | instskip(NEXT) | instid1(VALU_DEP_1)
	v_clz_i32_u32_e32 v16, v16
	v_min_u32_e32 v16, 32, v16
	s_delay_alu instid0(VALU_DEP_1) | instskip(SKIP_1) | instid1(VALU_DEP_1)
	v_subrev_nc_u32_e32 v19, 28, v16
	v_sub_nc_u32_e32 v16, 29, v16
	v_dual_cndmask_b32 v18, v18, v16, vcc_lo :: v_dual_cndmask_b32 v16, 0, v19, vcc_lo
	s_delay_alu instid0(VALU_DEP_1) | instskip(NEXT) | instid1(VALU_DEP_2)
	v_lshl_add_u32 v18, v18, 23, 0x3c000000
	v_lshlrev_b64_e32 v[16:17], v16, v[12:13]
	v_lshlrev_b32_e32 v17, 24, v12
	s_delay_alu instid0(VALU_DEP_1) | instskip(NEXT) | instid1(VALU_DEP_3)
	v_and_b32_e32 v17, 0x80000000, v17
	v_lshlrev_b32_e32 v16, 20, v16
	s_delay_alu instid0(VALU_DEP_1) | instskip(NEXT) | instid1(VALU_DEP_1)
	v_and_b32_e32 v16, 0x700000, v16
	v_or3_b32 v16, v16, v17, v18
.LBB4_5311:                             ;   in Loop: Header=BB4_4811 Depth=3
	s_or_b32 exec_lo, exec_lo, s45
.LBB4_5312:                             ;   in Loop: Header=BB4_4811 Depth=3
	s_delay_alu instid0(SALU_CYCLE_1)
	s_or_b32 exec_lo, exec_lo, s44
.LBB4_5313:                             ;   in Loop: Header=BB4_4811 Depth=3
	s_delay_alu instid0(SALU_CYCLE_1) | instskip(SKIP_3) | instid1(VALU_DEP_1)
	s_or_b32 exec_lo, exec_lo, s13
	s_wait_loadcnt 0x0
	v_and_b32_e32 v17, 0xff, v8
	s_mov_b32 s13, exec_lo
	v_cmpx_ne_u16_e32 0, v17
	s_cbranch_execz .LBB4_5319
; %bb.5314:                             ;   in Loop: Header=BB4_4811 Depth=3
	v_bfrev_b32_e32 v2, 1
	s_mov_b32 s44, exec_lo
	v_cmpx_ne_u16_e32 0x80, v17
	s_cbranch_execz .LBB4_5318
; %bb.5315:                             ;   in Loop: Header=BB4_4811 Depth=3
	v_and_b32_e32 v17, 0x7f, v8
	v_mov_b32_e32 v2, 0x7f800001
	s_mov_b32 s45, exec_lo
	s_delay_alu instid0(VALU_DEP_2)
	v_cmpx_ne_u32_e32 0x7f, v17
	s_cbranch_execz .LBB4_5317
; %bb.5316:                             ;   in Loop: Header=BB4_4811 Depth=3
	v_dual_lshrrev_b32 v18, 3, v17 :: v_dual_bitop2_b32 v2, 7, v8 bitop3:0x40
	v_cmp_gt_u32_e32 vcc_lo, 8, v17
	s_delay_alu instid0(VALU_DEP_2) | instskip(NEXT) | instid1(VALU_DEP_1)
	v_clz_i32_u32_e32 v2, v2
	v_min_u32_e32 v2, 32, v2
	s_delay_alu instid0(VALU_DEP_1) | instskip(NEXT) | instid1(VALU_DEP_1)
	v_subrev_nc_u32_e32 v19, 28, v2
	v_dual_cndmask_b32 v17, 0, v19 :: v_dual_sub_nc_u32 v2, 29, v2
	s_delay_alu instid0(VALU_DEP_1) | instskip(NEXT) | instid1(VALU_DEP_2)
	v_cndmask_b32_e32 v2, v18, v2, vcc_lo
	v_lshlrev_b64_e32 v[18:19], v17, v[8:9]
	v_lshlrev_b32_e32 v17, 24, v8
	s_delay_alu instid0(VALU_DEP_3) | instskip(NEXT) | instid1(VALU_DEP_2)
	v_lshl_add_u32 v2, v2, 23, 0x3c000000
	v_and_b32_e32 v17, 0x80000000, v17
	s_delay_alu instid0(VALU_DEP_4) | instskip(NEXT) | instid1(VALU_DEP_1)
	v_lshlrev_b32_e32 v18, 20, v18
	v_and_b32_e32 v18, 0x700000, v18
	s_delay_alu instid0(VALU_DEP_1)
	v_or3_b32 v2, v18, v17, v2
.LBB4_5317:                             ;   in Loop: Header=BB4_4811 Depth=3
	s_or_b32 exec_lo, exec_lo, s45
.LBB4_5318:                             ;   in Loop: Header=BB4_4811 Depth=3
	s_delay_alu instid0(SALU_CYCLE_1)
	s_or_b32 exec_lo, exec_lo, s44
.LBB4_5319:                             ;   in Loop: Header=BB4_4811 Depth=3
	s_delay_alu instid0(SALU_CYCLE_1) | instskip(NEXT) | instid1(VALU_DEP_1)
	s_or_b32 exec_lo, exec_lo, s13
	v_add_f32_e32 v16, v16, v2
                                        ; implicit-def: $vgpr22
	s_mov_b32 s13, exec_lo
	s_delay_alu instid0(VALU_DEP_1) | instskip(SKIP_1) | instid1(VALU_DEP_2)
	v_and_b32_e32 v2, 0x7f800000, v16
	v_lshrrev_b32_e32 v17, 24, v16
	v_cmpx_ne_u64_e32 0x7f800000, v[2:3]
	s_xor_b32 s44, exec_lo, s13
	s_cbranch_execz .LBB4_5333
; %bb.5320:                             ;   in Loop: Header=BB4_4811 Depth=3
	v_and_b32_e32 v2, 0x7fffffff, v16
	v_and_b32_e32 v23, 0x80, v17
                                        ; implicit-def: $vgpr22
	s_mov_b32 s13, exec_lo
	s_delay_alu instid0(VALU_DEP_2)
	v_cmpx_gt_u64_e32 0x43e00001, v[2:3]
	s_xor_b32 s45, exec_lo, s13
	s_cbranch_execz .LBB4_5330
; %bb.5321:                             ;   in Loop: Header=BB4_4811 Depth=3
	v_mov_b32_e32 v22, 0
	s_mov_b32 s74, exec_lo
	v_cmpx_ne_u32_e32 0, v16
	s_cbranch_execz .LBB4_5329
; %bb.5322:                             ;   in Loop: Header=BB4_4811 Depth=3
	v_bfe_u32 v22, v16, 23, 8
	s_delay_alu instid0(VALU_DEP_1) | instskip(SKIP_1) | instid1(VALU_DEP_2)
	v_sub_nc_u32_e32 v2, 0x79, v22
	v_cmp_gt_u32_e32 vcc_lo, 0x7a, v22
	v_cndmask_b32_e32 v2, 0, v2, vcc_lo
	v_cmp_eq_u32_e32 vcc_lo, 0, v22
	s_delay_alu instid0(VALU_DEP_2) | instskip(SKIP_1) | instid1(VALU_DEP_2)
	v_cndmask_b32_e64 v24, v2, 0x78, vcc_lo
	v_and_b32_e32 v2, 0x7fffff, v16
	v_add_nc_u32_e32 v16, 20, v24
	s_delay_alu instid0(VALU_DEP_2) | instskip(SKIP_1) | instid1(VALU_DEP_3)
	v_or_b32_e32 v18, 0x800000, v2
	v_add_nc_u32_e32 v19, 19, v24
	v_lshlrev_b64_e64 v[16:17], v16, -1
	s_delay_alu instid0(VALU_DEP_3) | instskip(NEXT) | instid1(VALU_DEP_3)
	v_cndmask_b32_e32 v2, v18, v2, vcc_lo
	v_lshlrev_b64_e64 v[18:19], v19, 1
	s_delay_alu instid0(VALU_DEP_3) | instskip(NEXT) | instid1(VALU_DEP_3)
	v_bfi_b32 v27, v17, 0, 0
	v_bfi_b32 v26, v16, 0, v2
	v_lshrrev_b64 v[16:17], v24, v[2:3]
	s_delay_alu instid0(VALU_DEP_2) | instskip(NEXT) | instid1(VALU_DEP_2)
	v_cmp_eq_u64_e64 s13, v[26:27], v[18:19]
	v_mov_b64_e32 v[18:19], v[16:17]
	s_and_saveexec_b32 s75, s13
; %bb.5323:                             ;   in Loop: Header=BB4_4811 Depth=3
	v_bfe_u32 v2, v16, 20, 1
	s_delay_alu instid0(VALU_DEP_1) | instskip(NEXT) | instid1(VALU_DEP_1)
	v_add_nc_u64_e32 v[18:19], v[16:17], v[2:3]
	v_add_nc_u64_e32 v[18:19], -1, v[18:19]
; %bb.5324:                             ;   in Loop: Header=BB4_4811 Depth=3
	s_or_b32 exec_lo, exec_lo, s75
	v_add_nc_u32_e32 v2, 0xffffff81, v22
	v_lshrrev_b32_e32 v17, 23, v16
	s_mov_b32 s13, exec_lo
	s_delay_alu instid0(VALU_DEP_2) | instskip(NEXT) | instid1(VALU_DEP_1)
	v_cndmask_b32_e64 v2, v2, 0xffffff82, vcc_lo
	v_add3_u32 v19, v24, v2, v17
	v_and_b32_e32 v2, 0xfffff, v18
                                        ; implicit-def: $vgpr18
	s_delay_alu instid0(VALU_DEP_1) | instskip(NEXT) | instid1(VALU_DEP_1)
	v_dual_add_nc_u32 v22, 6, v19 :: v_dual_add_nc_u32 v2, v2, v16
                                        ; implicit-def: $vgpr16_vgpr17
	v_cmpx_ne_u32_e32 0, v22
	s_xor_b32 s13, exec_lo, s13
; %bb.5325:                             ;   in Loop: Header=BB4_4811 Depth=3
	s_delay_alu instid0(VALU_DEP_2) | instskip(SKIP_1) | instid1(VALU_DEP_1)
	v_cmp_lt_u64_e32 vcc_lo, 0xffffff, v[2:3]
	v_add_nc_u32_e32 v16, 7, v19
	v_cndmask_b32_e32 v18, v22, v16, vcc_lo
	v_cndmask_b32_e64 v16, 0, 1, vcc_lo
	s_delay_alu instid0(VALU_DEP_1)
	v_lshrrev_b64 v[16:17], v16, v[2:3]
; %bb.5326:                             ;   in Loop: Header=BB4_4811 Depth=3
	s_and_not1_saveexec_b32 s13, s13
; %bb.5327:                             ;   in Loop: Header=BB4_4811 Depth=3
	v_mov_b64_e32 v[16:17], v[2:3]
	v_bfe_u32 v18, v2, 23, 1
; %bb.5328:                             ;   in Loop: Header=BB4_4811 Depth=3
	s_or_b32 exec_lo, exec_lo, s13
	s_delay_alu instid0(VALU_DEP_2) | instskip(NEXT) | instid1(VALU_DEP_2)
	v_lshrrev_b64 v[16:17], 20, v[16:17]
	v_cmp_gt_i32_e32 vcc_lo, 16, v18
	v_min_i32_e32 v2, 15, v18
	v_cmp_eq_u32_e64 s13, 0, v18
	s_delay_alu instid0(VALU_DEP_2) | instskip(SKIP_1) | instid1(VALU_DEP_2)
	v_dual_cndmask_b32 v17, 0, v17 :: v_dual_lshlrev_b32 v2, 3, v2
	v_cndmask_b32_e32 v16, 7, v16, vcc_lo
	v_and_b32_e32 v2, 0xf8, v2
	s_delay_alu instid0(VALU_DEP_2) | instskip(NEXT) | instid1(VALU_DEP_2)
	v_cmp_eq_u64_e32 vcc_lo, 0, v[16:17]
	v_and_or_b32 v2, v16, 7, v2
	s_and_b32 s13, s13, vcc_lo
	s_delay_alu instid0(VALU_DEP_1) | instid1(SALU_CYCLE_1)
	v_cndmask_b32_e64 v2, v2, 0, s13
	s_delay_alu instid0(VALU_DEP_1)
	v_or_b32_e32 v22, v2, v23
.LBB4_5329:                             ;   in Loop: Header=BB4_4811 Depth=3
	s_or_b32 exec_lo, exec_lo, s74
                                        ; implicit-def: $vgpr23
.LBB4_5330:                             ;   in Loop: Header=BB4_4811 Depth=3
	s_and_not1_saveexec_b32 s13, s45
; %bb.5331:                             ;   in Loop: Header=BB4_4811 Depth=3
	v_or_b32_e32 v22, 0x7e, v23
; %bb.5332:                             ;   in Loop: Header=BB4_4811 Depth=3
	s_or_b32 exec_lo, exec_lo, s13
                                        ; implicit-def: $vgpr17
.LBB4_5333:                             ;   in Loop: Header=BB4_4811 Depth=3
	s_and_not1_saveexec_b32 s13, s44
; %bb.5334:                             ;   in Loop: Header=BB4_4811 Depth=3
	v_or_b32_e32 v22, 0x7f, v17
; %bb.5335:                             ;   in Loop: Header=BB4_4811 Depth=3
	s_or_b32 exec_lo, exec_lo, s13
	v_lshrrev_b16 v2, 8, v12
	v_dual_mov_b32 v18, 0 :: v_dual_mov_b32 v19, 0
	s_mov_b32 s13, exec_lo
	s_delay_alu instid0(VALU_DEP_2)
	v_cmpx_ne_u16_e32 0, v2
	s_cbranch_execz .LBB4_5343
; %bb.5336:                             ;   in Loop: Header=BB4_4811 Depth=3
	v_bfrev_b32_e32 v19, 1
	s_mov_b32 s44, exec_lo
	v_cmpx_ne_u16_e32 0x80, v2
	s_cbranch_execz .LBB4_5342
; %bb.5337:                             ;   in Loop: Header=BB4_4811 Depth=3
	v_and_b32_e32 v2, 0xffff, v2
	v_mov_b32_e32 v19, 0x7f800001
	s_mov_b32 s45, exec_lo
	s_delay_alu instid0(VALU_DEP_2) | instskip(NEXT) | instid1(VALU_DEP_1)
	v_and_b32_e32 v16, 0x7f, v2
	v_cmpx_ne_u32_e32 0x7f, v16
	s_cbranch_execz .LBB4_5341
; %bb.5338:                             ;   in Loop: Header=BB4_4811 Depth=3
	v_dual_lshrrev_b32 v19, 3, v16 :: v_dual_bitop2_b32 v2, 7, v2 bitop3:0x40
	v_cmp_gt_u32_e32 vcc_lo, 8, v16
	s_delay_alu instid0(VALU_DEP_2)
	v_mov_b64_e32 v[16:17], v[2:3]
	s_and_saveexec_b32 s74, vcc_lo
; %bb.5339:                             ;   in Loop: Header=BB4_4811 Depth=3
	v_clz_i32_u32_e32 v16, v2
	s_delay_alu instid0(VALU_DEP_1) | instskip(NEXT) | instid1(VALU_DEP_1)
	v_min_u32_e32 v19, 32, v16
	v_subrev_nc_u32_e32 v16, 28, v19
	s_delay_alu instid0(VALU_DEP_1) | instskip(NEXT) | instid1(VALU_DEP_1)
	v_lshlrev_b64_e32 v[16:17], v16, v[2:3]
	v_dual_sub_nc_u32 v19, 29, v19 :: v_dual_bitop2_b32 v16, 7, v16 bitop3:0x40
; %bb.5340:                             ;   in Loop: Header=BB4_4811 Depth=3
	s_or_b32 exec_lo, exec_lo, s74
	v_lshlrev_b32_e32 v2, 16, v12
	s_delay_alu instid0(VALU_DEP_2) | instskip(NEXT) | instid1(VALU_DEP_3)
	v_lshlrev_b32_e32 v16, 20, v16
	v_lshl_add_u32 v17, v19, 23, 0x3c000000
	s_delay_alu instid0(VALU_DEP_3) | instskip(NEXT) | instid1(VALU_DEP_1)
	v_and_b32_e32 v2, 0x80000000, v2
	v_or3_b32 v19, v16, v2, v17
.LBB4_5341:                             ;   in Loop: Header=BB4_4811 Depth=3
	s_or_b32 exec_lo, exec_lo, s45
.LBB4_5342:                             ;   in Loop: Header=BB4_4811 Depth=3
	s_delay_alu instid0(SALU_CYCLE_1)
	s_or_b32 exec_lo, exec_lo, s44
.LBB4_5343:                             ;   in Loop: Header=BB4_4811 Depth=3
	s_delay_alu instid0(SALU_CYCLE_1) | instskip(SKIP_2) | instid1(VALU_DEP_1)
	s_or_b32 exec_lo, exec_lo, s13
	v_lshrrev_b16 v2, 8, v8
	s_mov_b32 s13, exec_lo
	v_cmpx_ne_u16_e32 0, v2
	s_cbranch_execz .LBB4_5351
; %bb.5344:                             ;   in Loop: Header=BB4_4811 Depth=3
	v_bfrev_b32_e32 v18, 1
	s_mov_b32 s44, exec_lo
	v_cmpx_ne_u16_e32 0x80, v2
	s_cbranch_execz .LBB4_5350
; %bb.5345:                             ;   in Loop: Header=BB4_4811 Depth=3
	v_and_b32_e32 v2, 0xffff, v2
	v_mov_b32_e32 v18, 0x7f800001
	s_mov_b32 s45, exec_lo
	s_delay_alu instid0(VALU_DEP_2) | instskip(NEXT) | instid1(VALU_DEP_1)
	v_and_b32_e32 v16, 0x7f, v2
	v_cmpx_ne_u32_e32 0x7f, v16
	s_cbranch_execz .LBB4_5349
; %bb.5346:                             ;   in Loop: Header=BB4_4811 Depth=3
	v_dual_lshrrev_b32 v18, 3, v16 :: v_dual_bitop2_b32 v2, 7, v2 bitop3:0x40
	v_cmp_gt_u32_e32 vcc_lo, 8, v16
	s_delay_alu instid0(VALU_DEP_2)
	v_mov_b64_e32 v[16:17], v[2:3]
	s_and_saveexec_b32 s74, vcc_lo
; %bb.5347:                             ;   in Loop: Header=BB4_4811 Depth=3
	v_clz_i32_u32_e32 v16, v2
	s_delay_alu instid0(VALU_DEP_1) | instskip(NEXT) | instid1(VALU_DEP_1)
	v_min_u32_e32 v18, 32, v16
	v_subrev_nc_u32_e32 v16, 28, v18
	s_delay_alu instid0(VALU_DEP_1) | instskip(NEXT) | instid1(VALU_DEP_1)
	v_lshlrev_b64_e32 v[16:17], v16, v[2:3]
	v_dual_sub_nc_u32 v18, 29, v18 :: v_dual_bitop2_b32 v16, 7, v16 bitop3:0x40
; %bb.5348:                             ;   in Loop: Header=BB4_4811 Depth=3
	s_or_b32 exec_lo, exec_lo, s74
	v_lshlrev_b32_e32 v2, 16, v8
	s_delay_alu instid0(VALU_DEP_2) | instskip(NEXT) | instid1(VALU_DEP_3)
	v_lshlrev_b32_e32 v16, 20, v16
	v_lshl_add_u32 v17, v18, 23, 0x3c000000
	s_delay_alu instid0(VALU_DEP_3) | instskip(NEXT) | instid1(VALU_DEP_1)
	v_and_b32_e32 v2, 0x80000000, v2
	v_or3_b32 v18, v16, v2, v17
.LBB4_5349:                             ;   in Loop: Header=BB4_4811 Depth=3
	s_or_b32 exec_lo, exec_lo, s45
.LBB4_5350:                             ;   in Loop: Header=BB4_4811 Depth=3
	s_delay_alu instid0(SALU_CYCLE_1)
	s_or_b32 exec_lo, exec_lo, s44
.LBB4_5351:                             ;   in Loop: Header=BB4_4811 Depth=3
	s_delay_alu instid0(SALU_CYCLE_1) | instskip(NEXT) | instid1(VALU_DEP_1)
	s_or_b32 exec_lo, exec_lo, s13
	v_add_f32_e32 v16, v19, v18
                                        ; implicit-def: $vgpr23
	s_mov_b32 s13, exec_lo
	s_delay_alu instid0(VALU_DEP_1) | instskip(SKIP_1) | instid1(VALU_DEP_2)
	v_and_b32_e32 v2, 0x7f800000, v16
	v_lshrrev_b32_e32 v17, 24, v16
	v_cmpx_ne_u64_e32 0x7f800000, v[2:3]
	s_xor_b32 s44, exec_lo, s13
	s_cbranch_execz .LBB4_5365
; %bb.5352:                             ;   in Loop: Header=BB4_4811 Depth=3
	v_and_b32_e32 v2, 0x7fffffff, v16
	v_and_b32_e32 v26, 0x80, v17
                                        ; implicit-def: $vgpr23
	s_mov_b32 s13, exec_lo
	s_delay_alu instid0(VALU_DEP_2)
	v_cmpx_gt_u64_e32 0x43e00001, v[2:3]
	s_xor_b32 s45, exec_lo, s13
	s_cbranch_execz .LBB4_5362
; %bb.5353:                             ;   in Loop: Header=BB4_4811 Depth=3
	v_mov_b32_e32 v23, 0
	s_mov_b32 s74, exec_lo
	v_cmpx_ne_u32_e32 0, v16
	s_cbranch_execz .LBB4_5361
; %bb.5354:                             ;   in Loop: Header=BB4_4811 Depth=3
	v_bfe_u32 v23, v16, 23, 8
	s_delay_alu instid0(VALU_DEP_1) | instskip(SKIP_1) | instid1(VALU_DEP_2)
	v_sub_nc_u32_e32 v2, 0x79, v23
	v_cmp_gt_u32_e32 vcc_lo, 0x7a, v23
	v_cndmask_b32_e32 v2, 0, v2, vcc_lo
	v_cmp_eq_u32_e32 vcc_lo, 0, v23
	s_delay_alu instid0(VALU_DEP_2) | instskip(SKIP_1) | instid1(VALU_DEP_2)
	v_cndmask_b32_e64 v24, v2, 0x78, vcc_lo
	v_and_b32_e32 v2, 0x7fffff, v16
	v_add_nc_u32_e32 v16, 20, v24
	s_delay_alu instid0(VALU_DEP_2) | instskip(SKIP_1) | instid1(VALU_DEP_3)
	v_or_b32_e32 v18, 0x800000, v2
	v_add_nc_u32_e32 v19, 19, v24
	v_lshlrev_b64_e64 v[16:17], v16, -1
	s_delay_alu instid0(VALU_DEP_3) | instskip(NEXT) | instid1(VALU_DEP_3)
	v_cndmask_b32_e32 v2, v18, v2, vcc_lo
	v_lshlrev_b64_e64 v[18:19], v19, 1
	s_delay_alu instid0(VALU_DEP_3) | instskip(NEXT) | instid1(VALU_DEP_3)
	v_bfi_b32 v29, v17, 0, 0
	v_bfi_b32 v28, v16, 0, v2
	v_lshrrev_b64 v[16:17], v24, v[2:3]
	s_delay_alu instid0(VALU_DEP_2) | instskip(NEXT) | instid1(VALU_DEP_2)
	v_cmp_eq_u64_e64 s13, v[28:29], v[18:19]
	v_mov_b64_e32 v[18:19], v[16:17]
	s_and_saveexec_b32 s75, s13
; %bb.5355:                             ;   in Loop: Header=BB4_4811 Depth=3
	v_bfe_u32 v2, v16, 20, 1
	s_delay_alu instid0(VALU_DEP_1) | instskip(NEXT) | instid1(VALU_DEP_1)
	v_add_nc_u64_e32 v[18:19], v[16:17], v[2:3]
	v_add_nc_u64_e32 v[18:19], -1, v[18:19]
; %bb.5356:                             ;   in Loop: Header=BB4_4811 Depth=3
	s_or_b32 exec_lo, exec_lo, s75
	v_add_nc_u32_e32 v2, 0xffffff81, v23
	v_lshrrev_b32_e32 v17, 23, v16
	s_mov_b32 s13, exec_lo
	s_delay_alu instid0(VALU_DEP_2) | instskip(NEXT) | instid1(VALU_DEP_1)
	v_cndmask_b32_e64 v2, v2, 0xffffff82, vcc_lo
	v_add3_u32 v19, v24, v2, v17
	v_and_b32_e32 v2, 0xfffff, v18
                                        ; implicit-def: $vgpr18
	s_delay_alu instid0(VALU_DEP_1) | instskip(NEXT) | instid1(VALU_DEP_1)
	v_dual_add_nc_u32 v23, 6, v19 :: v_dual_add_nc_u32 v2, v2, v16
                                        ; implicit-def: $vgpr16_vgpr17
	v_cmpx_ne_u32_e32 0, v23
	s_xor_b32 s13, exec_lo, s13
; %bb.5357:                             ;   in Loop: Header=BB4_4811 Depth=3
	s_delay_alu instid0(VALU_DEP_2) | instskip(SKIP_1) | instid1(VALU_DEP_1)
	v_cmp_lt_u64_e32 vcc_lo, 0xffffff, v[2:3]
	v_add_nc_u32_e32 v16, 7, v19
	v_cndmask_b32_e32 v18, v23, v16, vcc_lo
	v_cndmask_b32_e64 v16, 0, 1, vcc_lo
	s_delay_alu instid0(VALU_DEP_1)
	v_lshrrev_b64 v[16:17], v16, v[2:3]
; %bb.5358:                             ;   in Loop: Header=BB4_4811 Depth=3
	s_and_not1_saveexec_b32 s13, s13
; %bb.5359:                             ;   in Loop: Header=BB4_4811 Depth=3
	v_mov_b64_e32 v[16:17], v[2:3]
	v_bfe_u32 v18, v2, 23, 1
; %bb.5360:                             ;   in Loop: Header=BB4_4811 Depth=3
	s_or_b32 exec_lo, exec_lo, s13
	s_delay_alu instid0(VALU_DEP_2) | instskip(NEXT) | instid1(VALU_DEP_2)
	v_lshrrev_b64 v[16:17], 20, v[16:17]
	v_cmp_gt_i32_e32 vcc_lo, 16, v18
	v_min_i32_e32 v2, 15, v18
	v_cmp_eq_u32_e64 s13, 0, v18
	s_delay_alu instid0(VALU_DEP_2) | instskip(SKIP_1) | instid1(VALU_DEP_2)
	v_dual_cndmask_b32 v17, 0, v17 :: v_dual_lshlrev_b32 v2, 3, v2
	v_cndmask_b32_e32 v16, 7, v16, vcc_lo
	v_and_b32_e32 v2, 0xf8, v2
	s_delay_alu instid0(VALU_DEP_2) | instskip(NEXT) | instid1(VALU_DEP_2)
	v_cmp_eq_u64_e32 vcc_lo, 0, v[16:17]
	v_and_or_b32 v2, v16, 7, v2
	s_and_b32 s13, s13, vcc_lo
	s_delay_alu instid0(VALU_DEP_1) | instid1(SALU_CYCLE_1)
	v_cndmask_b32_e64 v2, v2, 0, s13
	s_delay_alu instid0(VALU_DEP_1)
	v_or_b32_e32 v23, v2, v26
.LBB4_5361:                             ;   in Loop: Header=BB4_4811 Depth=3
	s_or_b32 exec_lo, exec_lo, s74
                                        ; implicit-def: $vgpr26
.LBB4_5362:                             ;   in Loop: Header=BB4_4811 Depth=3
	s_and_not1_saveexec_b32 s13, s45
; %bb.5363:                             ;   in Loop: Header=BB4_4811 Depth=3
	v_or_b32_e32 v23, 0x7e, v26
; %bb.5364:                             ;   in Loop: Header=BB4_4811 Depth=3
	s_or_b32 exec_lo, exec_lo, s13
                                        ; implicit-def: $vgpr17
.LBB4_5365:                             ;   in Loop: Header=BB4_4811 Depth=3
	s_and_not1_saveexec_b32 s13, s44
; %bb.5366:                             ;   in Loop: Header=BB4_4811 Depth=3
	v_or_b32_e32 v23, 0x7f, v17
; %bb.5367:                             ;   in Loop: Header=BB4_4811 Depth=3
	s_or_b32 exec_lo, exec_lo, s13
	v_dual_lshrrev_b32 v24, 16, v12 :: v_dual_mov_b32 v18, 0
	v_mov_b32_e32 v19, 0
	s_mov_b32 s13, exec_lo
	s_delay_alu instid0(VALU_DEP_2) | instskip(NEXT) | instid1(VALU_DEP_1)
	v_and_b32_e32 v2, 0xff, v24
	v_cmpx_ne_u16_e32 0, v2
	s_cbranch_execz .LBB4_5375
; %bb.5368:                             ;   in Loop: Header=BB4_4811 Depth=3
	v_bfrev_b32_e32 v19, 1
	s_mov_b32 s44, exec_lo
	v_cmpx_ne_u16_e32 0x80, v2
	s_cbranch_execz .LBB4_5374
; %bb.5369:                             ;   in Loop: Header=BB4_4811 Depth=3
	v_bfe_u32 v16, v12, 16, 7
	v_mov_b32_e32 v19, 0x7f800001
	s_mov_b32 s45, exec_lo
	s_delay_alu instid0(VALU_DEP_2)
	v_cmpx_ne_u32_e32 0x7f, v16
	s_cbranch_execz .LBB4_5373
; %bb.5370:                             ;   in Loop: Header=BB4_4811 Depth=3
	v_and_b32_e32 v2, 7, v24
	v_lshrrev_b32_e32 v19, 3, v16
	v_cmp_gt_u32_e32 vcc_lo, 8, v16
	s_delay_alu instid0(VALU_DEP_3)
	v_mov_b64_e32 v[16:17], v[2:3]
	s_and_saveexec_b32 s74, vcc_lo
; %bb.5371:                             ;   in Loop: Header=BB4_4811 Depth=3
	v_clz_i32_u32_e32 v16, v2
	s_delay_alu instid0(VALU_DEP_1) | instskip(NEXT) | instid1(VALU_DEP_1)
	v_min_u32_e32 v19, 32, v16
	v_subrev_nc_u32_e32 v16, 28, v19
	s_delay_alu instid0(VALU_DEP_1) | instskip(NEXT) | instid1(VALU_DEP_1)
	v_lshlrev_b64_e32 v[16:17], v16, v[2:3]
	v_dual_sub_nc_u32 v19, 29, v19 :: v_dual_bitop2_b32 v16, 7, v16 bitop3:0x40
; %bb.5372:                             ;   in Loop: Header=BB4_4811 Depth=3
	s_or_b32 exec_lo, exec_lo, s74
	v_lshlrev_b32_e32 v2, 24, v24
	s_delay_alu instid0(VALU_DEP_2) | instskip(NEXT) | instid1(VALU_DEP_3)
	v_lshlrev_b32_e32 v16, 20, v16
	v_lshl_add_u32 v17, v19, 23, 0x3c000000
	s_delay_alu instid0(VALU_DEP_3) | instskip(NEXT) | instid1(VALU_DEP_1)
	v_and_b32_e32 v2, 0x80000000, v2
	v_or3_b32 v19, v16, v2, v17
.LBB4_5373:                             ;   in Loop: Header=BB4_4811 Depth=3
	s_or_b32 exec_lo, exec_lo, s45
.LBB4_5374:                             ;   in Loop: Header=BB4_4811 Depth=3
	s_delay_alu instid0(SALU_CYCLE_1)
	s_or_b32 exec_lo, exec_lo, s44
.LBB4_5375:                             ;   in Loop: Header=BB4_4811 Depth=3
	s_delay_alu instid0(SALU_CYCLE_1) | instskip(SKIP_2) | instid1(VALU_DEP_1)
	s_or_b32 exec_lo, exec_lo, s13
	v_lshrrev_b32_e32 v2, 16, v8
	s_mov_b32 s13, exec_lo
	v_and_b32_e32 v16, 0xff, v2
	s_delay_alu instid0(VALU_DEP_1)
	v_cmpx_ne_u16_e32 0, v16
	s_cbranch_execz .LBB4_5383
; %bb.5376:                             ;   in Loop: Header=BB4_4811 Depth=3
	v_bfrev_b32_e32 v18, 1
	s_mov_b32 s44, exec_lo
	v_cmpx_ne_u16_e32 0x80, v16
	s_cbranch_execz .LBB4_5382
; %bb.5377:                             ;   in Loop: Header=BB4_4811 Depth=3
	v_bfe_u32 v16, v8, 16, 7
	v_mov_b32_e32 v18, 0x7f800001
	s_mov_b32 s45, exec_lo
	s_delay_alu instid0(VALU_DEP_2)
	v_cmpx_ne_u32_e32 0x7f, v16
	s_cbranch_execz .LBB4_5381
; %bb.5378:                             ;   in Loop: Header=BB4_4811 Depth=3
	v_dual_lshrrev_b32 v18, 3, v16 :: v_dual_bitop2_b32 v2, 7, v2 bitop3:0x40
	v_cmp_gt_u32_e32 vcc_lo, 8, v16
	s_delay_alu instid0(VALU_DEP_2)
	v_mov_b64_e32 v[16:17], v[2:3]
	s_and_saveexec_b32 s74, vcc_lo
; %bb.5379:                             ;   in Loop: Header=BB4_4811 Depth=3
	v_clz_i32_u32_e32 v16, v2
	s_delay_alu instid0(VALU_DEP_1) | instskip(NEXT) | instid1(VALU_DEP_1)
	v_min_u32_e32 v18, 32, v16
	v_subrev_nc_u32_e32 v16, 28, v18
	s_delay_alu instid0(VALU_DEP_1) | instskip(NEXT) | instid1(VALU_DEP_1)
	v_lshlrev_b64_e32 v[16:17], v16, v[2:3]
	v_dual_sub_nc_u32 v18, 29, v18 :: v_dual_bitop2_b32 v16, 7, v16 bitop3:0x40
; %bb.5380:                             ;   in Loop: Header=BB4_4811 Depth=3
	s_or_b32 exec_lo, exec_lo, s74
	v_lshlrev_b32_e32 v2, 8, v8
	s_delay_alu instid0(VALU_DEP_2) | instskip(NEXT) | instid1(VALU_DEP_3)
	v_lshlrev_b32_e32 v16, 20, v16
	v_lshl_add_u32 v17, v18, 23, 0x3c000000
	s_delay_alu instid0(VALU_DEP_3) | instskip(NEXT) | instid1(VALU_DEP_1)
	v_and_b32_e32 v2, 0x80000000, v2
	v_or3_b32 v18, v16, v2, v17
.LBB4_5381:                             ;   in Loop: Header=BB4_4811 Depth=3
	s_or_b32 exec_lo, exec_lo, s45
.LBB4_5382:                             ;   in Loop: Header=BB4_4811 Depth=3
	s_delay_alu instid0(SALU_CYCLE_1)
	s_or_b32 exec_lo, exec_lo, s44
.LBB4_5383:                             ;   in Loop: Header=BB4_4811 Depth=3
	s_delay_alu instid0(SALU_CYCLE_1) | instskip(NEXT) | instid1(VALU_DEP_1)
	s_or_b32 exec_lo, exec_lo, s13
	v_add_f32_e32 v16, v19, v18
                                        ; implicit-def: $vgpr111
	s_mov_b32 s13, exec_lo
	s_delay_alu instid0(VALU_DEP_1) | instskip(SKIP_1) | instid1(VALU_DEP_2)
	v_and_b32_e32 v2, 0x7f800000, v16
	v_lshrrev_b32_e32 v17, 24, v16
	v_cmpx_ne_u64_e32 0x7f800000, v[2:3]
	s_xor_b32 s44, exec_lo, s13
	s_cbranch_execz .LBB4_5397
; %bb.5384:                             ;   in Loop: Header=BB4_4811 Depth=3
	v_and_b32_e32 v2, 0x7fffffff, v16
	v_and_b32_e32 v26, 0x80, v17
                                        ; implicit-def: $vgpr111
	s_mov_b32 s13, exec_lo
	s_delay_alu instid0(VALU_DEP_2)
	v_cmpx_gt_u64_e32 0x43e00001, v[2:3]
	s_xor_b32 s45, exec_lo, s13
	s_cbranch_execz .LBB4_5394
; %bb.5385:                             ;   in Loop: Header=BB4_4811 Depth=3
	v_mov_b32_e32 v111, 0
	s_mov_b32 s74, exec_lo
	v_cmpx_ne_u32_e32 0, v16
	s_cbranch_execz .LBB4_5393
; %bb.5386:                             ;   in Loop: Header=BB4_4811 Depth=3
	v_bfe_u32 v24, v16, 23, 8
	s_delay_alu instid0(VALU_DEP_1) | instskip(SKIP_1) | instid1(VALU_DEP_2)
	v_sub_nc_u32_e32 v2, 0x79, v24
	v_cmp_gt_u32_e32 vcc_lo, 0x7a, v24
	v_cndmask_b32_e32 v2, 0, v2, vcc_lo
	v_cmp_eq_u32_e32 vcc_lo, 0, v24
	s_delay_alu instid0(VALU_DEP_2) | instskip(SKIP_1) | instid1(VALU_DEP_2)
	v_cndmask_b32_e64 v25, v2, 0x78, vcc_lo
	v_and_b32_e32 v2, 0x7fffff, v16
	v_add_nc_u32_e32 v16, 20, v25
	s_delay_alu instid0(VALU_DEP_2) | instskip(SKIP_1) | instid1(VALU_DEP_3)
	v_or_b32_e32 v18, 0x800000, v2
	v_add_nc_u32_e32 v19, 19, v25
	v_lshlrev_b64_e64 v[16:17], v16, -1
	s_delay_alu instid0(VALU_DEP_3) | instskip(NEXT) | instid1(VALU_DEP_3)
	v_cndmask_b32_e32 v2, v18, v2, vcc_lo
	v_lshlrev_b64_e64 v[18:19], v19, 1
	s_delay_alu instid0(VALU_DEP_3) | instskip(NEXT) | instid1(VALU_DEP_3)
	v_bfi_b32 v29, v17, 0, 0
	v_bfi_b32 v28, v16, 0, v2
	v_lshrrev_b64 v[16:17], v25, v[2:3]
	s_delay_alu instid0(VALU_DEP_2) | instskip(NEXT) | instid1(VALU_DEP_2)
	v_cmp_eq_u64_e64 s13, v[28:29], v[18:19]
	v_mov_b64_e32 v[18:19], v[16:17]
	s_and_saveexec_b32 s75, s13
; %bb.5387:                             ;   in Loop: Header=BB4_4811 Depth=3
	v_bfe_u32 v2, v16, 20, 1
	s_delay_alu instid0(VALU_DEP_1) | instskip(NEXT) | instid1(VALU_DEP_1)
	v_add_nc_u64_e32 v[18:19], v[16:17], v[2:3]
	v_add_nc_u64_e32 v[18:19], -1, v[18:19]
; %bb.5388:                             ;   in Loop: Header=BB4_4811 Depth=3
	s_or_b32 exec_lo, exec_lo, s75
	v_add_nc_u32_e32 v2, 0xffffff81, v24
	v_lshrrev_b32_e32 v17, 23, v16
	s_mov_b32 s13, exec_lo
	s_delay_alu instid0(VALU_DEP_2) | instskip(NEXT) | instid1(VALU_DEP_1)
	v_cndmask_b32_e64 v2, v2, 0xffffff82, vcc_lo
	v_add3_u32 v19, v25, v2, v17
	v_and_b32_e32 v2, 0xfffff, v18
                                        ; implicit-def: $vgpr18
	s_delay_alu instid0(VALU_DEP_1) | instskip(NEXT) | instid1(VALU_DEP_1)
	v_dual_add_nc_u32 v24, 6, v19 :: v_dual_add_nc_u32 v2, v2, v16
                                        ; implicit-def: $vgpr16_vgpr17
	v_cmpx_ne_u32_e32 0, v24
	s_xor_b32 s13, exec_lo, s13
; %bb.5389:                             ;   in Loop: Header=BB4_4811 Depth=3
	s_delay_alu instid0(VALU_DEP_2) | instskip(SKIP_1) | instid1(VALU_DEP_1)
	v_cmp_lt_u64_e32 vcc_lo, 0xffffff, v[2:3]
	v_add_nc_u32_e32 v16, 7, v19
	v_cndmask_b32_e32 v18, v24, v16, vcc_lo
	v_cndmask_b32_e64 v16, 0, 1, vcc_lo
	s_delay_alu instid0(VALU_DEP_1)
	v_lshrrev_b64 v[16:17], v16, v[2:3]
; %bb.5390:                             ;   in Loop: Header=BB4_4811 Depth=3
	s_and_not1_saveexec_b32 s13, s13
; %bb.5391:                             ;   in Loop: Header=BB4_4811 Depth=3
	v_mov_b64_e32 v[16:17], v[2:3]
	v_bfe_u32 v18, v2, 23, 1
; %bb.5392:                             ;   in Loop: Header=BB4_4811 Depth=3
	s_or_b32 exec_lo, exec_lo, s13
	s_delay_alu instid0(VALU_DEP_2) | instskip(NEXT) | instid1(VALU_DEP_2)
	v_lshrrev_b64 v[16:17], 20, v[16:17]
	v_cmp_gt_i32_e32 vcc_lo, 16, v18
	v_min_i32_e32 v2, 15, v18
	v_cmp_eq_u32_e64 s13, 0, v18
	s_delay_alu instid0(VALU_DEP_2) | instskip(SKIP_1) | instid1(VALU_DEP_2)
	v_dual_cndmask_b32 v17, 0, v17 :: v_dual_lshlrev_b32 v2, 3, v2
	v_cndmask_b32_e32 v16, 7, v16, vcc_lo
	v_and_b32_e32 v2, 0xf8, v2
	s_delay_alu instid0(VALU_DEP_2) | instskip(NEXT) | instid1(VALU_DEP_2)
	v_cmp_eq_u64_e32 vcc_lo, 0, v[16:17]
	v_and_or_b32 v2, v16, 7, v2
	s_and_b32 s13, s13, vcc_lo
	s_delay_alu instid0(VALU_DEP_1) | instid1(SALU_CYCLE_1)
	v_cndmask_b32_e64 v2, v2, 0, s13
	s_delay_alu instid0(VALU_DEP_1)
	v_or_b32_e32 v111, v2, v26
.LBB4_5393:                             ;   in Loop: Header=BB4_4811 Depth=3
	s_or_b32 exec_lo, exec_lo, s74
                                        ; implicit-def: $vgpr26
.LBB4_5394:                             ;   in Loop: Header=BB4_4811 Depth=3
	s_and_not1_saveexec_b32 s13, s45
; %bb.5395:                             ;   in Loop: Header=BB4_4811 Depth=3
	v_or_b32_e32 v111, 0x7e, v26
; %bb.5396:                             ;   in Loop: Header=BB4_4811 Depth=3
	s_or_b32 exec_lo, exec_lo, s13
                                        ; implicit-def: $vgpr17
.LBB4_5397:                             ;   in Loop: Header=BB4_4811 Depth=3
	s_and_not1_saveexec_b32 s13, s44
; %bb.5398:                             ;   in Loop: Header=BB4_4811 Depth=3
	v_or_b32_e32 v111, 0x7f, v17
; %bb.5399:                             ;   in Loop: Header=BB4_4811 Depth=3
	s_or_b32 exec_lo, exec_lo, s13
	v_dual_mov_b32 v18, 0 :: v_dual_mov_b32 v19, 0
	s_mov_b32 s13, exec_lo
	v_cmpx_lt_u32_e32 0xffffff, v12
	s_cbranch_execz .LBB4_5407
; %bb.5400:                             ;   in Loop: Header=BB4_4811 Depth=3
	v_lshrrev_b32_e32 v24, 24, v12
	v_bfrev_b32_e32 v19, 1
	s_mov_b32 s44, exec_lo
	s_delay_alu instid0(VALU_DEP_2)
	v_cmpx_ne_u32_e32 0x80, v24
	s_cbranch_execz .LBB4_5406
; %bb.5401:                             ;   in Loop: Header=BB4_4811 Depth=3
	v_bfe_u32 v16, v12, 24, 7
	v_mov_b32_e32 v19, 0x7f800001
	s_mov_b32 s45, exec_lo
	s_delay_alu instid0(VALU_DEP_2)
	v_cmpx_ne_u32_e32 0x7f, v16
	s_cbranch_execz .LBB4_5405
; %bb.5402:                             ;   in Loop: Header=BB4_4811 Depth=3
	v_and_b32_e32 v2, 7, v24
	v_lshrrev_b32_e32 v19, 3, v16
	v_cmp_gt_u32_e32 vcc_lo, 8, v16
	s_delay_alu instid0(VALU_DEP_3)
	v_mov_b64_e32 v[16:17], v[2:3]
	s_and_saveexec_b32 s74, vcc_lo
; %bb.5403:                             ;   in Loop: Header=BB4_4811 Depth=3
	v_clz_i32_u32_e32 v16, v2
	s_delay_alu instid0(VALU_DEP_1) | instskip(NEXT) | instid1(VALU_DEP_1)
	v_min_u32_e32 v19, 32, v16
	v_subrev_nc_u32_e32 v16, 28, v19
	s_delay_alu instid0(VALU_DEP_1) | instskip(NEXT) | instid1(VALU_DEP_1)
	v_lshlrev_b64_e32 v[16:17], v16, v[2:3]
	v_dual_sub_nc_u32 v19, 29, v19 :: v_dual_bitop2_b32 v16, 7, v16 bitop3:0x40
; %bb.5404:                             ;   in Loop: Header=BB4_4811 Depth=3
	s_or_b32 exec_lo, exec_lo, s74
	v_lshlrev_b32_e32 v2, 24, v24
	s_delay_alu instid0(VALU_DEP_2) | instskip(NEXT) | instid1(VALU_DEP_3)
	v_lshlrev_b32_e32 v16, 20, v16
	v_lshl_add_u32 v17, v19, 23, 0x3c000000
	s_delay_alu instid0(VALU_DEP_3) | instskip(NEXT) | instid1(VALU_DEP_1)
	v_and_b32_e32 v2, 0x80000000, v2
	v_or3_b32 v19, v16, v2, v17
.LBB4_5405:                             ;   in Loop: Header=BB4_4811 Depth=3
	s_or_b32 exec_lo, exec_lo, s45
.LBB4_5406:                             ;   in Loop: Header=BB4_4811 Depth=3
	s_delay_alu instid0(SALU_CYCLE_1)
	s_or_b32 exec_lo, exec_lo, s44
.LBB4_5407:                             ;   in Loop: Header=BB4_4811 Depth=3
	s_delay_alu instid0(SALU_CYCLE_1) | instskip(NEXT) | instid1(SALU_CYCLE_1)
	s_or_b32 exec_lo, exec_lo, s13
	s_mov_b32 s13, exec_lo
	v_cmpx_lt_u32_e32 0xffffff, v8
	s_cbranch_execz .LBB4_5415
; %bb.5408:                             ;   in Loop: Header=BB4_4811 Depth=3
	v_lshrrev_b32_e32 v24, 24, v8
	v_bfrev_b32_e32 v18, 1
	s_mov_b32 s44, exec_lo
	s_delay_alu instid0(VALU_DEP_2)
	v_cmpx_ne_u32_e32 0x80, v24
	s_cbranch_execz .LBB4_5414
; %bb.5409:                             ;   in Loop: Header=BB4_4811 Depth=3
	v_bfe_u32 v16, v8, 24, 7
	v_mov_b32_e32 v18, 0x7f800001
	s_mov_b32 s45, exec_lo
	s_delay_alu instid0(VALU_DEP_2)
	v_cmpx_ne_u32_e32 0x7f, v16
	s_cbranch_execz .LBB4_5413
; %bb.5410:                             ;   in Loop: Header=BB4_4811 Depth=3
	v_and_b32_e32 v2, 7, v24
	v_lshrrev_b32_e32 v18, 3, v16
	v_cmp_gt_u32_e32 vcc_lo, 8, v16
	s_delay_alu instid0(VALU_DEP_3)
	v_mov_b64_e32 v[16:17], v[2:3]
	s_and_saveexec_b32 s74, vcc_lo
; %bb.5411:                             ;   in Loop: Header=BB4_4811 Depth=3
	v_clz_i32_u32_e32 v16, v2
	s_delay_alu instid0(VALU_DEP_1) | instskip(NEXT) | instid1(VALU_DEP_1)
	v_min_u32_e32 v18, 32, v16
	v_subrev_nc_u32_e32 v16, 28, v18
	s_delay_alu instid0(VALU_DEP_1) | instskip(NEXT) | instid1(VALU_DEP_1)
	v_lshlrev_b64_e32 v[16:17], v16, v[2:3]
	v_dual_sub_nc_u32 v18, 29, v18 :: v_dual_bitop2_b32 v16, 7, v16 bitop3:0x40
; %bb.5412:                             ;   in Loop: Header=BB4_4811 Depth=3
	s_or_b32 exec_lo, exec_lo, s74
	v_lshlrev_b32_e32 v2, 24, v24
	s_delay_alu instid0(VALU_DEP_2) | instskip(NEXT) | instid1(VALU_DEP_3)
	v_lshlrev_b32_e32 v16, 20, v16
	v_lshl_add_u32 v17, v18, 23, 0x3c000000
	s_delay_alu instid0(VALU_DEP_3) | instskip(NEXT) | instid1(VALU_DEP_1)
	v_and_b32_e32 v2, 0x80000000, v2
	v_or3_b32 v18, v16, v2, v17
.LBB4_5413:                             ;   in Loop: Header=BB4_4811 Depth=3
	s_or_b32 exec_lo, exec_lo, s45
.LBB4_5414:                             ;   in Loop: Header=BB4_4811 Depth=3
	s_delay_alu instid0(SALU_CYCLE_1)
	s_or_b32 exec_lo, exec_lo, s44
.LBB4_5415:                             ;   in Loop: Header=BB4_4811 Depth=3
	s_delay_alu instid0(SALU_CYCLE_1) | instskip(NEXT) | instid1(VALU_DEP_1)
	s_or_b32 exec_lo, exec_lo, s13
	v_add_f32_e32 v16, v19, v18
                                        ; implicit-def: $vgpr120
	s_mov_b32 s13, exec_lo
	s_delay_alu instid0(VALU_DEP_1) | instskip(SKIP_1) | instid1(VALU_DEP_2)
	v_and_b32_e32 v2, 0x7f800000, v16
	v_lshrrev_b32_e32 v17, 24, v16
	v_cmpx_ne_u64_e32 0x7f800000, v[2:3]
	s_xor_b32 s44, exec_lo, s13
	s_cbranch_execz .LBB4_5429
; %bb.5416:                             ;   in Loop: Header=BB4_4811 Depth=3
	v_and_b32_e32 v2, 0x7fffffff, v16
	v_and_b32_e32 v26, 0x80, v17
                                        ; implicit-def: $vgpr120
	s_mov_b32 s13, exec_lo
	s_delay_alu instid0(VALU_DEP_2)
	v_cmpx_gt_u64_e32 0x43e00001, v[2:3]
	s_xor_b32 s45, exec_lo, s13
	s_cbranch_execz .LBB4_5426
; %bb.5417:                             ;   in Loop: Header=BB4_4811 Depth=3
	v_mov_b32_e32 v120, 0
	s_mov_b32 s74, exec_lo
	v_cmpx_ne_u32_e32 0, v16
	s_cbranch_execz .LBB4_5425
; %bb.5418:                             ;   in Loop: Header=BB4_4811 Depth=3
	v_bfe_u32 v24, v16, 23, 8
	s_delay_alu instid0(VALU_DEP_1) | instskip(SKIP_1) | instid1(VALU_DEP_2)
	v_sub_nc_u32_e32 v2, 0x79, v24
	v_cmp_gt_u32_e32 vcc_lo, 0x7a, v24
	v_cndmask_b32_e32 v2, 0, v2, vcc_lo
	v_cmp_eq_u32_e32 vcc_lo, 0, v24
	s_delay_alu instid0(VALU_DEP_2) | instskip(SKIP_1) | instid1(VALU_DEP_2)
	v_cndmask_b32_e64 v25, v2, 0x78, vcc_lo
	v_and_b32_e32 v2, 0x7fffff, v16
	v_add_nc_u32_e32 v16, 20, v25
	s_delay_alu instid0(VALU_DEP_2) | instskip(SKIP_1) | instid1(VALU_DEP_3)
	v_or_b32_e32 v18, 0x800000, v2
	v_add_nc_u32_e32 v19, 19, v25
	v_lshlrev_b64_e64 v[16:17], v16, -1
	s_delay_alu instid0(VALU_DEP_3) | instskip(NEXT) | instid1(VALU_DEP_3)
	v_cndmask_b32_e32 v2, v18, v2, vcc_lo
	v_lshlrev_b64_e64 v[18:19], v19, 1
	s_delay_alu instid0(VALU_DEP_3) | instskip(NEXT) | instid1(VALU_DEP_3)
	v_bfi_b32 v29, v17, 0, 0
	v_bfi_b32 v28, v16, 0, v2
	v_lshrrev_b64 v[16:17], v25, v[2:3]
	s_delay_alu instid0(VALU_DEP_2) | instskip(NEXT) | instid1(VALU_DEP_2)
	v_cmp_eq_u64_e64 s13, v[28:29], v[18:19]
	v_mov_b64_e32 v[18:19], v[16:17]
	s_and_saveexec_b32 s75, s13
; %bb.5419:                             ;   in Loop: Header=BB4_4811 Depth=3
	v_bfe_u32 v2, v16, 20, 1
	s_delay_alu instid0(VALU_DEP_1) | instskip(NEXT) | instid1(VALU_DEP_1)
	v_add_nc_u64_e32 v[18:19], v[16:17], v[2:3]
	v_add_nc_u64_e32 v[18:19], -1, v[18:19]
; %bb.5420:                             ;   in Loop: Header=BB4_4811 Depth=3
	s_or_b32 exec_lo, exec_lo, s75
	v_add_nc_u32_e32 v2, 0xffffff81, v24
	v_lshrrev_b32_e32 v17, 23, v16
	s_mov_b32 s13, exec_lo
	s_delay_alu instid0(VALU_DEP_2) | instskip(NEXT) | instid1(VALU_DEP_1)
	v_cndmask_b32_e64 v2, v2, 0xffffff82, vcc_lo
	v_add3_u32 v19, v25, v2, v17
	v_and_b32_e32 v2, 0xfffff, v18
                                        ; implicit-def: $vgpr18
	s_delay_alu instid0(VALU_DEP_1) | instskip(NEXT) | instid1(VALU_DEP_1)
	v_dual_add_nc_u32 v24, 6, v19 :: v_dual_add_nc_u32 v2, v2, v16
                                        ; implicit-def: $vgpr16_vgpr17
	v_cmpx_ne_u32_e32 0, v24
	s_xor_b32 s13, exec_lo, s13
; %bb.5421:                             ;   in Loop: Header=BB4_4811 Depth=3
	s_delay_alu instid0(VALU_DEP_2) | instskip(SKIP_1) | instid1(VALU_DEP_1)
	v_cmp_lt_u64_e32 vcc_lo, 0xffffff, v[2:3]
	v_add_nc_u32_e32 v16, 7, v19
	v_cndmask_b32_e32 v18, v24, v16, vcc_lo
	v_cndmask_b32_e64 v16, 0, 1, vcc_lo
	s_delay_alu instid0(VALU_DEP_1)
	v_lshrrev_b64 v[16:17], v16, v[2:3]
; %bb.5422:                             ;   in Loop: Header=BB4_4811 Depth=3
	s_and_not1_saveexec_b32 s13, s13
; %bb.5423:                             ;   in Loop: Header=BB4_4811 Depth=3
	v_mov_b64_e32 v[16:17], v[2:3]
	v_bfe_u32 v18, v2, 23, 1
; %bb.5424:                             ;   in Loop: Header=BB4_4811 Depth=3
	s_or_b32 exec_lo, exec_lo, s13
	s_delay_alu instid0(VALU_DEP_2) | instskip(NEXT) | instid1(VALU_DEP_2)
	v_lshrrev_b64 v[16:17], 20, v[16:17]
	v_cmp_gt_i32_e32 vcc_lo, 16, v18
	v_min_i32_e32 v2, 15, v18
	v_cmp_eq_u32_e64 s13, 0, v18
	s_delay_alu instid0(VALU_DEP_2) | instskip(SKIP_1) | instid1(VALU_DEP_2)
	v_dual_cndmask_b32 v17, 0, v17 :: v_dual_lshlrev_b32 v2, 3, v2
	v_cndmask_b32_e32 v16, 7, v16, vcc_lo
	v_and_b32_e32 v2, 0xf8, v2
	s_delay_alu instid0(VALU_DEP_2) | instskip(NEXT) | instid1(VALU_DEP_2)
	v_cmp_eq_u64_e32 vcc_lo, 0, v[16:17]
	v_and_or_b32 v2, v16, 7, v2
	s_and_b32 s13, s13, vcc_lo
	s_delay_alu instid0(VALU_DEP_1) | instid1(SALU_CYCLE_1)
	v_cndmask_b32_e64 v2, v2, 0, s13
	s_delay_alu instid0(VALU_DEP_1)
	v_or_b32_e32 v120, v2, v26
.LBB4_5425:                             ;   in Loop: Header=BB4_4811 Depth=3
	s_or_b32 exec_lo, exec_lo, s74
                                        ; implicit-def: $vgpr26
.LBB4_5426:                             ;   in Loop: Header=BB4_4811 Depth=3
	s_and_not1_saveexec_b32 s13, s45
; %bb.5427:                             ;   in Loop: Header=BB4_4811 Depth=3
	v_or_b32_e32 v120, 0x7e, v26
; %bb.5428:                             ;   in Loop: Header=BB4_4811 Depth=3
	s_or_b32 exec_lo, exec_lo, s13
                                        ; implicit-def: $vgpr17
.LBB4_5429:                             ;   in Loop: Header=BB4_4811 Depth=3
	s_and_not1_saveexec_b32 s13, s44
; %bb.5430:                             ;   in Loop: Header=BB4_4811 Depth=3
	v_or_b32_e32 v120, 0x7f, v17
; %bb.5431:                             ;   in Loop: Header=BB4_4811 Depth=3
	s_or_b32 exec_lo, exec_lo, s13
	v_and_b32_e32 v18, 0xff, v13
	v_dual_mov_b32 v2, v13 :: v_dual_mov_b32 v17, 0
	v_mov_b32_e32 v16, 0
	s_mov_b32 s13, exec_lo
	s_delay_alu instid0(VALU_DEP_3)
	v_cmpx_ne_u16_e32 0, v18
	s_cbranch_execz .LBB4_5437
; %bb.5432:                             ;   in Loop: Header=BB4_4811 Depth=3
	v_bfrev_b32_e32 v16, 1
	s_mov_b32 s44, exec_lo
	v_cmpx_ne_u16_e32 0x80, v18
	s_cbranch_execz .LBB4_5436
; %bb.5433:                             ;   in Loop: Header=BB4_4811 Depth=3
	v_and_b32_e32 v18, 0x7f, v13
	v_mov_b32_e32 v16, 0x7f800001
	s_mov_b32 s45, exec_lo
	s_delay_alu instid0(VALU_DEP_2)
	v_cmpx_ne_u32_e32 0x7f, v18
	s_cbranch_execz .LBB4_5435
; %bb.5434:                             ;   in Loop: Header=BB4_4811 Depth=3
	v_dual_lshrrev_b32 v19, 3, v18 :: v_dual_bitop2_b32 v16, 7, v13 bitop3:0x40
	v_cmp_gt_u32_e32 vcc_lo, 8, v18
	s_delay_alu instid0(VALU_DEP_2) | instskip(NEXT) | instid1(VALU_DEP_1)
	v_clz_i32_u32_e32 v16, v16
	v_min_u32_e32 v16, 32, v16
	s_delay_alu instid0(VALU_DEP_1) | instskip(SKIP_1) | instid1(VALU_DEP_2)
	v_subrev_nc_u32_e32 v24, 28, v16
	v_sub_nc_u32_e32 v16, 29, v16
	v_cndmask_b32_e32 v18, 0, v24, vcc_lo
	s_delay_alu instid0(VALU_DEP_2) | instskip(NEXT) | instid1(VALU_DEP_2)
	v_cndmask_b32_e32 v16, v19, v16, vcc_lo
	v_lshlrev_b64_e32 v[18:19], v18, v[2:3]
	v_lshlrev_b32_e32 v19, 24, v2
	s_delay_alu instid0(VALU_DEP_1) | instskip(NEXT) | instid1(VALU_DEP_3)
	v_and_b32_e32 v19, 0x80000000, v19
	v_lshlrev_b32_e32 v18, 20, v18
	v_lshl_add_u32 v16, v16, 23, 0x3c000000
	s_delay_alu instid0(VALU_DEP_2) | instskip(NEXT) | instid1(VALU_DEP_1)
	v_and_b32_e32 v18, 0x700000, v18
	v_or3_b32 v16, v18, v19, v16
.LBB4_5435:                             ;   in Loop: Header=BB4_4811 Depth=3
	s_or_b32 exec_lo, exec_lo, s45
.LBB4_5436:                             ;   in Loop: Header=BB4_4811 Depth=3
	s_delay_alu instid0(SALU_CYCLE_1)
	s_or_b32 exec_lo, exec_lo, s44
.LBB4_5437:                             ;   in Loop: Header=BB4_4811 Depth=3
	s_delay_alu instid0(SALU_CYCLE_1) | instskip(SKIP_2) | instid1(VALU_DEP_1)
	s_or_b32 exec_lo, exec_lo, s13
	v_and_b32_e32 v18, 0xff, v9
	s_mov_b32 s13, exec_lo
	v_cmpx_ne_u16_e32 0, v18
	s_cbranch_execz .LBB4_5443
; %bb.5438:                             ;   in Loop: Header=BB4_4811 Depth=3
	v_bfrev_b32_e32 v17, 1
	s_mov_b32 s44, exec_lo
	v_cmpx_ne_u16_e32 0x80, v18
	s_cbranch_execz .LBB4_5442
; %bb.5439:                             ;   in Loop: Header=BB4_4811 Depth=3
	v_and_b32_e32 v18, 0x7f, v9
	v_mov_b32_e32 v17, 0x7f800001
	s_mov_b32 s45, exec_lo
	s_delay_alu instid0(VALU_DEP_2)
	v_cmpx_ne_u32_e32 0x7f, v18
	s_cbranch_execz .LBB4_5441
; %bb.5440:                             ;   in Loop: Header=BB4_4811 Depth=3
	v_dual_lshrrev_b32 v24, 3, v18 :: v_dual_bitop2_b32 v17, 7, v9 bitop3:0x40
	v_cmp_gt_u32_e32 vcc_lo, 8, v18
	v_mov_b32_e32 v18, v9
	s_delay_alu instid0(VALU_DEP_3) | instskip(NEXT) | instid1(VALU_DEP_1)
	v_clz_i32_u32_e32 v17, v17
	v_min_u32_e32 v17, 32, v17
	s_delay_alu instid0(VALU_DEP_1) | instskip(SKIP_1) | instid1(VALU_DEP_2)
	v_sub_nc_u32_e32 v25, 29, v17
	v_subrev_nc_u32_e32 v17, 28, v17
	v_dual_mov_b32 v19, v3 :: v_dual_cndmask_b32 v26, v24, v25
	s_delay_alu instid0(VALU_DEP_2) | instskip(NEXT) | instid1(VALU_DEP_1)
	v_cndmask_b32_e32 v17, 0, v17, vcc_lo
	v_lshlrev_b64_e32 v[24:25], v17, v[18:19]
	v_lshlrev_b32_e32 v17, 24, v18
	s_delay_alu instid0(VALU_DEP_4) | instskip(NEXT) | instid1(VALU_DEP_2)
	v_lshl_add_u32 v19, v26, 23, 0x3c000000
	v_and_b32_e32 v17, 0x80000000, v17
	s_delay_alu instid0(VALU_DEP_4) | instskip(NEXT) | instid1(VALU_DEP_1)
	v_lshlrev_b32_e32 v18, 20, v24
	v_and_b32_e32 v18, 0x700000, v18
	s_delay_alu instid0(VALU_DEP_1)
	v_or3_b32 v17, v18, v17, v19
.LBB4_5441:                             ;   in Loop: Header=BB4_4811 Depth=3
	s_or_b32 exec_lo, exec_lo, s45
.LBB4_5442:                             ;   in Loop: Header=BB4_4811 Depth=3
	s_delay_alu instid0(SALU_CYCLE_1)
	s_or_b32 exec_lo, exec_lo, s44
.LBB4_5443:                             ;   in Loop: Header=BB4_4811 Depth=3
	s_delay_alu instid0(SALU_CYCLE_1) | instskip(NEXT) | instid1(VALU_DEP_1)
	s_or_b32 exec_lo, exec_lo, s13
	v_dual_add_f32 v16, v16, v17 :: v_dual_mov_b32 v19, v3
                                        ; implicit-def: $vgpr121
	s_mov_b32 s13, exec_lo
	s_delay_alu instid0(VALU_DEP_1) | instskip(SKIP_1) | instid1(VALU_DEP_2)
	v_and_b32_e32 v18, 0x7f800000, v16
	v_lshrrev_b32_e32 v17, 24, v16
	v_cmpx_ne_u64_e32 0x7f800000, v[18:19]
	s_xor_b32 s44, exec_lo, s13
	s_cbranch_execz .LBB4_5457
; %bb.5444:                             ;   in Loop: Header=BB4_4811 Depth=3
	v_and_b32_e32 v18, 0x7fffffff, v16
	v_mov_b32_e32 v19, v3
	v_and_b32_e32 v26, 0x80, v17
                                        ; implicit-def: $vgpr121
	s_mov_b32 s13, exec_lo
	s_delay_alu instid0(VALU_DEP_2)
	v_cmpx_gt_u64_e32 0x43e00001, v[18:19]
	s_xor_b32 s45, exec_lo, s13
	s_cbranch_execz .LBB4_5454
; %bb.5445:                             ;   in Loop: Header=BB4_4811 Depth=3
	v_mov_b32_e32 v121, 0
	s_mov_b32 s74, exec_lo
	v_cmpx_ne_u32_e32 0, v16
	s_cbranch_execz .LBB4_5453
; %bb.5446:                             ;   in Loop: Header=BB4_4811 Depth=3
	v_bfe_u32 v27, v16, 23, 8
	v_and_b32_e32 v17, 0x7fffff, v16
	s_delay_alu instid0(VALU_DEP_2) | instskip(SKIP_2) | instid1(VALU_DEP_4)
	v_cmp_gt_u32_e64 s13, 0x7a, v27
	v_sub_nc_u32_e32 v16, 0x79, v27
	v_cmp_eq_u32_e32 vcc_lo, 0, v27
	v_or_b32_e32 v18, 0x800000, v17
	s_delay_alu instid0(VALU_DEP_3) | instskip(NEXT) | instid1(VALU_DEP_1)
	v_cndmask_b32_e64 v16, 0, v16, s13
	v_cndmask_b32_e64 v24, v16, 0x78, vcc_lo
	s_delay_alu instid0(VALU_DEP_3) | instskip(NEXT) | instid1(VALU_DEP_2)
	v_dual_cndmask_b32 v16, v18, v17 :: v_dual_mov_b32 v17, v3
	v_dual_add_nc_u32 v18, 20, v24 :: v_dual_add_nc_u32 v25, 19, v24
	s_delay_alu instid0(VALU_DEP_1) | instskip(NEXT) | instid1(VALU_DEP_2)
	v_lshlrev_b64_e64 v[18:19], v18, -1
	v_lshlrev_b64_e64 v[28:29], v25, 1
	s_delay_alu instid0(VALU_DEP_2) | instskip(SKIP_1) | instid1(VALU_DEP_4)
	v_bfi_b32 v18, v18, 0, v16
	v_lshrrev_b64 v[16:17], v24, v[16:17]
	v_bfi_b32 v19, v19, 0, 0
	s_delay_alu instid0(VALU_DEP_1) | instskip(NEXT) | instid1(VALU_DEP_3)
	v_cmp_eq_u64_e64 s13, v[18:19], v[28:29]
	v_mov_b64_e32 v[18:19], v[16:17]
	s_and_saveexec_b32 s75, s13
; %bb.5447:                             ;   in Loop: Header=BB4_4811 Depth=3
	v_bfe_u32 v18, v16, 20, 1
	v_mov_b32_e32 v19, v3
	s_delay_alu instid0(VALU_DEP_1) | instskip(NEXT) | instid1(VALU_DEP_1)
	v_add_nc_u64_e32 v[18:19], v[16:17], v[18:19]
	v_add_nc_u64_e32 v[18:19], -1, v[18:19]
; %bb.5448:                             ;   in Loop: Header=BB4_4811 Depth=3
	s_or_b32 exec_lo, exec_lo, s75
	v_add_nc_u32_e32 v17, 0xffffff81, v27
	v_lshrrev_b32_e32 v19, 23, v16
	s_mov_b32 s13, exec_lo
	s_delay_alu instid0(VALU_DEP_2) | instskip(NEXT) | instid1(VALU_DEP_1)
	v_cndmask_b32_e64 v17, v17, 0xffffff82, vcc_lo
	v_add3_u32 v19, v24, v17, v19
	v_and_b32_e32 v17, 0xfffff, v18
                                        ; implicit-def: $vgpr18
	s_delay_alu instid0(VALU_DEP_1) | instskip(SKIP_1) | instid1(VALU_DEP_2)
	v_dual_add_nc_u32 v24, 6, v19 :: v_dual_add_nc_u32 v16, v17, v16
	v_mov_b32_e32 v17, v3
	v_cmpx_ne_u32_e32 0, v24
	s_xor_b32 s13, exec_lo, s13
; %bb.5449:                             ;   in Loop: Header=BB4_4811 Depth=3
	s_delay_alu instid0(VALU_DEP_2) | instskip(SKIP_2) | instid1(VALU_DEP_2)
	v_cmp_lt_u64_e32 vcc_lo, 0xffffff, v[16:17]
	v_add_nc_u32_e32 v18, 7, v19
	v_cndmask_b32_e64 v19, 0, 1, vcc_lo
	v_cndmask_b32_e32 v18, v24, v18, vcc_lo
	s_delay_alu instid0(VALU_DEP_2)
	v_lshrrev_b64 v[16:17], v19, v[16:17]
; %bb.5450:                             ;   in Loop: Header=BB4_4811 Depth=3
	s_and_not1_saveexec_b32 s13, s13
; %bb.5451:                             ;   in Loop: Header=BB4_4811 Depth=3
	s_delay_alu instid0(VALU_DEP_1)
	v_bfe_u32 v18, v16, 23, 1
; %bb.5452:                             ;   in Loop: Header=BB4_4811 Depth=3
	s_or_b32 exec_lo, exec_lo, s13
	s_delay_alu instid0(VALU_DEP_2) | instskip(NEXT) | instid1(VALU_DEP_2)
	v_lshrrev_b64 v[16:17], 20, v[16:17]
	v_cmp_gt_i32_e32 vcc_lo, 16, v18
	v_min_i32_e32 v19, 15, v18
	v_cmp_eq_u32_e64 s13, 0, v18
	s_delay_alu instid0(VALU_DEP_2) | instskip(SKIP_1) | instid1(VALU_DEP_2)
	v_dual_cndmask_b32 v17, 0, v17, vcc_lo :: v_dual_lshlrev_b32 v19, 3, v19
	v_cndmask_b32_e32 v16, 7, v16, vcc_lo
	v_and_b32_e32 v19, 0xf8, v19
	s_delay_alu instid0(VALU_DEP_2) | instskip(NEXT) | instid1(VALU_DEP_2)
	v_cmp_eq_u64_e32 vcc_lo, 0, v[16:17]
	v_and_or_b32 v16, v16, 7, v19
	s_and_b32 s13, s13, vcc_lo
	s_delay_alu instid0(VALU_DEP_1) | instid1(SALU_CYCLE_1)
	v_cndmask_b32_e64 v16, v16, 0, s13
	s_delay_alu instid0(VALU_DEP_1)
	v_or_b32_e32 v121, v16, v26
.LBB4_5453:                             ;   in Loop: Header=BB4_4811 Depth=3
	s_or_b32 exec_lo, exec_lo, s74
                                        ; implicit-def: $vgpr26
.LBB4_5454:                             ;   in Loop: Header=BB4_4811 Depth=3
	s_and_not1_saveexec_b32 s13, s45
; %bb.5455:                             ;   in Loop: Header=BB4_4811 Depth=3
	v_or_b32_e32 v121, 0x7e, v26
; %bb.5456:                             ;   in Loop: Header=BB4_4811 Depth=3
	s_or_b32 exec_lo, exec_lo, s13
                                        ; implicit-def: $vgpr17
.LBB4_5457:                             ;   in Loop: Header=BB4_4811 Depth=3
	s_and_not1_saveexec_b32 s13, s44
; %bb.5458:                             ;   in Loop: Header=BB4_4811 Depth=3
	v_or_b32_e32 v121, 0x7f, v17
; %bb.5459:                             ;   in Loop: Header=BB4_4811 Depth=3
	s_or_b32 exec_lo, exec_lo, s13
	v_lshrrev_b16 v16, 8, v2
	v_dual_mov_b32 v18, 0 :: v_dual_mov_b32 v19, 0
	s_mov_b32 s13, exec_lo
	s_delay_alu instid0(VALU_DEP_2)
	v_cmpx_ne_u16_e32 0, v16
	s_cbranch_execz .LBB4_5467
; %bb.5460:                             ;   in Loop: Header=BB4_4811 Depth=3
	v_bfrev_b32_e32 v19, 1
	s_mov_b32 s44, exec_lo
	v_cmpx_ne_u16_e32 0x80, v16
	s_cbranch_execz .LBB4_5466
; %bb.5461:                             ;   in Loop: Header=BB4_4811 Depth=3
	v_and_b32_e32 v16, 0xffff, v16
	v_mov_b32_e32 v19, 0x7f800001
	s_mov_b32 s45, exec_lo
	s_delay_alu instid0(VALU_DEP_2) | instskip(NEXT) | instid1(VALU_DEP_1)
	v_and_b32_e32 v24, 0x7f, v16
	v_cmpx_ne_u32_e32 0x7f, v24
	s_cbranch_execz .LBB4_5465
; %bb.5462:                             ;   in Loop: Header=BB4_4811 Depth=3
	v_dual_mov_b32 v17, v3 :: v_dual_bitop2_b32 v16, 7, v16 bitop3:0x40
	v_lshrrev_b32_e32 v19, 3, v24
	s_mov_b32 s74, exec_lo
	v_cmpx_gt_u32_e32 8, v24
; %bb.5463:                             ;   in Loop: Header=BB4_4811 Depth=3
	s_delay_alu instid0(VALU_DEP_3) | instskip(NEXT) | instid1(VALU_DEP_1)
	v_clz_i32_u32_e32 v19, v16
	v_min_u32_e32 v19, 32, v19
	s_delay_alu instid0(VALU_DEP_1) | instskip(NEXT) | instid1(VALU_DEP_1)
	v_subrev_nc_u32_e32 v24, 28, v19
	v_lshlrev_b64_e32 v[16:17], v24, v[16:17]
	s_delay_alu instid0(VALU_DEP_1)
	v_dual_sub_nc_u32 v19, 29, v19 :: v_dual_bitop2_b32 v16, 7, v16 bitop3:0x40
; %bb.5464:                             ;   in Loop: Header=BB4_4811 Depth=3
	s_or_b32 exec_lo, exec_lo, s74
	s_delay_alu instid0(VALU_DEP_1) | instskip(NEXT) | instid1(VALU_DEP_2)
	v_dual_lshlrev_b32 v2, 16, v2 :: v_dual_lshlrev_b32 v16, 20, v16
	v_lshl_add_u32 v17, v19, 23, 0x3c000000
	s_delay_alu instid0(VALU_DEP_2) | instskip(NEXT) | instid1(VALU_DEP_1)
	v_and_b32_e32 v2, 0x80000000, v2
	v_or3_b32 v19, v16, v2, v17
.LBB4_5465:                             ;   in Loop: Header=BB4_4811 Depth=3
	s_or_b32 exec_lo, exec_lo, s45
.LBB4_5466:                             ;   in Loop: Header=BB4_4811 Depth=3
	s_delay_alu instid0(SALU_CYCLE_1)
	s_or_b32 exec_lo, exec_lo, s44
.LBB4_5467:                             ;   in Loop: Header=BB4_4811 Depth=3
	s_delay_alu instid0(SALU_CYCLE_1) | instskip(SKIP_2) | instid1(VALU_DEP_1)
	s_or_b32 exec_lo, exec_lo, s13
	v_lshrrev_b16 v2, 8, v9
	s_mov_b32 s13, exec_lo
	v_cmpx_ne_u16_e32 0, v2
	s_cbranch_execz .LBB4_5475
; %bb.5468:                             ;   in Loop: Header=BB4_4811 Depth=3
	v_bfrev_b32_e32 v18, 1
	s_mov_b32 s44, exec_lo
	v_cmpx_ne_u16_e32 0x80, v2
	s_cbranch_execz .LBB4_5474
; %bb.5469:                             ;   in Loop: Header=BB4_4811 Depth=3
	v_and_b32_e32 v2, 0xffff, v2
	v_mov_b32_e32 v18, 0x7f800001
	s_mov_b32 s45, exec_lo
	s_delay_alu instid0(VALU_DEP_2) | instskip(NEXT) | instid1(VALU_DEP_1)
	v_and_b32_e32 v16, 0x7f, v2
	v_cmpx_ne_u32_e32 0x7f, v16
	s_cbranch_execz .LBB4_5473
; %bb.5470:                             ;   in Loop: Header=BB4_4811 Depth=3
	v_dual_lshrrev_b32 v18, 3, v16 :: v_dual_bitop2_b32 v2, 7, v2 bitop3:0x40
	v_cmp_gt_u32_e32 vcc_lo, 8, v16
	s_delay_alu instid0(VALU_DEP_2)
	v_mov_b64_e32 v[16:17], v[2:3]
	s_and_saveexec_b32 s74, vcc_lo
; %bb.5471:                             ;   in Loop: Header=BB4_4811 Depth=3
	v_clz_i32_u32_e32 v16, v2
	s_delay_alu instid0(VALU_DEP_1) | instskip(NEXT) | instid1(VALU_DEP_1)
	v_min_u32_e32 v18, 32, v16
	v_subrev_nc_u32_e32 v16, 28, v18
	s_delay_alu instid0(VALU_DEP_1) | instskip(NEXT) | instid1(VALU_DEP_1)
	v_lshlrev_b64_e32 v[16:17], v16, v[2:3]
	v_dual_sub_nc_u32 v18, 29, v18 :: v_dual_bitop2_b32 v16, 7, v16 bitop3:0x40
; %bb.5472:                             ;   in Loop: Header=BB4_4811 Depth=3
	s_or_b32 exec_lo, exec_lo, s74
	s_delay_alu instid0(VALU_DEP_1) | instskip(NEXT) | instid1(VALU_DEP_2)
	v_dual_lshlrev_b32 v2, 16, v9 :: v_dual_lshlrev_b32 v16, 20, v16
	v_lshl_add_u32 v17, v18, 23, 0x3c000000
	s_delay_alu instid0(VALU_DEP_2) | instskip(NEXT) | instid1(VALU_DEP_1)
	v_and_b32_e32 v2, 0x80000000, v2
	v_or3_b32 v18, v16, v2, v17
.LBB4_5473:                             ;   in Loop: Header=BB4_4811 Depth=3
	s_or_b32 exec_lo, exec_lo, s45
.LBB4_5474:                             ;   in Loop: Header=BB4_4811 Depth=3
	s_delay_alu instid0(SALU_CYCLE_1)
	s_or_b32 exec_lo, exec_lo, s44
.LBB4_5475:                             ;   in Loop: Header=BB4_4811 Depth=3
	s_delay_alu instid0(SALU_CYCLE_1) | instskip(NEXT) | instid1(VALU_DEP_1)
	s_or_b32 exec_lo, exec_lo, s13
	v_add_f32_e32 v16, v19, v18
                                        ; implicit-def: $vgpr122
	s_mov_b32 s13, exec_lo
	s_delay_alu instid0(VALU_DEP_1) | instskip(SKIP_1) | instid1(VALU_DEP_2)
	v_and_b32_e32 v2, 0x7f800000, v16
	v_lshrrev_b32_e32 v17, 24, v16
	v_cmpx_ne_u64_e32 0x7f800000, v[2:3]
	s_xor_b32 s44, exec_lo, s13
	s_cbranch_execz .LBB4_5489
; %bb.5476:                             ;   in Loop: Header=BB4_4811 Depth=3
	v_and_b32_e32 v2, 0x7fffffff, v16
	v_and_b32_e32 v26, 0x80, v17
                                        ; implicit-def: $vgpr122
	s_mov_b32 s13, exec_lo
	s_delay_alu instid0(VALU_DEP_2)
	v_cmpx_gt_u64_e32 0x43e00001, v[2:3]
	s_xor_b32 s45, exec_lo, s13
	s_cbranch_execz .LBB4_5486
; %bb.5477:                             ;   in Loop: Header=BB4_4811 Depth=3
	v_mov_b32_e32 v122, 0
	s_mov_b32 s74, exec_lo
	v_cmpx_ne_u32_e32 0, v16
	s_cbranch_execz .LBB4_5485
; %bb.5478:                             ;   in Loop: Header=BB4_4811 Depth=3
	v_bfe_u32 v24, v16, 23, 8
	s_delay_alu instid0(VALU_DEP_1) | instskip(SKIP_1) | instid1(VALU_DEP_2)
	v_sub_nc_u32_e32 v2, 0x79, v24
	v_cmp_gt_u32_e32 vcc_lo, 0x7a, v24
	v_cndmask_b32_e32 v2, 0, v2, vcc_lo
	v_cmp_eq_u32_e32 vcc_lo, 0, v24
	s_delay_alu instid0(VALU_DEP_2) | instskip(SKIP_1) | instid1(VALU_DEP_2)
	v_cndmask_b32_e64 v25, v2, 0x78, vcc_lo
	v_and_b32_e32 v2, 0x7fffff, v16
	v_add_nc_u32_e32 v16, 20, v25
	s_delay_alu instid0(VALU_DEP_2) | instskip(SKIP_1) | instid1(VALU_DEP_3)
	v_or_b32_e32 v18, 0x800000, v2
	v_add_nc_u32_e32 v19, 19, v25
	v_lshlrev_b64_e64 v[16:17], v16, -1
	s_delay_alu instid0(VALU_DEP_3) | instskip(NEXT) | instid1(VALU_DEP_3)
	v_cndmask_b32_e32 v2, v18, v2, vcc_lo
	v_lshlrev_b64_e64 v[18:19], v19, 1
	s_delay_alu instid0(VALU_DEP_3) | instskip(NEXT) | instid1(VALU_DEP_3)
	v_bfi_b32 v29, v17, 0, 0
	v_bfi_b32 v28, v16, 0, v2
	v_lshrrev_b64 v[16:17], v25, v[2:3]
	s_delay_alu instid0(VALU_DEP_2) | instskip(NEXT) | instid1(VALU_DEP_2)
	v_cmp_eq_u64_e64 s13, v[28:29], v[18:19]
	v_mov_b64_e32 v[18:19], v[16:17]
	s_and_saveexec_b32 s75, s13
; %bb.5479:                             ;   in Loop: Header=BB4_4811 Depth=3
	v_bfe_u32 v2, v16, 20, 1
	s_delay_alu instid0(VALU_DEP_1) | instskip(NEXT) | instid1(VALU_DEP_1)
	v_add_nc_u64_e32 v[18:19], v[16:17], v[2:3]
	v_add_nc_u64_e32 v[18:19], -1, v[18:19]
; %bb.5480:                             ;   in Loop: Header=BB4_4811 Depth=3
	s_or_b32 exec_lo, exec_lo, s75
	v_add_nc_u32_e32 v2, 0xffffff81, v24
	v_lshrrev_b32_e32 v17, 23, v16
	s_mov_b32 s13, exec_lo
	s_delay_alu instid0(VALU_DEP_2) | instskip(NEXT) | instid1(VALU_DEP_1)
	v_cndmask_b32_e64 v2, v2, 0xffffff82, vcc_lo
	v_add3_u32 v19, v25, v2, v17
	v_and_b32_e32 v2, 0xfffff, v18
                                        ; implicit-def: $vgpr18
	s_delay_alu instid0(VALU_DEP_1) | instskip(NEXT) | instid1(VALU_DEP_1)
	v_dual_add_nc_u32 v24, 6, v19 :: v_dual_add_nc_u32 v2, v2, v16
                                        ; implicit-def: $vgpr16_vgpr17
	v_cmpx_ne_u32_e32 0, v24
	s_xor_b32 s13, exec_lo, s13
; %bb.5481:                             ;   in Loop: Header=BB4_4811 Depth=3
	s_delay_alu instid0(VALU_DEP_2) | instskip(SKIP_1) | instid1(VALU_DEP_1)
	v_cmp_lt_u64_e32 vcc_lo, 0xffffff, v[2:3]
	v_add_nc_u32_e32 v16, 7, v19
	v_cndmask_b32_e32 v18, v24, v16, vcc_lo
	v_cndmask_b32_e64 v16, 0, 1, vcc_lo
	s_delay_alu instid0(VALU_DEP_1)
	v_lshrrev_b64 v[16:17], v16, v[2:3]
; %bb.5482:                             ;   in Loop: Header=BB4_4811 Depth=3
	s_and_not1_saveexec_b32 s13, s13
; %bb.5483:                             ;   in Loop: Header=BB4_4811 Depth=3
	v_mov_b64_e32 v[16:17], v[2:3]
	v_bfe_u32 v18, v2, 23, 1
; %bb.5484:                             ;   in Loop: Header=BB4_4811 Depth=3
	s_or_b32 exec_lo, exec_lo, s13
	s_delay_alu instid0(VALU_DEP_2) | instskip(NEXT) | instid1(VALU_DEP_2)
	v_lshrrev_b64 v[16:17], 20, v[16:17]
	v_cmp_gt_i32_e32 vcc_lo, 16, v18
	v_min_i32_e32 v2, 15, v18
	v_cmp_eq_u32_e64 s13, 0, v18
	s_delay_alu instid0(VALU_DEP_2) | instskip(SKIP_1) | instid1(VALU_DEP_2)
	v_dual_cndmask_b32 v17, 0, v17 :: v_dual_lshlrev_b32 v2, 3, v2
	v_cndmask_b32_e32 v16, 7, v16, vcc_lo
	v_and_b32_e32 v2, 0xf8, v2
	s_delay_alu instid0(VALU_DEP_2) | instskip(NEXT) | instid1(VALU_DEP_2)
	v_cmp_eq_u64_e32 vcc_lo, 0, v[16:17]
	v_and_or_b32 v2, v16, 7, v2
	s_and_b32 s13, s13, vcc_lo
	s_delay_alu instid0(VALU_DEP_1) | instid1(SALU_CYCLE_1)
	v_cndmask_b32_e64 v2, v2, 0, s13
	s_delay_alu instid0(VALU_DEP_1)
	v_or_b32_e32 v122, v2, v26
.LBB4_5485:                             ;   in Loop: Header=BB4_4811 Depth=3
	s_or_b32 exec_lo, exec_lo, s74
                                        ; implicit-def: $vgpr26
.LBB4_5486:                             ;   in Loop: Header=BB4_4811 Depth=3
	s_and_not1_saveexec_b32 s13, s45
; %bb.5487:                             ;   in Loop: Header=BB4_4811 Depth=3
	v_or_b32_e32 v122, 0x7e, v26
; %bb.5488:                             ;   in Loop: Header=BB4_4811 Depth=3
	s_or_b32 exec_lo, exec_lo, s13
                                        ; implicit-def: $vgpr17
.LBB4_5489:                             ;   in Loop: Header=BB4_4811 Depth=3
	s_and_not1_saveexec_b32 s13, s44
; %bb.5490:                             ;   in Loop: Header=BB4_4811 Depth=3
	v_or_b32_e32 v122, 0x7f, v17
; %bb.5491:                             ;   in Loop: Header=BB4_4811 Depth=3
	s_or_b32 exec_lo, exec_lo, s13
	v_dual_lshrrev_b32 v24, 16, v13 :: v_dual_mov_b32 v18, 0
	v_mov_b32_e32 v19, 0
	s_mov_b32 s13, exec_lo
	s_delay_alu instid0(VALU_DEP_2) | instskip(NEXT) | instid1(VALU_DEP_1)
	v_and_b32_e32 v2, 0xff, v24
	v_cmpx_ne_u16_e32 0, v2
	s_cbranch_execz .LBB4_5499
; %bb.5492:                             ;   in Loop: Header=BB4_4811 Depth=3
	v_bfrev_b32_e32 v19, 1
	s_mov_b32 s44, exec_lo
	v_cmpx_ne_u16_e32 0x80, v2
	s_cbranch_execz .LBB4_5498
; %bb.5493:                             ;   in Loop: Header=BB4_4811 Depth=3
	v_bfe_u32 v16, v13, 16, 7
	v_mov_b32_e32 v19, 0x7f800001
	s_mov_b32 s45, exec_lo
	s_delay_alu instid0(VALU_DEP_2)
	v_cmpx_ne_u32_e32 0x7f, v16
	s_cbranch_execz .LBB4_5497
; %bb.5494:                             ;   in Loop: Header=BB4_4811 Depth=3
	v_and_b32_e32 v2, 7, v24
	v_lshrrev_b32_e32 v19, 3, v16
	v_cmp_gt_u32_e32 vcc_lo, 8, v16
	s_delay_alu instid0(VALU_DEP_3)
	v_mov_b64_e32 v[16:17], v[2:3]
	s_and_saveexec_b32 s74, vcc_lo
; %bb.5495:                             ;   in Loop: Header=BB4_4811 Depth=3
	v_clz_i32_u32_e32 v16, v2
	s_delay_alu instid0(VALU_DEP_1) | instskip(NEXT) | instid1(VALU_DEP_1)
	v_min_u32_e32 v19, 32, v16
	v_subrev_nc_u32_e32 v16, 28, v19
	s_delay_alu instid0(VALU_DEP_1) | instskip(NEXT) | instid1(VALU_DEP_1)
	v_lshlrev_b64_e32 v[16:17], v16, v[2:3]
	v_dual_sub_nc_u32 v19, 29, v19 :: v_dual_bitop2_b32 v16, 7, v16 bitop3:0x40
; %bb.5496:                             ;   in Loop: Header=BB4_4811 Depth=3
	s_or_b32 exec_lo, exec_lo, s74
	v_lshlrev_b32_e32 v2, 24, v24
	s_delay_alu instid0(VALU_DEP_2) | instskip(NEXT) | instid1(VALU_DEP_3)
	v_lshlrev_b32_e32 v16, 20, v16
	v_lshl_add_u32 v17, v19, 23, 0x3c000000
	s_delay_alu instid0(VALU_DEP_3) | instskip(NEXT) | instid1(VALU_DEP_1)
	v_and_b32_e32 v2, 0x80000000, v2
	v_or3_b32 v19, v16, v2, v17
.LBB4_5497:                             ;   in Loop: Header=BB4_4811 Depth=3
	s_or_b32 exec_lo, exec_lo, s45
.LBB4_5498:                             ;   in Loop: Header=BB4_4811 Depth=3
	s_delay_alu instid0(SALU_CYCLE_1)
	s_or_b32 exec_lo, exec_lo, s44
.LBB4_5499:                             ;   in Loop: Header=BB4_4811 Depth=3
	s_delay_alu instid0(SALU_CYCLE_1) | instskip(SKIP_2) | instid1(VALU_DEP_1)
	s_or_b32 exec_lo, exec_lo, s13
	v_lshrrev_b32_e32 v2, 16, v9
	s_mov_b32 s13, exec_lo
	v_and_b32_e32 v16, 0xff, v2
	s_delay_alu instid0(VALU_DEP_1)
	v_cmpx_ne_u16_e32 0, v16
	s_cbranch_execz .LBB4_5507
; %bb.5500:                             ;   in Loop: Header=BB4_4811 Depth=3
	v_bfrev_b32_e32 v18, 1
	s_mov_b32 s44, exec_lo
	v_cmpx_ne_u16_e32 0x80, v16
	s_cbranch_execz .LBB4_5506
; %bb.5501:                             ;   in Loop: Header=BB4_4811 Depth=3
	v_bfe_u32 v16, v9, 16, 7
	v_mov_b32_e32 v18, 0x7f800001
	s_mov_b32 s45, exec_lo
	s_delay_alu instid0(VALU_DEP_2)
	v_cmpx_ne_u32_e32 0x7f, v16
	s_cbranch_execz .LBB4_5505
; %bb.5502:                             ;   in Loop: Header=BB4_4811 Depth=3
	v_dual_lshrrev_b32 v18, 3, v16 :: v_dual_bitop2_b32 v2, 7, v2 bitop3:0x40
	v_cmp_gt_u32_e32 vcc_lo, 8, v16
	s_delay_alu instid0(VALU_DEP_2)
	v_mov_b64_e32 v[16:17], v[2:3]
	s_and_saveexec_b32 s74, vcc_lo
; %bb.5503:                             ;   in Loop: Header=BB4_4811 Depth=3
	v_clz_i32_u32_e32 v16, v2
	s_delay_alu instid0(VALU_DEP_1) | instskip(NEXT) | instid1(VALU_DEP_1)
	v_min_u32_e32 v18, 32, v16
	v_subrev_nc_u32_e32 v16, 28, v18
	s_delay_alu instid0(VALU_DEP_1) | instskip(NEXT) | instid1(VALU_DEP_1)
	v_lshlrev_b64_e32 v[16:17], v16, v[2:3]
	v_dual_sub_nc_u32 v18, 29, v18 :: v_dual_bitop2_b32 v16, 7, v16 bitop3:0x40
; %bb.5504:                             ;   in Loop: Header=BB4_4811 Depth=3
	s_or_b32 exec_lo, exec_lo, s74
	s_delay_alu instid0(VALU_DEP_1) | instskip(NEXT) | instid1(VALU_DEP_2)
	v_dual_lshlrev_b32 v2, 8, v9 :: v_dual_lshlrev_b32 v16, 20, v16
	v_lshl_add_u32 v17, v18, 23, 0x3c000000
	s_delay_alu instid0(VALU_DEP_2) | instskip(NEXT) | instid1(VALU_DEP_1)
	v_and_b32_e32 v2, 0x80000000, v2
	v_or3_b32 v18, v16, v2, v17
.LBB4_5505:                             ;   in Loop: Header=BB4_4811 Depth=3
	s_or_b32 exec_lo, exec_lo, s45
.LBB4_5506:                             ;   in Loop: Header=BB4_4811 Depth=3
	s_delay_alu instid0(SALU_CYCLE_1)
	s_or_b32 exec_lo, exec_lo, s44
.LBB4_5507:                             ;   in Loop: Header=BB4_4811 Depth=3
	s_delay_alu instid0(SALU_CYCLE_1) | instskip(NEXT) | instid1(VALU_DEP_1)
	s_or_b32 exec_lo, exec_lo, s13
	v_add_f32_e32 v17, v19, v18
                                        ; implicit-def: $vgpr16
	s_mov_b32 s13, exec_lo
	s_delay_alu instid0(VALU_DEP_1) | instskip(SKIP_1) | instid1(VALU_DEP_2)
	v_and_b32_e32 v2, 0x7f800000, v17
	v_lshrrev_b32_e32 v18, 24, v17
	v_cmpx_ne_u64_e32 0x7f800000, v[2:3]
	s_xor_b32 s44, exec_lo, s13
	s_cbranch_execz .LBB4_5521
; %bb.5508:                             ;   in Loop: Header=BB4_4811 Depth=3
	v_and_b32_e32 v2, 0x7fffffff, v17
	v_and_b32_e32 v26, 0x80, v18
                                        ; implicit-def: $vgpr16
	s_mov_b32 s13, exec_lo
	s_delay_alu instid0(VALU_DEP_2)
	v_cmpx_gt_u64_e32 0x43e00001, v[2:3]
	s_xor_b32 s45, exec_lo, s13
	s_cbranch_execz .LBB4_5518
; %bb.5509:                             ;   in Loop: Header=BB4_4811 Depth=3
	v_mov_b32_e32 v16, 0
	s_mov_b32 s74, exec_lo
	v_cmpx_ne_u32_e32 0, v17
	s_cbranch_execz .LBB4_5517
; %bb.5510:                             ;   in Loop: Header=BB4_4811 Depth=3
	v_bfe_u32 v27, v17, 23, 8
	v_and_b32_e32 v2, 0x7fffff, v17
	s_delay_alu instid0(VALU_DEP_2) | instskip(SKIP_2) | instid1(VALU_DEP_4)
	v_cmp_gt_u32_e64 s13, 0x7a, v27
	v_sub_nc_u32_e32 v16, 0x79, v27
	v_cmp_eq_u32_e32 vcc_lo, 0, v27
	v_or_b32_e32 v17, 0x800000, v2
	s_delay_alu instid0(VALU_DEP_1) | instskip(NEXT) | instid1(VALU_DEP_1)
	v_dual_cndmask_b32 v16, 0, v16, s13 :: v_dual_cndmask_b32 v2, v17, v2, vcc_lo
	v_cndmask_b32_e64 v24, v16, 0x78, vcc_lo
	s_delay_alu instid0(VALU_DEP_1) | instskip(NEXT) | instid1(VALU_DEP_1)
	v_dual_add_nc_u32 v16, 20, v24 :: v_dual_add_nc_u32 v18, 19, v24
	v_lshlrev_b64_e64 v[16:17], v16, -1
	s_delay_alu instid0(VALU_DEP_2) | instskip(NEXT) | instid1(VALU_DEP_2)
	v_lshlrev_b64_e64 v[18:19], v18, 1
	v_bfi_b32 v17, v17, 0, 0
	s_delay_alu instid0(VALU_DEP_3) | instskip(NEXT) | instid1(VALU_DEP_1)
	v_bfi_b32 v16, v16, 0, v2
	v_cmp_eq_u64_e64 s13, v[16:17], v[18:19]
	v_lshrrev_b64 v[16:17], v24, v[2:3]
	s_delay_alu instid0(VALU_DEP_1)
	v_mov_b64_e32 v[18:19], v[16:17]
	s_and_saveexec_b32 s75, s13
; %bb.5511:                             ;   in Loop: Header=BB4_4811 Depth=3
	v_bfe_u32 v2, v16, 20, 1
	s_delay_alu instid0(VALU_DEP_1) | instskip(NEXT) | instid1(VALU_DEP_1)
	v_add_nc_u64_e32 v[18:19], v[16:17], v[2:3]
	v_add_nc_u64_e32 v[18:19], -1, v[18:19]
; %bb.5512:                             ;   in Loop: Header=BB4_4811 Depth=3
	s_or_b32 exec_lo, exec_lo, s75
	v_add_nc_u32_e32 v2, 0xffffff81, v27
	v_lshrrev_b32_e32 v17, 23, v16
	s_mov_b32 s13, exec_lo
	s_delay_alu instid0(VALU_DEP_2) | instskip(NEXT) | instid1(VALU_DEP_1)
	v_cndmask_b32_e64 v2, v2, 0xffffff82, vcc_lo
	v_add3_u32 v19, v24, v2, v17
	v_and_b32_e32 v2, 0xfffff, v18
                                        ; implicit-def: $vgpr18
	s_delay_alu instid0(VALU_DEP_1) | instskip(NEXT) | instid1(VALU_DEP_1)
	v_dual_add_nc_u32 v24, 6, v19 :: v_dual_add_nc_u32 v2, v2, v16
                                        ; implicit-def: $vgpr16_vgpr17
	v_cmpx_ne_u32_e32 0, v24
	s_xor_b32 s13, exec_lo, s13
; %bb.5513:                             ;   in Loop: Header=BB4_4811 Depth=3
	s_delay_alu instid0(VALU_DEP_2) | instskip(SKIP_1) | instid1(VALU_DEP_1)
	v_cmp_lt_u64_e32 vcc_lo, 0xffffff, v[2:3]
	v_add_nc_u32_e32 v16, 7, v19
	v_cndmask_b32_e32 v18, v24, v16, vcc_lo
	v_cndmask_b32_e64 v16, 0, 1, vcc_lo
	s_delay_alu instid0(VALU_DEP_1)
	v_lshrrev_b64 v[16:17], v16, v[2:3]
; %bb.5514:                             ;   in Loop: Header=BB4_4811 Depth=3
	s_and_not1_saveexec_b32 s13, s13
; %bb.5515:                             ;   in Loop: Header=BB4_4811 Depth=3
	v_mov_b64_e32 v[16:17], v[2:3]
	v_bfe_u32 v18, v2, 23, 1
; %bb.5516:                             ;   in Loop: Header=BB4_4811 Depth=3
	s_or_b32 exec_lo, exec_lo, s13
	s_delay_alu instid0(VALU_DEP_2) | instskip(NEXT) | instid1(VALU_DEP_2)
	v_lshrrev_b64 v[16:17], 20, v[16:17]
	v_cmp_gt_i32_e32 vcc_lo, 16, v18
	v_min_i32_e32 v2, 15, v18
	v_cmp_eq_u32_e64 s13, 0, v18
	s_delay_alu instid0(VALU_DEP_2) | instskip(SKIP_1) | instid1(VALU_DEP_2)
	v_dual_cndmask_b32 v17, 0, v17 :: v_dual_lshlrev_b32 v2, 3, v2
	v_cndmask_b32_e32 v16, 7, v16, vcc_lo
	v_and_b32_e32 v2, 0xf8, v2
	s_delay_alu instid0(VALU_DEP_2) | instskip(NEXT) | instid1(VALU_DEP_2)
	v_cmp_eq_u64_e32 vcc_lo, 0, v[16:17]
	v_and_or_b32 v2, v16, 7, v2
	s_and_b32 s13, s13, vcc_lo
	s_delay_alu instid0(VALU_DEP_1) | instid1(SALU_CYCLE_1)
	v_cndmask_b32_e64 v2, v2, 0, s13
	s_delay_alu instid0(VALU_DEP_1)
	v_or_b32_e32 v16, v2, v26
.LBB4_5517:                             ;   in Loop: Header=BB4_4811 Depth=3
	s_or_b32 exec_lo, exec_lo, s74
                                        ; implicit-def: $vgpr26
.LBB4_5518:                             ;   in Loop: Header=BB4_4811 Depth=3
	s_and_not1_saveexec_b32 s13, s45
; %bb.5519:                             ;   in Loop: Header=BB4_4811 Depth=3
	v_or_b32_e32 v16, 0x7e, v26
; %bb.5520:                             ;   in Loop: Header=BB4_4811 Depth=3
	s_or_b32 exec_lo, exec_lo, s13
                                        ; implicit-def: $vgpr18
.LBB4_5521:                             ;   in Loop: Header=BB4_4811 Depth=3
	s_and_not1_saveexec_b32 s13, s44
; %bb.5522:                             ;   in Loop: Header=BB4_4811 Depth=3
	v_or_b32_e32 v16, 0x7f, v18
; %bb.5523:                             ;   in Loop: Header=BB4_4811 Depth=3
	s_or_b32 exec_lo, exec_lo, s13
	v_cmp_lt_u64_e32 vcc_lo, s[22:23], v[12:13]
	v_dual_mov_b32 v17, 0 :: v_dual_mov_b32 v12, 0
	s_and_saveexec_b32 s13, vcc_lo
	s_cbranch_execz .LBB4_5531
; %bb.5524:                             ;   in Loop: Header=BB4_4811 Depth=3
	v_lshrrev_b32_e32 v18, 24, v13
	v_bfrev_b32_e32 v12, 1
	s_mov_b32 s44, exec_lo
	s_delay_alu instid0(VALU_DEP_2)
	v_cmpx_ne_u32_e32 0x80, v18
	s_cbranch_execz .LBB4_5530
; %bb.5525:                             ;   in Loop: Header=BB4_4811 Depth=3
	v_bfe_u32 v13, v13, 24, 7
	v_mov_b32_e32 v12, 0x7f800001
	s_mov_b32 s45, exec_lo
	s_delay_alu instid0(VALU_DEP_2)
	v_cmpx_ne_u32_e32 0x7f, v13
	s_cbranch_execz .LBB4_5529
; %bb.5526:                             ;   in Loop: Header=BB4_4811 Depth=3
	v_dual_lshrrev_b32 v19, 3, v13 :: v_dual_bitop2_b32 v2, 7, v18 bitop3:0x40
	v_cmp_gt_u32_e32 vcc_lo, 8, v13
	s_delay_alu instid0(VALU_DEP_2)
	v_mov_b64_e32 v[12:13], v[2:3]
	s_and_saveexec_b32 s74, vcc_lo
; %bb.5527:                             ;   in Loop: Header=BB4_4811 Depth=3
	v_clz_i32_u32_e32 v12, v2
	s_delay_alu instid0(VALU_DEP_1) | instskip(NEXT) | instid1(VALU_DEP_1)
	v_min_u32_e32 v19, 32, v12
	v_subrev_nc_u32_e32 v12, 28, v19
	s_delay_alu instid0(VALU_DEP_1) | instskip(NEXT) | instid1(VALU_DEP_1)
	v_lshlrev_b64_e32 v[12:13], v12, v[2:3]
	v_dual_sub_nc_u32 v19, 29, v19 :: v_dual_bitop2_b32 v12, 7, v12 bitop3:0x40
; %bb.5528:                             ;   in Loop: Header=BB4_4811 Depth=3
	s_or_b32 exec_lo, exec_lo, s74
	s_delay_alu instid0(VALU_DEP_1) | instskip(NEXT) | instid1(VALU_DEP_2)
	v_dual_lshlrev_b32 v2, 24, v18 :: v_dual_lshlrev_b32 v12, 20, v12
	v_lshl_add_u32 v13, v19, 23, 0x3c000000
	s_delay_alu instid0(VALU_DEP_2) | instskip(NEXT) | instid1(VALU_DEP_1)
	v_and_b32_e32 v2, 0x80000000, v2
	v_or3_b32 v12, v12, v2, v13
.LBB4_5529:                             ;   in Loop: Header=BB4_4811 Depth=3
	s_or_b32 exec_lo, exec_lo, s45
.LBB4_5530:                             ;   in Loop: Header=BB4_4811 Depth=3
	s_delay_alu instid0(SALU_CYCLE_1)
	s_or_b32 exec_lo, exec_lo, s44
.LBB4_5531:                             ;   in Loop: Header=BB4_4811 Depth=3
	s_delay_alu instid0(SALU_CYCLE_1) | instskip(NEXT) | instid1(SALU_CYCLE_1)
	s_or_b32 exec_lo, exec_lo, s13
	s_mov_b32 s13, exec_lo
	v_cmpx_lt_u64_e64 s[22:23], v[8:9]
	s_cbranch_execz .LBB4_5539
; %bb.5532:                             ;   in Loop: Header=BB4_4811 Depth=3
	v_lshrrev_b32_e32 v13, 24, v9
	v_bfrev_b32_e32 v17, 1
	s_mov_b32 s44, exec_lo
	s_delay_alu instid0(VALU_DEP_2)
	v_cmpx_ne_u32_e32 0x80, v13
	s_cbranch_execz .LBB4_5538
; %bb.5533:                             ;   in Loop: Header=BB4_4811 Depth=3
	v_bfe_u32 v8, v9, 24, 7
	v_mov_b32_e32 v17, 0x7f800001
	s_mov_b32 s45, exec_lo
	s_delay_alu instid0(VALU_DEP_2)
	v_cmpx_ne_u32_e32 0x7f, v8
	s_cbranch_execz .LBB4_5537
; %bb.5534:                             ;   in Loop: Header=BB4_4811 Depth=3
	v_dual_lshrrev_b32 v17, 3, v8 :: v_dual_bitop2_b32 v2, 7, v13 bitop3:0x40
	v_cmp_gt_u32_e32 vcc_lo, 8, v8
	s_delay_alu instid0(VALU_DEP_2)
	v_mov_b64_e32 v[8:9], v[2:3]
	s_and_saveexec_b32 s74, vcc_lo
; %bb.5535:                             ;   in Loop: Header=BB4_4811 Depth=3
	v_clz_i32_u32_e32 v8, v2
	s_delay_alu instid0(VALU_DEP_1) | instskip(NEXT) | instid1(VALU_DEP_1)
	v_min_u32_e32 v17, 32, v8
	v_subrev_nc_u32_e32 v8, 28, v17
	s_delay_alu instid0(VALU_DEP_1) | instskip(NEXT) | instid1(VALU_DEP_1)
	v_lshlrev_b64_e32 v[8:9], v8, v[2:3]
	v_dual_sub_nc_u32 v17, 29, v17 :: v_dual_bitop2_b32 v8, 7, v8 bitop3:0x40
; %bb.5536:                             ;   in Loop: Header=BB4_4811 Depth=3
	s_or_b32 exec_lo, exec_lo, s74
	s_delay_alu instid0(VALU_DEP_1) | instskip(NEXT) | instid1(VALU_DEP_2)
	v_dual_lshlrev_b32 v2, 24, v13 :: v_dual_lshlrev_b32 v8, 20, v8
	v_lshl_add_u32 v9, v17, 23, 0x3c000000
	s_delay_alu instid0(VALU_DEP_2) | instskip(NEXT) | instid1(VALU_DEP_1)
	v_and_b32_e32 v2, 0x80000000, v2
	v_or3_b32 v17, v8, v2, v9
.LBB4_5537:                             ;   in Loop: Header=BB4_4811 Depth=3
	s_or_b32 exec_lo, exec_lo, s45
.LBB4_5538:                             ;   in Loop: Header=BB4_4811 Depth=3
	s_delay_alu instid0(SALU_CYCLE_1)
	s_or_b32 exec_lo, exec_lo, s44
.LBB4_5539:                             ;   in Loop: Header=BB4_4811 Depth=3
	s_delay_alu instid0(SALU_CYCLE_1) | instskip(NEXT) | instid1(VALU_DEP_1)
	s_or_b32 exec_lo, exec_lo, s13
	v_add_f32_e32 v8, v12, v17
                                        ; implicit-def: $vgpr17
	s_mov_b32 s13, exec_lo
	s_delay_alu instid0(VALU_DEP_1) | instskip(SKIP_1) | instid1(VALU_DEP_2)
	v_and_b32_e32 v2, 0x7f800000, v8
	v_lshrrev_b32_e32 v9, 24, v8
	v_cmpx_ne_u64_e32 0x7f800000, v[2:3]
	s_xor_b32 s44, exec_lo, s13
	s_cbranch_execz .LBB4_5553
; %bb.5540:                             ;   in Loop: Header=BB4_4811 Depth=3
	v_and_b32_e32 v2, 0x7fffffff, v8
	v_and_b32_e32 v18, 0x80, v9
                                        ; implicit-def: $vgpr17
	s_mov_b32 s13, exec_lo
	s_delay_alu instid0(VALU_DEP_2)
	v_cmpx_gt_u64_e32 0x43e00001, v[2:3]
	s_xor_b32 s45, exec_lo, s13
	s_cbranch_execz .LBB4_5550
; %bb.5541:                             ;   in Loop: Header=BB4_4811 Depth=3
	v_mov_b32_e32 v17, 0
	s_mov_b32 s74, exec_lo
	v_cmpx_ne_u32_e32 0, v8
	s_cbranch_execz .LBB4_5549
; %bb.5542:                             ;   in Loop: Header=BB4_4811 Depth=3
	v_bfe_u32 v17, v8, 23, 8
	s_delay_alu instid0(VALU_DEP_1) | instskip(SKIP_1) | instid1(VALU_DEP_2)
	v_sub_nc_u32_e32 v2, 0x79, v17
	v_cmp_gt_u32_e32 vcc_lo, 0x7a, v17
	v_cndmask_b32_e32 v2, 0, v2, vcc_lo
	v_cmp_eq_u32_e32 vcc_lo, 0, v17
	s_delay_alu instid0(VALU_DEP_2) | instskip(SKIP_1) | instid1(VALU_DEP_2)
	v_cndmask_b32_e64 v19, v2, 0x78, vcc_lo
	v_and_b32_e32 v2, 0x7fffff, v8
	v_add_nc_u32_e32 v8, 20, v19
	s_delay_alu instid0(VALU_DEP_2) | instskip(SKIP_1) | instid1(VALU_DEP_3)
	v_or_b32_e32 v12, 0x800000, v2
	v_add_nc_u32_e32 v13, 19, v19
	v_lshlrev_b64_e64 v[8:9], v8, -1
	s_delay_alu instid0(VALU_DEP_3) | instskip(NEXT) | instid1(VALU_DEP_3)
	v_cndmask_b32_e32 v2, v12, v2, vcc_lo
	v_lshlrev_b64_e64 v[12:13], v13, 1
	s_delay_alu instid0(VALU_DEP_3) | instskip(NEXT) | instid1(VALU_DEP_3)
	v_bfi_b32 v25, v9, 0, 0
	v_bfi_b32 v24, v8, 0, v2
	v_lshrrev_b64 v[8:9], v19, v[2:3]
	s_delay_alu instid0(VALU_DEP_2) | instskip(NEXT) | instid1(VALU_DEP_2)
	v_cmp_eq_u64_e64 s13, v[24:25], v[12:13]
	v_mov_b64_e32 v[12:13], v[8:9]
	s_and_saveexec_b32 s75, s13
; %bb.5543:                             ;   in Loop: Header=BB4_4811 Depth=3
	v_bfe_u32 v2, v8, 20, 1
	s_delay_alu instid0(VALU_DEP_1) | instskip(NEXT) | instid1(VALU_DEP_1)
	v_add_nc_u64_e32 v[12:13], v[8:9], v[2:3]
	v_add_nc_u64_e32 v[12:13], -1, v[12:13]
; %bb.5544:                             ;   in Loop: Header=BB4_4811 Depth=3
	s_or_b32 exec_lo, exec_lo, s75
	v_add_nc_u32_e32 v2, 0xffffff81, v17
	v_lshrrev_b32_e32 v9, 23, v8
	s_mov_b32 s13, exec_lo
	s_delay_alu instid0(VALU_DEP_2) | instskip(NEXT) | instid1(VALU_DEP_1)
	v_cndmask_b32_e64 v2, v2, 0xffffff82, vcc_lo
	v_add3_u32 v13, v19, v2, v9
	v_and_b32_e32 v2, 0xfffff, v12
                                        ; implicit-def: $vgpr12
	s_delay_alu instid0(VALU_DEP_1) | instskip(NEXT) | instid1(VALU_DEP_1)
	v_dual_add_nc_u32 v17, 6, v13 :: v_dual_add_nc_u32 v2, v2, v8
                                        ; implicit-def: $vgpr8_vgpr9
	v_cmpx_ne_u32_e32 0, v17
	s_xor_b32 s13, exec_lo, s13
; %bb.5545:                             ;   in Loop: Header=BB4_4811 Depth=3
	s_delay_alu instid0(VALU_DEP_2) | instskip(SKIP_1) | instid1(VALU_DEP_1)
	v_cmp_lt_u64_e32 vcc_lo, 0xffffff, v[2:3]
	v_add_nc_u32_e32 v8, 7, v13
	v_cndmask_b32_e32 v12, v17, v8, vcc_lo
	v_cndmask_b32_e64 v8, 0, 1, vcc_lo
	s_delay_alu instid0(VALU_DEP_1)
	v_lshrrev_b64 v[8:9], v8, v[2:3]
; %bb.5546:                             ;   in Loop: Header=BB4_4811 Depth=3
	s_and_not1_saveexec_b32 s13, s13
; %bb.5547:                             ;   in Loop: Header=BB4_4811 Depth=3
	v_mov_b64_e32 v[8:9], v[2:3]
	v_bfe_u32 v12, v2, 23, 1
; %bb.5548:                             ;   in Loop: Header=BB4_4811 Depth=3
	s_or_b32 exec_lo, exec_lo, s13
	s_delay_alu instid0(VALU_DEP_2) | instskip(NEXT) | instid1(VALU_DEP_2)
	v_lshrrev_b64 v[8:9], 20, v[8:9]
	v_cmp_gt_i32_e32 vcc_lo, 16, v12
	v_min_i32_e32 v2, 15, v12
	v_cmp_eq_u32_e64 s13, 0, v12
	s_delay_alu instid0(VALU_DEP_2) | instskip(SKIP_1) | instid1(VALU_DEP_2)
	v_dual_cndmask_b32 v9, 0, v9 :: v_dual_lshlrev_b32 v2, 3, v2
	v_cndmask_b32_e32 v8, 7, v8, vcc_lo
	v_and_b32_e32 v2, 0xf8, v2
	s_delay_alu instid0(VALU_DEP_2) | instskip(NEXT) | instid1(VALU_DEP_2)
	v_cmp_eq_u64_e32 vcc_lo, 0, v[8:9]
	v_and_or_b32 v2, v8, 7, v2
	s_and_b32 s13, s13, vcc_lo
	s_delay_alu instid0(VALU_DEP_1) | instid1(SALU_CYCLE_1)
	v_cndmask_b32_e64 v2, v2, 0, s13
	s_delay_alu instid0(VALU_DEP_1)
	v_or_b32_e32 v17, v2, v18
.LBB4_5549:                             ;   in Loop: Header=BB4_4811 Depth=3
	s_or_b32 exec_lo, exec_lo, s74
                                        ; implicit-def: $vgpr18
.LBB4_5550:                             ;   in Loop: Header=BB4_4811 Depth=3
	s_and_not1_saveexec_b32 s13, s45
; %bb.5551:                             ;   in Loop: Header=BB4_4811 Depth=3
	v_or_b32_e32 v17, 0x7e, v18
; %bb.5552:                             ;   in Loop: Header=BB4_4811 Depth=3
	s_or_b32 exec_lo, exec_lo, s13
                                        ; implicit-def: $vgpr9
.LBB4_5553:                             ;   in Loop: Header=BB4_4811 Depth=3
	s_and_not1_saveexec_b32 s13, s44
; %bb.5554:                             ;   in Loop: Header=BB4_4811 Depth=3
	v_or_b32_e32 v17, 0x7f, v9
; %bb.5555:                             ;   in Loop: Header=BB4_4811 Depth=3
	s_or_b32 exec_lo, exec_lo, s13
	v_and_b32_e32 v9, 0xff, v14
	v_dual_mov_b32 v2, 0 :: v_dual_mov_b32 v8, 0
	s_mov_b32 s13, exec_lo
	s_delay_alu instid0(VALU_DEP_2)
	v_cmpx_ne_u16_e32 0, v9
	s_cbranch_execz .LBB4_5561
; %bb.5556:                             ;   in Loop: Header=BB4_4811 Depth=3
	v_bfrev_b32_e32 v8, 1
	s_mov_b32 s44, exec_lo
	v_cmpx_ne_u16_e32 0x80, v9
	s_cbranch_execz .LBB4_5560
; %bb.5557:                             ;   in Loop: Header=BB4_4811 Depth=3
	v_and_b32_e32 v9, 0x7f, v14
	v_mov_b32_e32 v8, 0x7f800001
	s_mov_b32 s45, exec_lo
	s_delay_alu instid0(VALU_DEP_2)
	v_cmpx_ne_u32_e32 0x7f, v9
	s_cbranch_execz .LBB4_5559
; %bb.5558:                             ;   in Loop: Header=BB4_4811 Depth=3
	v_dual_lshrrev_b32 v12, 3, v9 :: v_dual_bitop2_b32 v8, 7, v14 bitop3:0x40
	v_cmp_gt_u32_e32 vcc_lo, 8, v9
	s_delay_alu instid0(VALU_DEP_2) | instskip(NEXT) | instid1(VALU_DEP_1)
	v_clz_i32_u32_e32 v8, v8
	v_min_u32_e32 v8, 32, v8
	s_delay_alu instid0(VALU_DEP_1) | instskip(SKIP_1) | instid1(VALU_DEP_1)
	v_subrev_nc_u32_e32 v13, 28, v8
	v_sub_nc_u32_e32 v8, 29, v8
	v_dual_cndmask_b32 v12, v12, v8, vcc_lo :: v_dual_cndmask_b32 v8, 0, v13, vcc_lo
	s_delay_alu instid0(VALU_DEP_1) | instskip(NEXT) | instid1(VALU_DEP_2)
	v_lshl_add_u32 v12, v12, 23, 0x3c000000
	v_lshlrev_b64_e32 v[8:9], v8, v[14:15]
	v_lshlrev_b32_e32 v9, 24, v14
	s_delay_alu instid0(VALU_DEP_1) | instskip(NEXT) | instid1(VALU_DEP_3)
	v_and_b32_e32 v9, 0x80000000, v9
	v_lshlrev_b32_e32 v8, 20, v8
	s_delay_alu instid0(VALU_DEP_1) | instskip(NEXT) | instid1(VALU_DEP_1)
	v_and_b32_e32 v8, 0x700000, v8
	v_or3_b32 v8, v8, v9, v12
.LBB4_5559:                             ;   in Loop: Header=BB4_4811 Depth=3
	s_or_b32 exec_lo, exec_lo, s45
.LBB4_5560:                             ;   in Loop: Header=BB4_4811 Depth=3
	s_delay_alu instid0(SALU_CYCLE_1)
	s_or_b32 exec_lo, exec_lo, s44
.LBB4_5561:                             ;   in Loop: Header=BB4_4811 Depth=3
	s_delay_alu instid0(SALU_CYCLE_1) | instskip(SKIP_2) | instid1(VALU_DEP_1)
	s_or_b32 exec_lo, exec_lo, s13
	v_and_b32_e32 v9, 0xff, v10
	s_mov_b32 s13, exec_lo
	v_cmpx_ne_u16_e32 0, v9
	s_cbranch_execz .LBB4_5567
; %bb.5562:                             ;   in Loop: Header=BB4_4811 Depth=3
	v_bfrev_b32_e32 v2, 1
	s_mov_b32 s44, exec_lo
	v_cmpx_ne_u16_e32 0x80, v9
	s_cbranch_execz .LBB4_5566
; %bb.5563:                             ;   in Loop: Header=BB4_4811 Depth=3
	v_and_b32_e32 v9, 0x7f, v10
	v_mov_b32_e32 v2, 0x7f800001
	s_mov_b32 s45, exec_lo
	s_delay_alu instid0(VALU_DEP_2)
	v_cmpx_ne_u32_e32 0x7f, v9
	s_cbranch_execz .LBB4_5565
; %bb.5564:                             ;   in Loop: Header=BB4_4811 Depth=3
	v_dual_lshrrev_b32 v12, 3, v9 :: v_dual_bitop2_b32 v2, 7, v10 bitop3:0x40
	v_cmp_gt_u32_e32 vcc_lo, 8, v9
	s_delay_alu instid0(VALU_DEP_2) | instskip(NEXT) | instid1(VALU_DEP_1)
	v_clz_i32_u32_e32 v2, v2
	v_min_u32_e32 v2, 32, v2
	s_delay_alu instid0(VALU_DEP_1) | instskip(NEXT) | instid1(VALU_DEP_1)
	v_subrev_nc_u32_e32 v13, 28, v2
	v_dual_cndmask_b32 v9, 0, v13 :: v_dual_sub_nc_u32 v2, 29, v2
	s_delay_alu instid0(VALU_DEP_1) | instskip(NEXT) | instid1(VALU_DEP_2)
	v_cndmask_b32_e32 v2, v12, v2, vcc_lo
	v_lshlrev_b64_e32 v[12:13], v9, v[10:11]
	v_lshlrev_b32_e32 v9, 24, v10
	s_delay_alu instid0(VALU_DEP_1) | instskip(NEXT) | instid1(VALU_DEP_3)
	v_and_b32_e32 v9, 0x80000000, v9
	v_lshlrev_b32_e32 v12, 20, v12
	v_lshl_add_u32 v2, v2, 23, 0x3c000000
	s_delay_alu instid0(VALU_DEP_2) | instskip(NEXT) | instid1(VALU_DEP_1)
	v_and_b32_e32 v12, 0x700000, v12
	v_or3_b32 v2, v12, v9, v2
.LBB4_5565:                             ;   in Loop: Header=BB4_4811 Depth=3
	s_or_b32 exec_lo, exec_lo, s45
.LBB4_5566:                             ;   in Loop: Header=BB4_4811 Depth=3
	s_delay_alu instid0(SALU_CYCLE_1)
	s_or_b32 exec_lo, exec_lo, s44
.LBB4_5567:                             ;   in Loop: Header=BB4_4811 Depth=3
	s_delay_alu instid0(SALU_CYCLE_1) | instskip(NEXT) | instid1(VALU_DEP_1)
	s_or_b32 exec_lo, exec_lo, s13
	v_add_f32_e32 v8, v8, v2
                                        ; implicit-def: $vgpr18
	s_mov_b32 s13, exec_lo
	s_delay_alu instid0(VALU_DEP_1) | instskip(SKIP_1) | instid1(VALU_DEP_2)
	v_and_b32_e32 v2, 0x7f800000, v8
	v_lshrrev_b32_e32 v9, 24, v8
	v_cmpx_ne_u64_e32 0x7f800000, v[2:3]
	s_xor_b32 s44, exec_lo, s13
	s_cbranch_execz .LBB4_5581
; %bb.5568:                             ;   in Loop: Header=BB4_4811 Depth=3
	v_and_b32_e32 v2, 0x7fffffff, v8
	v_and_b32_e32 v19, 0x80, v9
                                        ; implicit-def: $vgpr18
	s_mov_b32 s13, exec_lo
	s_delay_alu instid0(VALU_DEP_2)
	v_cmpx_gt_u64_e32 0x43e00001, v[2:3]
	s_xor_b32 s45, exec_lo, s13
	s_cbranch_execz .LBB4_5578
; %bb.5569:                             ;   in Loop: Header=BB4_4811 Depth=3
	v_mov_b32_e32 v18, 0
	s_mov_b32 s74, exec_lo
	v_cmpx_ne_u32_e32 0, v8
	s_cbranch_execz .LBB4_5577
; %bb.5570:                             ;   in Loop: Header=BB4_4811 Depth=3
	v_bfe_u32 v18, v8, 23, 8
	s_delay_alu instid0(VALU_DEP_1) | instskip(SKIP_1) | instid1(VALU_DEP_2)
	v_sub_nc_u32_e32 v2, 0x79, v18
	v_cmp_gt_u32_e32 vcc_lo, 0x7a, v18
	v_cndmask_b32_e32 v2, 0, v2, vcc_lo
	v_cmp_eq_u32_e32 vcc_lo, 0, v18
	s_delay_alu instid0(VALU_DEP_2) | instskip(SKIP_1) | instid1(VALU_DEP_2)
	v_cndmask_b32_e64 v24, v2, 0x78, vcc_lo
	v_and_b32_e32 v2, 0x7fffff, v8
	v_add_nc_u32_e32 v8, 20, v24
	s_delay_alu instid0(VALU_DEP_2) | instskip(SKIP_1) | instid1(VALU_DEP_3)
	v_or_b32_e32 v12, 0x800000, v2
	v_add_nc_u32_e32 v13, 19, v24
	v_lshlrev_b64_e64 v[8:9], v8, -1
	s_delay_alu instid0(VALU_DEP_3) | instskip(NEXT) | instid1(VALU_DEP_3)
	v_cndmask_b32_e32 v2, v12, v2, vcc_lo
	v_lshlrev_b64_e64 v[12:13], v13, 1
	s_delay_alu instid0(VALU_DEP_3) | instskip(NEXT) | instid1(VALU_DEP_3)
	v_bfi_b32 v27, v9, 0, 0
	v_bfi_b32 v26, v8, 0, v2
	v_lshrrev_b64 v[8:9], v24, v[2:3]
	s_delay_alu instid0(VALU_DEP_2) | instskip(NEXT) | instid1(VALU_DEP_2)
	v_cmp_eq_u64_e64 s13, v[26:27], v[12:13]
	v_mov_b64_e32 v[12:13], v[8:9]
	s_and_saveexec_b32 s75, s13
; %bb.5571:                             ;   in Loop: Header=BB4_4811 Depth=3
	v_bfe_u32 v2, v8, 20, 1
	s_delay_alu instid0(VALU_DEP_1) | instskip(NEXT) | instid1(VALU_DEP_1)
	v_add_nc_u64_e32 v[12:13], v[8:9], v[2:3]
	v_add_nc_u64_e32 v[12:13], -1, v[12:13]
; %bb.5572:                             ;   in Loop: Header=BB4_4811 Depth=3
	s_or_b32 exec_lo, exec_lo, s75
	v_add_nc_u32_e32 v2, 0xffffff81, v18
	v_lshrrev_b32_e32 v9, 23, v8
	s_mov_b32 s13, exec_lo
	s_delay_alu instid0(VALU_DEP_2) | instskip(NEXT) | instid1(VALU_DEP_1)
	v_cndmask_b32_e64 v2, v2, 0xffffff82, vcc_lo
	v_add3_u32 v13, v24, v2, v9
	v_and_b32_e32 v2, 0xfffff, v12
                                        ; implicit-def: $vgpr12
	s_delay_alu instid0(VALU_DEP_1) | instskip(NEXT) | instid1(VALU_DEP_1)
	v_dual_add_nc_u32 v18, 6, v13 :: v_dual_add_nc_u32 v2, v2, v8
                                        ; implicit-def: $vgpr8_vgpr9
	v_cmpx_ne_u32_e32 0, v18
	s_xor_b32 s13, exec_lo, s13
; %bb.5573:                             ;   in Loop: Header=BB4_4811 Depth=3
	s_delay_alu instid0(VALU_DEP_2) | instskip(SKIP_1) | instid1(VALU_DEP_1)
	v_cmp_lt_u64_e32 vcc_lo, 0xffffff, v[2:3]
	v_add_nc_u32_e32 v8, 7, v13
	v_cndmask_b32_e32 v12, v18, v8, vcc_lo
	v_cndmask_b32_e64 v8, 0, 1, vcc_lo
	s_delay_alu instid0(VALU_DEP_1)
	v_lshrrev_b64 v[8:9], v8, v[2:3]
; %bb.5574:                             ;   in Loop: Header=BB4_4811 Depth=3
	s_and_not1_saveexec_b32 s13, s13
; %bb.5575:                             ;   in Loop: Header=BB4_4811 Depth=3
	v_mov_b64_e32 v[8:9], v[2:3]
	v_bfe_u32 v12, v2, 23, 1
; %bb.5576:                             ;   in Loop: Header=BB4_4811 Depth=3
	s_or_b32 exec_lo, exec_lo, s13
	s_delay_alu instid0(VALU_DEP_2) | instskip(NEXT) | instid1(VALU_DEP_2)
	v_lshrrev_b64 v[8:9], 20, v[8:9]
	v_cmp_gt_i32_e32 vcc_lo, 16, v12
	v_min_i32_e32 v2, 15, v12
	v_cmp_eq_u32_e64 s13, 0, v12
	s_delay_alu instid0(VALU_DEP_2) | instskip(SKIP_1) | instid1(VALU_DEP_2)
	v_dual_cndmask_b32 v9, 0, v9 :: v_dual_lshlrev_b32 v2, 3, v2
	v_cndmask_b32_e32 v8, 7, v8, vcc_lo
	v_and_b32_e32 v2, 0xf8, v2
	s_delay_alu instid0(VALU_DEP_2) | instskip(NEXT) | instid1(VALU_DEP_2)
	v_cmp_eq_u64_e32 vcc_lo, 0, v[8:9]
	v_and_or_b32 v2, v8, 7, v2
	s_and_b32 s13, s13, vcc_lo
	s_delay_alu instid0(VALU_DEP_1) | instid1(SALU_CYCLE_1)
	v_cndmask_b32_e64 v2, v2, 0, s13
	s_delay_alu instid0(VALU_DEP_1)
	v_or_b32_e32 v18, v2, v19
.LBB4_5577:                             ;   in Loop: Header=BB4_4811 Depth=3
	s_or_b32 exec_lo, exec_lo, s74
                                        ; implicit-def: $vgpr19
.LBB4_5578:                             ;   in Loop: Header=BB4_4811 Depth=3
	s_and_not1_saveexec_b32 s13, s45
; %bb.5579:                             ;   in Loop: Header=BB4_4811 Depth=3
	v_or_b32_e32 v18, 0x7e, v19
; %bb.5580:                             ;   in Loop: Header=BB4_4811 Depth=3
	s_or_b32 exec_lo, exec_lo, s13
                                        ; implicit-def: $vgpr9
.LBB4_5581:                             ;   in Loop: Header=BB4_4811 Depth=3
	s_and_not1_saveexec_b32 s13, s44
; %bb.5582:                             ;   in Loop: Header=BB4_4811 Depth=3
	v_or_b32_e32 v18, 0x7f, v9
; %bb.5583:                             ;   in Loop: Header=BB4_4811 Depth=3
	s_or_b32 exec_lo, exec_lo, s13
	v_lshrrev_b16 v2, 8, v14
	v_dual_mov_b32 v12, 0 :: v_dual_mov_b32 v13, 0
	s_mov_b32 s13, exec_lo
	s_delay_alu instid0(VALU_DEP_2)
	v_cmpx_ne_u16_e32 0, v2
	s_cbranch_execz .LBB4_5591
; %bb.5584:                             ;   in Loop: Header=BB4_4811 Depth=3
	v_bfrev_b32_e32 v13, 1
	s_mov_b32 s44, exec_lo
	v_cmpx_ne_u16_e32 0x80, v2
	s_cbranch_execz .LBB4_5590
; %bb.5585:                             ;   in Loop: Header=BB4_4811 Depth=3
	v_and_b32_e32 v2, 0xffff, v2
	v_mov_b32_e32 v13, 0x7f800001
	s_mov_b32 s45, exec_lo
	s_delay_alu instid0(VALU_DEP_2) | instskip(NEXT) | instid1(VALU_DEP_1)
	v_and_b32_e32 v8, 0x7f, v2
	v_cmpx_ne_u32_e32 0x7f, v8
	s_cbranch_execz .LBB4_5589
; %bb.5586:                             ;   in Loop: Header=BB4_4811 Depth=3
	v_dual_lshrrev_b32 v13, 3, v8 :: v_dual_bitop2_b32 v2, 7, v2 bitop3:0x40
	v_cmp_gt_u32_e32 vcc_lo, 8, v8
	s_delay_alu instid0(VALU_DEP_2)
	v_mov_b64_e32 v[8:9], v[2:3]
	s_and_saveexec_b32 s74, vcc_lo
; %bb.5587:                             ;   in Loop: Header=BB4_4811 Depth=3
	v_clz_i32_u32_e32 v8, v2
	s_delay_alu instid0(VALU_DEP_1) | instskip(NEXT) | instid1(VALU_DEP_1)
	v_min_u32_e32 v13, 32, v8
	v_subrev_nc_u32_e32 v8, 28, v13
	s_delay_alu instid0(VALU_DEP_1) | instskip(NEXT) | instid1(VALU_DEP_1)
	v_lshlrev_b64_e32 v[8:9], v8, v[2:3]
	v_dual_sub_nc_u32 v13, 29, v13 :: v_dual_bitop2_b32 v8, 7, v8 bitop3:0x40
; %bb.5588:                             ;   in Loop: Header=BB4_4811 Depth=3
	s_or_b32 exec_lo, exec_lo, s74
	s_delay_alu instid0(VALU_DEP_1) | instskip(NEXT) | instid1(VALU_DEP_2)
	v_dual_lshlrev_b32 v2, 16, v14 :: v_dual_lshlrev_b32 v8, 20, v8
	v_lshl_add_u32 v9, v13, 23, 0x3c000000
	s_delay_alu instid0(VALU_DEP_2) | instskip(NEXT) | instid1(VALU_DEP_1)
	v_and_b32_e32 v2, 0x80000000, v2
	v_or3_b32 v13, v8, v2, v9
.LBB4_5589:                             ;   in Loop: Header=BB4_4811 Depth=3
	s_or_b32 exec_lo, exec_lo, s45
.LBB4_5590:                             ;   in Loop: Header=BB4_4811 Depth=3
	s_delay_alu instid0(SALU_CYCLE_1)
	s_or_b32 exec_lo, exec_lo, s44
.LBB4_5591:                             ;   in Loop: Header=BB4_4811 Depth=3
	s_delay_alu instid0(SALU_CYCLE_1) | instskip(SKIP_2) | instid1(VALU_DEP_1)
	s_or_b32 exec_lo, exec_lo, s13
	v_lshrrev_b16 v2, 8, v10
	s_mov_b32 s13, exec_lo
	v_cmpx_ne_u16_e32 0, v2
	s_cbranch_execz .LBB4_5599
; %bb.5592:                             ;   in Loop: Header=BB4_4811 Depth=3
	v_bfrev_b32_e32 v12, 1
	s_mov_b32 s44, exec_lo
	v_cmpx_ne_u16_e32 0x80, v2
	s_cbranch_execz .LBB4_5598
; %bb.5593:                             ;   in Loop: Header=BB4_4811 Depth=3
	v_and_b32_e32 v2, 0xffff, v2
	v_mov_b32_e32 v12, 0x7f800001
	s_mov_b32 s45, exec_lo
	s_delay_alu instid0(VALU_DEP_2) | instskip(NEXT) | instid1(VALU_DEP_1)
	v_and_b32_e32 v8, 0x7f, v2
	v_cmpx_ne_u32_e32 0x7f, v8
	s_cbranch_execz .LBB4_5597
; %bb.5594:                             ;   in Loop: Header=BB4_4811 Depth=3
	v_dual_lshrrev_b32 v12, 3, v8 :: v_dual_bitop2_b32 v2, 7, v2 bitop3:0x40
	v_cmp_gt_u32_e32 vcc_lo, 8, v8
	s_delay_alu instid0(VALU_DEP_2)
	v_mov_b64_e32 v[8:9], v[2:3]
	s_and_saveexec_b32 s74, vcc_lo
; %bb.5595:                             ;   in Loop: Header=BB4_4811 Depth=3
	v_clz_i32_u32_e32 v8, v2
	s_delay_alu instid0(VALU_DEP_1) | instskip(NEXT) | instid1(VALU_DEP_1)
	v_min_u32_e32 v12, 32, v8
	v_subrev_nc_u32_e32 v8, 28, v12
	v_sub_nc_u32_e32 v12, 29, v12
	s_delay_alu instid0(VALU_DEP_2) | instskip(NEXT) | instid1(VALU_DEP_1)
	v_lshlrev_b64_e32 v[8:9], v8, v[2:3]
	v_and_b32_e32 v8, 7, v8
; %bb.5596:                             ;   in Loop: Header=BB4_4811 Depth=3
	s_or_b32 exec_lo, exec_lo, s74
	s_delay_alu instid0(VALU_DEP_1) | instskip(SKIP_1) | instid1(VALU_DEP_2)
	v_dual_lshlrev_b32 v2, 16, v10 :: v_dual_lshlrev_b32 v8, 20, v8
	v_lshl_add_u32 v9, v12, 23, 0x3c000000
	v_and_b32_e32 v2, 0x80000000, v2
	s_delay_alu instid0(VALU_DEP_1)
	v_or3_b32 v12, v8, v2, v9
.LBB4_5597:                             ;   in Loop: Header=BB4_4811 Depth=3
	s_or_b32 exec_lo, exec_lo, s45
.LBB4_5598:                             ;   in Loop: Header=BB4_4811 Depth=3
	s_delay_alu instid0(SALU_CYCLE_1)
	s_or_b32 exec_lo, exec_lo, s44
.LBB4_5599:                             ;   in Loop: Header=BB4_4811 Depth=3
	s_delay_alu instid0(SALU_CYCLE_1) | instskip(NEXT) | instid1(VALU_DEP_1)
	s_or_b32 exec_lo, exec_lo, s13
	v_add_f32_e32 v8, v13, v12
                                        ; implicit-def: $vgpr19
	s_mov_b32 s13, exec_lo
	s_delay_alu instid0(VALU_DEP_1) | instskip(SKIP_1) | instid1(VALU_DEP_2)
	v_and_b32_e32 v2, 0x7f800000, v8
	v_lshrrev_b32_e32 v9, 24, v8
	v_cmpx_ne_u64_e32 0x7f800000, v[2:3]
	s_xor_b32 s44, exec_lo, s13
	s_cbranch_execz .LBB4_5613
; %bb.5600:                             ;   in Loop: Header=BB4_4811 Depth=3
	v_and_b32_e32 v2, 0x7fffffff, v8
	v_and_b32_e32 v26, 0x80, v9
                                        ; implicit-def: $vgpr19
	s_mov_b32 s13, exec_lo
	s_delay_alu instid0(VALU_DEP_2)
	v_cmpx_gt_u64_e32 0x43e00001, v[2:3]
	s_xor_b32 s45, exec_lo, s13
	s_cbranch_execz .LBB4_5610
; %bb.5601:                             ;   in Loop: Header=BB4_4811 Depth=3
	v_mov_b32_e32 v19, 0
	s_mov_b32 s74, exec_lo
	v_cmpx_ne_u32_e32 0, v8
	s_cbranch_execz .LBB4_5609
; %bb.5602:                             ;   in Loop: Header=BB4_4811 Depth=3
	v_bfe_u32 v19, v8, 23, 8
	s_delay_alu instid0(VALU_DEP_1) | instskip(SKIP_1) | instid1(VALU_DEP_2)
	v_sub_nc_u32_e32 v2, 0x79, v19
	v_cmp_gt_u32_e32 vcc_lo, 0x7a, v19
	v_cndmask_b32_e32 v2, 0, v2, vcc_lo
	v_cmp_eq_u32_e32 vcc_lo, 0, v19
	s_delay_alu instid0(VALU_DEP_2) | instskip(SKIP_1) | instid1(VALU_DEP_2)
	v_cndmask_b32_e64 v24, v2, 0x78, vcc_lo
	v_and_b32_e32 v2, 0x7fffff, v8
	v_add_nc_u32_e32 v8, 20, v24
	s_delay_alu instid0(VALU_DEP_2) | instskip(SKIP_1) | instid1(VALU_DEP_3)
	v_or_b32_e32 v12, 0x800000, v2
	v_add_nc_u32_e32 v13, 19, v24
	v_lshlrev_b64_e64 v[8:9], v8, -1
	s_delay_alu instid0(VALU_DEP_3) | instskip(NEXT) | instid1(VALU_DEP_3)
	v_cndmask_b32_e32 v2, v12, v2, vcc_lo
	v_lshlrev_b64_e64 v[12:13], v13, 1
	s_delay_alu instid0(VALU_DEP_3) | instskip(NEXT) | instid1(VALU_DEP_3)
	v_bfi_b32 v29, v9, 0, 0
	v_bfi_b32 v28, v8, 0, v2
	v_lshrrev_b64 v[8:9], v24, v[2:3]
	s_delay_alu instid0(VALU_DEP_2) | instskip(NEXT) | instid1(VALU_DEP_2)
	v_cmp_eq_u64_e64 s13, v[28:29], v[12:13]
	v_mov_b64_e32 v[12:13], v[8:9]
	s_and_saveexec_b32 s75, s13
; %bb.5603:                             ;   in Loop: Header=BB4_4811 Depth=3
	v_bfe_u32 v2, v8, 20, 1
	s_delay_alu instid0(VALU_DEP_1) | instskip(NEXT) | instid1(VALU_DEP_1)
	v_add_nc_u64_e32 v[12:13], v[8:9], v[2:3]
	v_add_nc_u64_e32 v[12:13], -1, v[12:13]
; %bb.5604:                             ;   in Loop: Header=BB4_4811 Depth=3
	s_or_b32 exec_lo, exec_lo, s75
	v_add_nc_u32_e32 v2, 0xffffff81, v19
	v_lshrrev_b32_e32 v9, 23, v8
	s_mov_b32 s13, exec_lo
	s_delay_alu instid0(VALU_DEP_2) | instskip(NEXT) | instid1(VALU_DEP_1)
	v_cndmask_b32_e64 v2, v2, 0xffffff82, vcc_lo
	v_add3_u32 v13, v24, v2, v9
	v_and_b32_e32 v2, 0xfffff, v12
                                        ; implicit-def: $vgpr12
	s_delay_alu instid0(VALU_DEP_1) | instskip(NEXT) | instid1(VALU_DEP_1)
	v_dual_add_nc_u32 v19, 6, v13 :: v_dual_add_nc_u32 v2, v2, v8
                                        ; implicit-def: $vgpr8_vgpr9
	v_cmpx_ne_u32_e32 0, v19
	s_xor_b32 s13, exec_lo, s13
; %bb.5605:                             ;   in Loop: Header=BB4_4811 Depth=3
	s_delay_alu instid0(VALU_DEP_2) | instskip(SKIP_1) | instid1(VALU_DEP_1)
	v_cmp_lt_u64_e32 vcc_lo, 0xffffff, v[2:3]
	v_add_nc_u32_e32 v8, 7, v13
	v_cndmask_b32_e32 v12, v19, v8, vcc_lo
	v_cndmask_b32_e64 v8, 0, 1, vcc_lo
	s_delay_alu instid0(VALU_DEP_1)
	v_lshrrev_b64 v[8:9], v8, v[2:3]
; %bb.5606:                             ;   in Loop: Header=BB4_4811 Depth=3
	s_and_not1_saveexec_b32 s13, s13
; %bb.5607:                             ;   in Loop: Header=BB4_4811 Depth=3
	v_mov_b64_e32 v[8:9], v[2:3]
	v_bfe_u32 v12, v2, 23, 1
; %bb.5608:                             ;   in Loop: Header=BB4_4811 Depth=3
	s_or_b32 exec_lo, exec_lo, s13
	s_delay_alu instid0(VALU_DEP_2) | instskip(NEXT) | instid1(VALU_DEP_2)
	v_lshrrev_b64 v[8:9], 20, v[8:9]
	v_cmp_gt_i32_e32 vcc_lo, 16, v12
	v_min_i32_e32 v2, 15, v12
	v_cmp_eq_u32_e64 s13, 0, v12
	s_delay_alu instid0(VALU_DEP_2) | instskip(SKIP_1) | instid1(VALU_DEP_2)
	v_dual_cndmask_b32 v9, 0, v9 :: v_dual_lshlrev_b32 v2, 3, v2
	v_cndmask_b32_e32 v8, 7, v8, vcc_lo
	v_and_b32_e32 v2, 0xf8, v2
	s_delay_alu instid0(VALU_DEP_2) | instskip(NEXT) | instid1(VALU_DEP_2)
	v_cmp_eq_u64_e32 vcc_lo, 0, v[8:9]
	v_and_or_b32 v2, v8, 7, v2
	s_and_b32 s13, s13, vcc_lo
	s_delay_alu instid0(VALU_DEP_1) | instid1(SALU_CYCLE_1)
	v_cndmask_b32_e64 v2, v2, 0, s13
	s_delay_alu instid0(VALU_DEP_1)
	v_or_b32_e32 v19, v2, v26
.LBB4_5609:                             ;   in Loop: Header=BB4_4811 Depth=3
	s_or_b32 exec_lo, exec_lo, s74
                                        ; implicit-def: $vgpr26
.LBB4_5610:                             ;   in Loop: Header=BB4_4811 Depth=3
	s_and_not1_saveexec_b32 s13, s45
; %bb.5611:                             ;   in Loop: Header=BB4_4811 Depth=3
	v_or_b32_e32 v19, 0x7e, v26
; %bb.5612:                             ;   in Loop: Header=BB4_4811 Depth=3
	s_or_b32 exec_lo, exec_lo, s13
                                        ; implicit-def: $vgpr9
.LBB4_5613:                             ;   in Loop: Header=BB4_4811 Depth=3
	s_and_not1_saveexec_b32 s13, s44
; %bb.5614:                             ;   in Loop: Header=BB4_4811 Depth=3
	v_or_b32_e32 v19, 0x7f, v9
; %bb.5615:                             ;   in Loop: Header=BB4_4811 Depth=3
	s_or_b32 exec_lo, exec_lo, s13
	v_dual_lshrrev_b32 v24, 16, v14 :: v_dual_mov_b32 v12, 0
	v_mov_b32_e32 v13, 0
	s_mov_b32 s13, exec_lo
	s_delay_alu instid0(VALU_DEP_2) | instskip(NEXT) | instid1(VALU_DEP_1)
	v_and_b32_e32 v2, 0xff, v24
	v_cmpx_ne_u16_e32 0, v2
	s_cbranch_execz .LBB4_5623
; %bb.5616:                             ;   in Loop: Header=BB4_4811 Depth=3
	v_bfrev_b32_e32 v13, 1
	s_mov_b32 s44, exec_lo
	v_cmpx_ne_u16_e32 0x80, v2
	s_cbranch_execz .LBB4_5622
; %bb.5617:                             ;   in Loop: Header=BB4_4811 Depth=3
	v_bfe_u32 v8, v14, 16, 7
	v_mov_b32_e32 v13, 0x7f800001
	s_mov_b32 s45, exec_lo
	s_delay_alu instid0(VALU_DEP_2)
	v_cmpx_ne_u32_e32 0x7f, v8
	s_cbranch_execz .LBB4_5621
; %bb.5618:                             ;   in Loop: Header=BB4_4811 Depth=3
	v_and_b32_e32 v2, 7, v24
	v_lshrrev_b32_e32 v13, 3, v8
	v_cmp_gt_u32_e32 vcc_lo, 8, v8
	s_delay_alu instid0(VALU_DEP_3)
	v_mov_b64_e32 v[8:9], v[2:3]
	s_and_saveexec_b32 s74, vcc_lo
; %bb.5619:                             ;   in Loop: Header=BB4_4811 Depth=3
	v_clz_i32_u32_e32 v8, v2
	s_delay_alu instid0(VALU_DEP_1) | instskip(NEXT) | instid1(VALU_DEP_1)
	v_min_u32_e32 v13, 32, v8
	v_subrev_nc_u32_e32 v8, 28, v13
	s_delay_alu instid0(VALU_DEP_1) | instskip(NEXT) | instid1(VALU_DEP_1)
	v_lshlrev_b64_e32 v[8:9], v8, v[2:3]
	v_dual_sub_nc_u32 v13, 29, v13 :: v_dual_bitop2_b32 v8, 7, v8 bitop3:0x40
; %bb.5620:                             ;   in Loop: Header=BB4_4811 Depth=3
	s_or_b32 exec_lo, exec_lo, s74
	v_lshlrev_b32_e32 v2, 24, v24
	s_delay_alu instid0(VALU_DEP_2) | instskip(NEXT) | instid1(VALU_DEP_3)
	v_lshlrev_b32_e32 v8, 20, v8
	v_lshl_add_u32 v9, v13, 23, 0x3c000000
	s_delay_alu instid0(VALU_DEP_3) | instskip(NEXT) | instid1(VALU_DEP_1)
	v_and_b32_e32 v2, 0x80000000, v2
	v_or3_b32 v13, v8, v2, v9
.LBB4_5621:                             ;   in Loop: Header=BB4_4811 Depth=3
	s_or_b32 exec_lo, exec_lo, s45
.LBB4_5622:                             ;   in Loop: Header=BB4_4811 Depth=3
	s_delay_alu instid0(SALU_CYCLE_1)
	s_or_b32 exec_lo, exec_lo, s44
.LBB4_5623:                             ;   in Loop: Header=BB4_4811 Depth=3
	s_delay_alu instid0(SALU_CYCLE_1) | instskip(SKIP_2) | instid1(VALU_DEP_1)
	s_or_b32 exec_lo, exec_lo, s13
	v_lshrrev_b32_e32 v2, 16, v10
	s_mov_b32 s13, exec_lo
	v_and_b32_e32 v8, 0xff, v2
	s_delay_alu instid0(VALU_DEP_1)
	v_cmpx_ne_u16_e32 0, v8
	s_cbranch_execz .LBB4_5631
; %bb.5624:                             ;   in Loop: Header=BB4_4811 Depth=3
	v_bfrev_b32_e32 v12, 1
	s_mov_b32 s44, exec_lo
	v_cmpx_ne_u16_e32 0x80, v8
	s_cbranch_execz .LBB4_5630
; %bb.5625:                             ;   in Loop: Header=BB4_4811 Depth=3
	v_bfe_u32 v8, v10, 16, 7
	v_mov_b32_e32 v12, 0x7f800001
	s_mov_b32 s45, exec_lo
	s_delay_alu instid0(VALU_DEP_2)
	v_cmpx_ne_u32_e32 0x7f, v8
	s_cbranch_execz .LBB4_5629
; %bb.5626:                             ;   in Loop: Header=BB4_4811 Depth=3
	v_dual_lshrrev_b32 v12, 3, v8 :: v_dual_bitop2_b32 v2, 7, v2 bitop3:0x40
	v_cmp_gt_u32_e32 vcc_lo, 8, v8
	s_delay_alu instid0(VALU_DEP_2)
	v_mov_b64_e32 v[8:9], v[2:3]
	s_and_saveexec_b32 s74, vcc_lo
; %bb.5627:                             ;   in Loop: Header=BB4_4811 Depth=3
	v_clz_i32_u32_e32 v8, v2
	s_delay_alu instid0(VALU_DEP_1) | instskip(NEXT) | instid1(VALU_DEP_1)
	v_min_u32_e32 v12, 32, v8
	v_subrev_nc_u32_e32 v8, 28, v12
	v_sub_nc_u32_e32 v12, 29, v12
	s_delay_alu instid0(VALU_DEP_2) | instskip(NEXT) | instid1(VALU_DEP_1)
	v_lshlrev_b64_e32 v[8:9], v8, v[2:3]
	v_and_b32_e32 v8, 7, v8
; %bb.5628:                             ;   in Loop: Header=BB4_4811 Depth=3
	s_or_b32 exec_lo, exec_lo, s74
	s_delay_alu instid0(VALU_DEP_1) | instskip(SKIP_1) | instid1(VALU_DEP_2)
	v_dual_lshlrev_b32 v2, 8, v10 :: v_dual_lshlrev_b32 v8, 20, v8
	v_lshl_add_u32 v9, v12, 23, 0x3c000000
	v_and_b32_e32 v2, 0x80000000, v2
	s_delay_alu instid0(VALU_DEP_1)
	v_or3_b32 v12, v8, v2, v9
.LBB4_5629:                             ;   in Loop: Header=BB4_4811 Depth=3
	s_or_b32 exec_lo, exec_lo, s45
.LBB4_5630:                             ;   in Loop: Header=BB4_4811 Depth=3
	s_delay_alu instid0(SALU_CYCLE_1)
	s_or_b32 exec_lo, exec_lo, s44
.LBB4_5631:                             ;   in Loop: Header=BB4_4811 Depth=3
	s_delay_alu instid0(SALU_CYCLE_1) | instskip(NEXT) | instid1(VALU_DEP_1)
	s_or_b32 exec_lo, exec_lo, s13
	v_add_f32_e32 v8, v13, v12
                                        ; implicit-def: $vgpr26
	s_mov_b32 s13, exec_lo
	s_delay_alu instid0(VALU_DEP_1) | instskip(SKIP_1) | instid1(VALU_DEP_2)
	v_and_b32_e32 v2, 0x7f800000, v8
	v_lshrrev_b32_e32 v9, 24, v8
	v_cmpx_ne_u64_e32 0x7f800000, v[2:3]
	s_xor_b32 s44, exec_lo, s13
	s_cbranch_execz .LBB4_5645
; %bb.5632:                             ;   in Loop: Header=BB4_4811 Depth=3
	v_and_b32_e32 v2, 0x7fffffff, v8
	v_and_b32_e32 v27, 0x80, v9
                                        ; implicit-def: $vgpr26
	s_mov_b32 s13, exec_lo
	s_delay_alu instid0(VALU_DEP_2)
	v_cmpx_gt_u64_e32 0x43e00001, v[2:3]
	s_xor_b32 s45, exec_lo, s13
	s_cbranch_execz .LBB4_5642
; %bb.5633:                             ;   in Loop: Header=BB4_4811 Depth=3
	v_mov_b32_e32 v26, 0
	s_mov_b32 s74, exec_lo
	v_cmpx_ne_u32_e32 0, v8
	s_cbranch_execz .LBB4_5641
; %bb.5634:                             ;   in Loop: Header=BB4_4811 Depth=3
	v_bfe_u32 v26, v8, 23, 8
	v_and_b32_e32 v2, 0x7fffff, v8
	s_delay_alu instid0(VALU_DEP_2) | instskip(SKIP_2) | instid1(VALU_DEP_4)
	v_cmp_gt_u32_e64 s13, 0x7a, v26
	v_sub_nc_u32_e32 v8, 0x79, v26
	v_cmp_eq_u32_e32 vcc_lo, 0, v26
	v_or_b32_e32 v9, 0x800000, v2
	s_delay_alu instid0(VALU_DEP_1) | instskip(NEXT) | instid1(VALU_DEP_1)
	v_dual_cndmask_b32 v8, 0, v8, s13 :: v_dual_cndmask_b32 v2, v9, v2, vcc_lo
	v_cndmask_b32_e64 v24, v8, 0x78, vcc_lo
	s_delay_alu instid0(VALU_DEP_1) | instskip(NEXT) | instid1(VALU_DEP_1)
	v_dual_add_nc_u32 v8, 20, v24 :: v_dual_add_nc_u32 v12, 19, v24
	v_lshlrev_b64_e64 v[8:9], v8, -1
	s_delay_alu instid0(VALU_DEP_2) | instskip(NEXT) | instid1(VALU_DEP_2)
	v_lshlrev_b64_e64 v[12:13], v12, 1
	v_bfi_b32 v9, v9, 0, 0
	s_delay_alu instid0(VALU_DEP_3) | instskip(NEXT) | instid1(VALU_DEP_1)
	v_bfi_b32 v8, v8, 0, v2
	v_cmp_eq_u64_e64 s13, v[8:9], v[12:13]
	v_lshrrev_b64 v[8:9], v24, v[2:3]
	s_delay_alu instid0(VALU_DEP_1)
	v_mov_b64_e32 v[12:13], v[8:9]
	s_and_saveexec_b32 s75, s13
; %bb.5635:                             ;   in Loop: Header=BB4_4811 Depth=3
	v_bfe_u32 v2, v8, 20, 1
	s_delay_alu instid0(VALU_DEP_1) | instskip(NEXT) | instid1(VALU_DEP_1)
	v_add_nc_u64_e32 v[12:13], v[8:9], v[2:3]
	v_add_nc_u64_e32 v[12:13], -1, v[12:13]
; %bb.5636:                             ;   in Loop: Header=BB4_4811 Depth=3
	s_or_b32 exec_lo, exec_lo, s75
	v_add_nc_u32_e32 v2, 0xffffff81, v26
	v_lshrrev_b32_e32 v9, 23, v8
	s_mov_b32 s13, exec_lo
	s_delay_alu instid0(VALU_DEP_2) | instskip(NEXT) | instid1(VALU_DEP_1)
	v_cndmask_b32_e64 v2, v2, 0xffffff82, vcc_lo
	v_add3_u32 v13, v24, v2, v9
	v_and_b32_e32 v2, 0xfffff, v12
                                        ; implicit-def: $vgpr12
	s_delay_alu instid0(VALU_DEP_1) | instskip(NEXT) | instid1(VALU_DEP_1)
	v_dual_add_nc_u32 v24, 6, v13 :: v_dual_add_nc_u32 v2, v2, v8
                                        ; implicit-def: $vgpr8_vgpr9
	v_cmpx_ne_u32_e32 0, v24
	s_xor_b32 s13, exec_lo, s13
; %bb.5637:                             ;   in Loop: Header=BB4_4811 Depth=3
	s_delay_alu instid0(VALU_DEP_2) | instskip(SKIP_1) | instid1(VALU_DEP_1)
	v_cmp_lt_u64_e32 vcc_lo, 0xffffff, v[2:3]
	v_add_nc_u32_e32 v8, 7, v13
	v_cndmask_b32_e32 v12, v24, v8, vcc_lo
	v_cndmask_b32_e64 v8, 0, 1, vcc_lo
	s_delay_alu instid0(VALU_DEP_1)
	v_lshrrev_b64 v[8:9], v8, v[2:3]
; %bb.5638:                             ;   in Loop: Header=BB4_4811 Depth=3
	s_and_not1_saveexec_b32 s13, s13
; %bb.5639:                             ;   in Loop: Header=BB4_4811 Depth=3
	v_mov_b64_e32 v[8:9], v[2:3]
	v_bfe_u32 v12, v2, 23, 1
; %bb.5640:                             ;   in Loop: Header=BB4_4811 Depth=3
	s_or_b32 exec_lo, exec_lo, s13
	s_delay_alu instid0(VALU_DEP_2) | instskip(NEXT) | instid1(VALU_DEP_2)
	v_lshrrev_b64 v[8:9], 20, v[8:9]
	v_cmp_gt_i32_e32 vcc_lo, 16, v12
	v_min_i32_e32 v2, 15, v12
	v_cmp_eq_u32_e64 s13, 0, v12
	s_delay_alu instid0(VALU_DEP_2) | instskip(SKIP_1) | instid1(VALU_DEP_2)
	v_dual_cndmask_b32 v9, 0, v9 :: v_dual_lshlrev_b32 v2, 3, v2
	v_cndmask_b32_e32 v8, 7, v8, vcc_lo
	v_and_b32_e32 v2, 0xf8, v2
	s_delay_alu instid0(VALU_DEP_2) | instskip(NEXT) | instid1(VALU_DEP_2)
	v_cmp_eq_u64_e32 vcc_lo, 0, v[8:9]
	v_and_or_b32 v2, v8, 7, v2
	s_and_b32 s13, s13, vcc_lo
	s_delay_alu instid0(VALU_DEP_1) | instid1(SALU_CYCLE_1)
	v_cndmask_b32_e64 v2, v2, 0, s13
	s_delay_alu instid0(VALU_DEP_1)
	v_or_b32_e32 v26, v2, v27
.LBB4_5641:                             ;   in Loop: Header=BB4_4811 Depth=3
	s_or_b32 exec_lo, exec_lo, s74
                                        ; implicit-def: $vgpr27
.LBB4_5642:                             ;   in Loop: Header=BB4_4811 Depth=3
	s_and_not1_saveexec_b32 s13, s45
; %bb.5643:                             ;   in Loop: Header=BB4_4811 Depth=3
	v_or_b32_e32 v26, 0x7e, v27
; %bb.5644:                             ;   in Loop: Header=BB4_4811 Depth=3
	s_or_b32 exec_lo, exec_lo, s13
                                        ; implicit-def: $vgpr9
.LBB4_5645:                             ;   in Loop: Header=BB4_4811 Depth=3
	s_and_not1_saveexec_b32 s13, s44
; %bb.5646:                             ;   in Loop: Header=BB4_4811 Depth=3
	v_or_b32_e32 v26, 0x7f, v9
; %bb.5647:                             ;   in Loop: Header=BB4_4811 Depth=3
	s_or_b32 exec_lo, exec_lo, s13
	v_dual_mov_b32 v12, 0 :: v_dual_mov_b32 v13, 0
	s_mov_b32 s13, exec_lo
	v_cmpx_lt_u32_e32 0xffffff, v14
	s_cbranch_execz .LBB4_5655
; %bb.5648:                             ;   in Loop: Header=BB4_4811 Depth=3
	v_lshrrev_b32_e32 v24, 24, v14
	v_bfrev_b32_e32 v13, 1
	s_mov_b32 s44, exec_lo
	s_delay_alu instid0(VALU_DEP_2)
	v_cmpx_ne_u32_e32 0x80, v24
	s_cbranch_execz .LBB4_5654
; %bb.5649:                             ;   in Loop: Header=BB4_4811 Depth=3
	v_bfe_u32 v8, v14, 24, 7
	v_mov_b32_e32 v13, 0x7f800001
	s_mov_b32 s45, exec_lo
	s_delay_alu instid0(VALU_DEP_2)
	v_cmpx_ne_u32_e32 0x7f, v8
	s_cbranch_execz .LBB4_5653
; %bb.5650:                             ;   in Loop: Header=BB4_4811 Depth=3
	v_and_b32_e32 v2, 7, v24
	v_lshrrev_b32_e32 v13, 3, v8
	v_cmp_gt_u32_e32 vcc_lo, 8, v8
	s_delay_alu instid0(VALU_DEP_3)
	v_mov_b64_e32 v[8:9], v[2:3]
	s_and_saveexec_b32 s74, vcc_lo
; %bb.5651:                             ;   in Loop: Header=BB4_4811 Depth=3
	v_clz_i32_u32_e32 v8, v2
	s_delay_alu instid0(VALU_DEP_1) | instskip(NEXT) | instid1(VALU_DEP_1)
	v_min_u32_e32 v13, 32, v8
	v_subrev_nc_u32_e32 v8, 28, v13
	s_delay_alu instid0(VALU_DEP_1) | instskip(NEXT) | instid1(VALU_DEP_1)
	v_lshlrev_b64_e32 v[8:9], v8, v[2:3]
	v_dual_sub_nc_u32 v13, 29, v13 :: v_dual_bitop2_b32 v8, 7, v8 bitop3:0x40
; %bb.5652:                             ;   in Loop: Header=BB4_4811 Depth=3
	s_or_b32 exec_lo, exec_lo, s74
	v_lshlrev_b32_e32 v2, 24, v24
	s_delay_alu instid0(VALU_DEP_2) | instskip(NEXT) | instid1(VALU_DEP_3)
	v_lshlrev_b32_e32 v8, 20, v8
	v_lshl_add_u32 v9, v13, 23, 0x3c000000
	s_delay_alu instid0(VALU_DEP_3) | instskip(NEXT) | instid1(VALU_DEP_1)
	v_and_b32_e32 v2, 0x80000000, v2
	v_or3_b32 v13, v8, v2, v9
.LBB4_5653:                             ;   in Loop: Header=BB4_4811 Depth=3
	s_or_b32 exec_lo, exec_lo, s45
.LBB4_5654:                             ;   in Loop: Header=BB4_4811 Depth=3
	s_delay_alu instid0(SALU_CYCLE_1)
	s_or_b32 exec_lo, exec_lo, s44
.LBB4_5655:                             ;   in Loop: Header=BB4_4811 Depth=3
	s_delay_alu instid0(SALU_CYCLE_1) | instskip(NEXT) | instid1(SALU_CYCLE_1)
	s_or_b32 exec_lo, exec_lo, s13
	s_mov_b32 s13, exec_lo
	v_cmpx_lt_u32_e32 0xffffff, v10
	s_cbranch_execz .LBB4_5663
; %bb.5656:                             ;   in Loop: Header=BB4_4811 Depth=3
	v_lshrrev_b32_e32 v24, 24, v10
	v_bfrev_b32_e32 v12, 1
	s_mov_b32 s44, exec_lo
	s_delay_alu instid0(VALU_DEP_2)
	v_cmpx_ne_u32_e32 0x80, v24
	s_cbranch_execz .LBB4_5662
; %bb.5657:                             ;   in Loop: Header=BB4_4811 Depth=3
	v_bfe_u32 v8, v10, 24, 7
	v_mov_b32_e32 v12, 0x7f800001
	s_mov_b32 s45, exec_lo
	s_delay_alu instid0(VALU_DEP_2)
	v_cmpx_ne_u32_e32 0x7f, v8
	s_cbranch_execz .LBB4_5661
; %bb.5658:                             ;   in Loop: Header=BB4_4811 Depth=3
	v_and_b32_e32 v2, 7, v24
	v_lshrrev_b32_e32 v12, 3, v8
	v_cmp_gt_u32_e32 vcc_lo, 8, v8
	s_delay_alu instid0(VALU_DEP_3)
	v_mov_b64_e32 v[8:9], v[2:3]
	s_and_saveexec_b32 s74, vcc_lo
; %bb.5659:                             ;   in Loop: Header=BB4_4811 Depth=3
	v_clz_i32_u32_e32 v8, v2
	s_delay_alu instid0(VALU_DEP_1) | instskip(NEXT) | instid1(VALU_DEP_1)
	v_min_u32_e32 v12, 32, v8
	v_subrev_nc_u32_e32 v8, 28, v12
	v_sub_nc_u32_e32 v12, 29, v12
	s_delay_alu instid0(VALU_DEP_2) | instskip(NEXT) | instid1(VALU_DEP_1)
	v_lshlrev_b64_e32 v[8:9], v8, v[2:3]
	v_and_b32_e32 v8, 7, v8
; %bb.5660:                             ;   in Loop: Header=BB4_4811 Depth=3
	s_or_b32 exec_lo, exec_lo, s74
	v_lshlrev_b32_e32 v2, 24, v24
	s_delay_alu instid0(VALU_DEP_2) | instskip(SKIP_1) | instid1(VALU_DEP_3)
	v_lshlrev_b32_e32 v8, 20, v8
	v_lshl_add_u32 v9, v12, 23, 0x3c000000
	v_and_b32_e32 v2, 0x80000000, v2
	s_delay_alu instid0(VALU_DEP_1)
	v_or3_b32 v12, v8, v2, v9
.LBB4_5661:                             ;   in Loop: Header=BB4_4811 Depth=3
	s_or_b32 exec_lo, exec_lo, s45
.LBB4_5662:                             ;   in Loop: Header=BB4_4811 Depth=3
	s_delay_alu instid0(SALU_CYCLE_1)
	s_or_b32 exec_lo, exec_lo, s44
.LBB4_5663:                             ;   in Loop: Header=BB4_4811 Depth=3
	s_delay_alu instid0(SALU_CYCLE_1) | instskip(NEXT) | instid1(VALU_DEP_1)
	s_or_b32 exec_lo, exec_lo, s13
	v_add_f32_e32 v8, v13, v12
                                        ; implicit-def: $vgpr27
	s_mov_b32 s13, exec_lo
	s_delay_alu instid0(VALU_DEP_1) | instskip(SKIP_1) | instid1(VALU_DEP_2)
	v_and_b32_e32 v2, 0x7f800000, v8
	v_lshrrev_b32_e32 v9, 24, v8
	v_cmpx_ne_u64_e32 0x7f800000, v[2:3]
	s_xor_b32 s44, exec_lo, s13
	s_cbranch_execz .LBB4_5677
; %bb.5664:                             ;   in Loop: Header=BB4_4811 Depth=3
	v_and_b32_e32 v2, 0x7fffffff, v8
	v_and_b32_e32 v28, 0x80, v9
                                        ; implicit-def: $vgpr27
	s_mov_b32 s13, exec_lo
	s_delay_alu instid0(VALU_DEP_2)
	v_cmpx_gt_u64_e32 0x43e00001, v[2:3]
	s_xor_b32 s45, exec_lo, s13
	s_cbranch_execz .LBB4_5674
; %bb.5665:                             ;   in Loop: Header=BB4_4811 Depth=3
	v_mov_b32_e32 v27, 0
	s_mov_b32 s74, exec_lo
	v_cmpx_ne_u32_e32 0, v8
	s_cbranch_execz .LBB4_5673
; %bb.5666:                             ;   in Loop: Header=BB4_4811 Depth=3
	v_bfe_u32 v27, v8, 23, 8
	v_and_b32_e32 v2, 0x7fffff, v8
	s_delay_alu instid0(VALU_DEP_2) | instskip(SKIP_2) | instid1(VALU_DEP_4)
	v_cmp_gt_u32_e64 s13, 0x7a, v27
	v_sub_nc_u32_e32 v8, 0x79, v27
	v_cmp_eq_u32_e32 vcc_lo, 0, v27
	v_or_b32_e32 v9, 0x800000, v2
	s_delay_alu instid0(VALU_DEP_1) | instskip(NEXT) | instid1(VALU_DEP_1)
	v_dual_cndmask_b32 v8, 0, v8, s13 :: v_dual_cndmask_b32 v2, v9, v2, vcc_lo
	v_cndmask_b32_e64 v24, v8, 0x78, vcc_lo
	s_delay_alu instid0(VALU_DEP_1) | instskip(NEXT) | instid1(VALU_DEP_1)
	v_dual_add_nc_u32 v8, 20, v24 :: v_dual_add_nc_u32 v12, 19, v24
	v_lshlrev_b64_e64 v[8:9], v8, -1
	s_delay_alu instid0(VALU_DEP_2) | instskip(NEXT) | instid1(VALU_DEP_2)
	v_lshlrev_b64_e64 v[12:13], v12, 1
	v_bfi_b32 v9, v9, 0, 0
	s_delay_alu instid0(VALU_DEP_3) | instskip(NEXT) | instid1(VALU_DEP_1)
	v_bfi_b32 v8, v8, 0, v2
	v_cmp_eq_u64_e64 s13, v[8:9], v[12:13]
	v_lshrrev_b64 v[8:9], v24, v[2:3]
	s_delay_alu instid0(VALU_DEP_1)
	v_mov_b64_e32 v[12:13], v[8:9]
	s_and_saveexec_b32 s75, s13
; %bb.5667:                             ;   in Loop: Header=BB4_4811 Depth=3
	v_bfe_u32 v2, v8, 20, 1
	s_delay_alu instid0(VALU_DEP_1) | instskip(NEXT) | instid1(VALU_DEP_1)
	v_add_nc_u64_e32 v[12:13], v[8:9], v[2:3]
	v_add_nc_u64_e32 v[12:13], -1, v[12:13]
; %bb.5668:                             ;   in Loop: Header=BB4_4811 Depth=3
	s_or_b32 exec_lo, exec_lo, s75
	v_add_nc_u32_e32 v2, 0xffffff81, v27
	v_lshrrev_b32_e32 v9, 23, v8
	s_mov_b32 s13, exec_lo
	s_delay_alu instid0(VALU_DEP_2) | instskip(NEXT) | instid1(VALU_DEP_1)
	v_cndmask_b32_e64 v2, v2, 0xffffff82, vcc_lo
	v_add3_u32 v13, v24, v2, v9
	v_and_b32_e32 v2, 0xfffff, v12
                                        ; implicit-def: $vgpr12
	s_delay_alu instid0(VALU_DEP_1) | instskip(NEXT) | instid1(VALU_DEP_1)
	v_dual_add_nc_u32 v24, 6, v13 :: v_dual_add_nc_u32 v2, v2, v8
                                        ; implicit-def: $vgpr8_vgpr9
	v_cmpx_ne_u32_e32 0, v24
	s_xor_b32 s13, exec_lo, s13
; %bb.5669:                             ;   in Loop: Header=BB4_4811 Depth=3
	s_delay_alu instid0(VALU_DEP_2) | instskip(SKIP_1) | instid1(VALU_DEP_1)
	v_cmp_lt_u64_e32 vcc_lo, 0xffffff, v[2:3]
	v_add_nc_u32_e32 v8, 7, v13
	v_cndmask_b32_e32 v12, v24, v8, vcc_lo
	v_cndmask_b32_e64 v8, 0, 1, vcc_lo
	s_delay_alu instid0(VALU_DEP_1)
	v_lshrrev_b64 v[8:9], v8, v[2:3]
; %bb.5670:                             ;   in Loop: Header=BB4_4811 Depth=3
	s_and_not1_saveexec_b32 s13, s13
; %bb.5671:                             ;   in Loop: Header=BB4_4811 Depth=3
	v_mov_b64_e32 v[8:9], v[2:3]
	v_bfe_u32 v12, v2, 23, 1
; %bb.5672:                             ;   in Loop: Header=BB4_4811 Depth=3
	s_or_b32 exec_lo, exec_lo, s13
	s_delay_alu instid0(VALU_DEP_2) | instskip(NEXT) | instid1(VALU_DEP_2)
	v_lshrrev_b64 v[8:9], 20, v[8:9]
	v_cmp_gt_i32_e32 vcc_lo, 16, v12
	v_min_i32_e32 v2, 15, v12
	v_cmp_eq_u32_e64 s13, 0, v12
	s_delay_alu instid0(VALU_DEP_2) | instskip(SKIP_1) | instid1(VALU_DEP_2)
	v_dual_cndmask_b32 v9, 0, v9 :: v_dual_lshlrev_b32 v2, 3, v2
	v_cndmask_b32_e32 v8, 7, v8, vcc_lo
	v_and_b32_e32 v2, 0xf8, v2
	s_delay_alu instid0(VALU_DEP_2) | instskip(NEXT) | instid1(VALU_DEP_2)
	v_cmp_eq_u64_e32 vcc_lo, 0, v[8:9]
	v_and_or_b32 v2, v8, 7, v2
	s_and_b32 s13, s13, vcc_lo
	s_delay_alu instid0(VALU_DEP_1) | instid1(SALU_CYCLE_1)
	v_cndmask_b32_e64 v2, v2, 0, s13
	s_delay_alu instid0(VALU_DEP_1)
	v_or_b32_e32 v27, v2, v28
.LBB4_5673:                             ;   in Loop: Header=BB4_4811 Depth=3
	s_or_b32 exec_lo, exec_lo, s74
                                        ; implicit-def: $vgpr28
.LBB4_5674:                             ;   in Loop: Header=BB4_4811 Depth=3
	s_and_not1_saveexec_b32 s13, s45
; %bb.5675:                             ;   in Loop: Header=BB4_4811 Depth=3
	v_or_b32_e32 v27, 0x7e, v28
; %bb.5676:                             ;   in Loop: Header=BB4_4811 Depth=3
	s_or_b32 exec_lo, exec_lo, s13
                                        ; implicit-def: $vgpr9
.LBB4_5677:                             ;   in Loop: Header=BB4_4811 Depth=3
	s_and_not1_saveexec_b32 s13, s44
; %bb.5678:                             ;   in Loop: Header=BB4_4811 Depth=3
	v_or_b32_e32 v27, 0x7f, v9
; %bb.5679:                             ;   in Loop: Header=BB4_4811 Depth=3
	s_or_b32 exec_lo, exec_lo, s13
	v_and_b32_e32 v12, 0xff, v15
	v_dual_mov_b32 v2, v15 :: v_dual_mov_b32 v9, 0
	v_mov_b32_e32 v8, 0
	s_mov_b32 s13, exec_lo
	s_delay_alu instid0(VALU_DEP_3)
	v_cmpx_ne_u16_e32 0, v12
	s_cbranch_execz .LBB4_5685
; %bb.5680:                             ;   in Loop: Header=BB4_4811 Depth=3
	v_bfrev_b32_e32 v8, 1
	s_mov_b32 s44, exec_lo
	v_cmpx_ne_u16_e32 0x80, v12
	s_cbranch_execz .LBB4_5684
; %bb.5681:                             ;   in Loop: Header=BB4_4811 Depth=3
	v_and_b32_e32 v12, 0x7f, v15
	v_mov_b32_e32 v8, 0x7f800001
	s_mov_b32 s45, exec_lo
	s_delay_alu instid0(VALU_DEP_2)
	v_cmpx_ne_u32_e32 0x7f, v12
	s_cbranch_execz .LBB4_5683
; %bb.5682:                             ;   in Loop: Header=BB4_4811 Depth=3
	v_dual_lshrrev_b32 v13, 3, v12 :: v_dual_bitop2_b32 v8, 7, v15 bitop3:0x40
	v_cmp_gt_u32_e32 vcc_lo, 8, v12
	s_delay_alu instid0(VALU_DEP_2) | instskip(NEXT) | instid1(VALU_DEP_1)
	v_clz_i32_u32_e32 v8, v8
	v_min_u32_e32 v8, 32, v8
	s_delay_alu instid0(VALU_DEP_1) | instskip(SKIP_1) | instid1(VALU_DEP_2)
	v_subrev_nc_u32_e32 v24, 28, v8
	v_sub_nc_u32_e32 v8, 29, v8
	v_cndmask_b32_e32 v12, 0, v24, vcc_lo
	s_delay_alu instid0(VALU_DEP_2) | instskip(NEXT) | instid1(VALU_DEP_2)
	v_cndmask_b32_e32 v8, v13, v8, vcc_lo
	v_lshlrev_b64_e32 v[12:13], v12, v[2:3]
	v_lshlrev_b32_e32 v13, 24, v2
	s_delay_alu instid0(VALU_DEP_3) | instskip(NEXT) | instid1(VALU_DEP_2)
	v_lshl_add_u32 v8, v8, 23, 0x3c000000
	v_and_b32_e32 v13, 0x80000000, v13
	s_delay_alu instid0(VALU_DEP_4) | instskip(NEXT) | instid1(VALU_DEP_1)
	v_lshlrev_b32_e32 v12, 20, v12
	v_and_b32_e32 v12, 0x700000, v12
	s_delay_alu instid0(VALU_DEP_1)
	v_or3_b32 v8, v12, v13, v8
.LBB4_5683:                             ;   in Loop: Header=BB4_4811 Depth=3
	s_or_b32 exec_lo, exec_lo, s45
.LBB4_5684:                             ;   in Loop: Header=BB4_4811 Depth=3
	s_delay_alu instid0(SALU_CYCLE_1)
	s_or_b32 exec_lo, exec_lo, s44
.LBB4_5685:                             ;   in Loop: Header=BB4_4811 Depth=3
	s_delay_alu instid0(SALU_CYCLE_1) | instskip(SKIP_2) | instid1(VALU_DEP_1)
	s_or_b32 exec_lo, exec_lo, s13
	v_and_b32_e32 v12, 0xff, v11
	s_mov_b32 s13, exec_lo
	v_cmpx_ne_u16_e32 0, v12
	s_cbranch_execz .LBB4_5691
; %bb.5686:                             ;   in Loop: Header=BB4_4811 Depth=3
	v_bfrev_b32_e32 v9, 1
	s_mov_b32 s44, exec_lo
	v_cmpx_ne_u16_e32 0x80, v12
	s_cbranch_execz .LBB4_5690
; %bb.5687:                             ;   in Loop: Header=BB4_4811 Depth=3
	v_and_b32_e32 v12, 0x7f, v11
	v_mov_b32_e32 v9, 0x7f800001
	s_mov_b32 s45, exec_lo
	s_delay_alu instid0(VALU_DEP_2)
	v_cmpx_ne_u32_e32 0x7f, v12
	s_cbranch_execz .LBB4_5689
; %bb.5688:                             ;   in Loop: Header=BB4_4811 Depth=3
	v_dual_lshrrev_b32 v24, 3, v12 :: v_dual_bitop2_b32 v9, 7, v11 bitop3:0x40
	v_cmp_gt_u32_e32 vcc_lo, 8, v12
	v_mov_b32_e32 v12, v11
	s_delay_alu instid0(VALU_DEP_3) | instskip(NEXT) | instid1(VALU_DEP_1)
	v_clz_i32_u32_e32 v9, v9
	v_min_u32_e32 v9, 32, v9
	s_delay_alu instid0(VALU_DEP_1) | instskip(SKIP_1) | instid1(VALU_DEP_2)
	v_sub_nc_u32_e32 v25, 29, v9
	v_subrev_nc_u32_e32 v9, 28, v9
	v_dual_mov_b32 v13, v3 :: v_dual_cndmask_b32 v28, v24, v25
	s_delay_alu instid0(VALU_DEP_2) | instskip(NEXT) | instid1(VALU_DEP_1)
	v_cndmask_b32_e32 v9, 0, v9, vcc_lo
	v_lshlrev_b64_e32 v[24:25], v9, v[12:13]
	v_lshlrev_b32_e32 v9, 24, v12
	s_delay_alu instid0(VALU_DEP_4) | instskip(NEXT) | instid1(VALU_DEP_2)
	v_lshl_add_u32 v13, v28, 23, 0x3c000000
	v_and_b32_e32 v9, 0x80000000, v9
	s_delay_alu instid0(VALU_DEP_4) | instskip(NEXT) | instid1(VALU_DEP_1)
	v_lshlrev_b32_e32 v12, 20, v24
	v_and_b32_e32 v12, 0x700000, v12
	s_delay_alu instid0(VALU_DEP_1)
	v_or3_b32 v9, v12, v9, v13
.LBB4_5689:                             ;   in Loop: Header=BB4_4811 Depth=3
	s_or_b32 exec_lo, exec_lo, s45
.LBB4_5690:                             ;   in Loop: Header=BB4_4811 Depth=3
	s_delay_alu instid0(SALU_CYCLE_1)
	s_or_b32 exec_lo, exec_lo, s44
.LBB4_5691:                             ;   in Loop: Header=BB4_4811 Depth=3
	s_delay_alu instid0(SALU_CYCLE_1) | instskip(NEXT) | instid1(VALU_DEP_1)
	s_or_b32 exec_lo, exec_lo, s13
	v_dual_add_f32 v8, v8, v9 :: v_dual_mov_b32 v13, v3
                                        ; implicit-def: $vgpr88
	s_mov_b32 s13, exec_lo
	s_delay_alu instid0(VALU_DEP_1) | instskip(SKIP_1) | instid1(VALU_DEP_2)
	v_and_b32_e32 v12, 0x7f800000, v8
	v_lshrrev_b32_e32 v9, 24, v8
	v_cmpx_ne_u64_e32 0x7f800000, v[12:13]
	s_xor_b32 s44, exec_lo, s13
	s_cbranch_execz .LBB4_5705
; %bb.5692:                             ;   in Loop: Header=BB4_4811 Depth=3
	v_and_b32_e32 v12, 0x7fffffff, v8
	v_mov_b32_e32 v13, v3
	v_and_b32_e32 v28, 0x80, v9
                                        ; implicit-def: $vgpr88
	s_mov_b32 s13, exec_lo
	s_delay_alu instid0(VALU_DEP_2)
	v_cmpx_gt_u64_e32 0x43e00001, v[12:13]
	s_xor_b32 s45, exec_lo, s13
	s_cbranch_execz .LBB4_5702
; %bb.5693:                             ;   in Loop: Header=BB4_4811 Depth=3
	v_mov_b32_e32 v88, 0
	s_mov_b32 s74, exec_lo
	v_cmpx_ne_u32_e32 0, v8
	s_cbranch_execz .LBB4_5701
; %bb.5694:                             ;   in Loop: Header=BB4_4811 Depth=3
	v_bfe_u32 v29, v8, 23, 8
	v_and_b32_e32 v9, 0x7fffff, v8
	s_delay_alu instid0(VALU_DEP_2) | instskip(SKIP_2) | instid1(VALU_DEP_4)
	v_cmp_gt_u32_e64 s13, 0x7a, v29
	v_sub_nc_u32_e32 v8, 0x79, v29
	v_cmp_eq_u32_e32 vcc_lo, 0, v29
	v_or_b32_e32 v12, 0x800000, v9
	s_delay_alu instid0(VALU_DEP_3) | instskip(NEXT) | instid1(VALU_DEP_1)
	v_cndmask_b32_e64 v8, 0, v8, s13
	v_cndmask_b32_e64 v24, v8, 0x78, vcc_lo
	s_delay_alu instid0(VALU_DEP_3) | instskip(NEXT) | instid1(VALU_DEP_2)
	v_dual_cndmask_b32 v8, v12, v9 :: v_dual_mov_b32 v9, v3
	v_dual_add_nc_u32 v12, 20, v24 :: v_dual_add_nc_u32 v25, 19, v24
	s_delay_alu instid0(VALU_DEP_1) | instskip(NEXT) | instid1(VALU_DEP_2)
	v_lshlrev_b64_e64 v[12:13], v12, -1
	v_lshlrev_b64_e64 v[124:125], v25, 1
	s_delay_alu instid0(VALU_DEP_2) | instskip(SKIP_1) | instid1(VALU_DEP_4)
	v_bfi_b32 v12, v12, 0, v8
	v_lshrrev_b64 v[8:9], v24, v[8:9]
	v_bfi_b32 v13, v13, 0, 0
	s_delay_alu instid0(VALU_DEP_1) | instskip(NEXT) | instid1(VALU_DEP_3)
	v_cmp_eq_u64_e64 s13, v[12:13], v[124:125]
	v_mov_b64_e32 v[12:13], v[8:9]
	s_and_saveexec_b32 s75, s13
; %bb.5695:                             ;   in Loop: Header=BB4_4811 Depth=3
	v_bfe_u32 v12, v8, 20, 1
	v_mov_b32_e32 v13, v3
	s_delay_alu instid0(VALU_DEP_1) | instskip(NEXT) | instid1(VALU_DEP_1)
	v_add_nc_u64_e32 v[12:13], v[8:9], v[12:13]
	v_add_nc_u64_e32 v[12:13], -1, v[12:13]
; %bb.5696:                             ;   in Loop: Header=BB4_4811 Depth=3
	s_or_b32 exec_lo, exec_lo, s75
	v_add_nc_u32_e32 v9, 0xffffff81, v29
	v_lshrrev_b32_e32 v13, 23, v8
	s_mov_b32 s13, exec_lo
	s_delay_alu instid0(VALU_DEP_2) | instskip(NEXT) | instid1(VALU_DEP_1)
	v_cndmask_b32_e64 v9, v9, 0xffffff82, vcc_lo
	v_add3_u32 v13, v24, v9, v13
	v_and_b32_e32 v9, 0xfffff, v12
                                        ; implicit-def: $vgpr12
	s_delay_alu instid0(VALU_DEP_1) | instskip(SKIP_1) | instid1(VALU_DEP_2)
	v_dual_add_nc_u32 v24, 6, v13 :: v_dual_add_nc_u32 v8, v9, v8
	v_mov_b32_e32 v9, v3
	v_cmpx_ne_u32_e32 0, v24
	s_xor_b32 s13, exec_lo, s13
; %bb.5697:                             ;   in Loop: Header=BB4_4811 Depth=3
	s_delay_alu instid0(VALU_DEP_2) | instskip(SKIP_2) | instid1(VALU_DEP_2)
	v_cmp_lt_u64_e32 vcc_lo, 0xffffff, v[8:9]
	v_add_nc_u32_e32 v12, 7, v13
	v_cndmask_b32_e64 v13, 0, 1, vcc_lo
	v_cndmask_b32_e32 v12, v24, v12, vcc_lo
	s_delay_alu instid0(VALU_DEP_2)
	v_lshrrev_b64 v[8:9], v13, v[8:9]
; %bb.5698:                             ;   in Loop: Header=BB4_4811 Depth=3
	s_and_not1_saveexec_b32 s13, s13
; %bb.5699:                             ;   in Loop: Header=BB4_4811 Depth=3
	s_delay_alu instid0(VALU_DEP_1)
	v_bfe_u32 v12, v8, 23, 1
; %bb.5700:                             ;   in Loop: Header=BB4_4811 Depth=3
	s_or_b32 exec_lo, exec_lo, s13
	s_delay_alu instid0(VALU_DEP_2) | instskip(NEXT) | instid1(VALU_DEP_2)
	v_lshrrev_b64 v[8:9], 20, v[8:9]
	v_cmp_gt_i32_e32 vcc_lo, 16, v12
	v_min_i32_e32 v13, 15, v12
	v_cmp_eq_u32_e64 s13, 0, v12
	s_delay_alu instid0(VALU_DEP_4) | instskip(NEXT) | instid1(VALU_DEP_3)
	v_cndmask_b32_e32 v9, 0, v9, vcc_lo
	v_dual_cndmask_b32 v8, 7, v8 :: v_dual_lshlrev_b32 v13, 3, v13
	s_delay_alu instid0(VALU_DEP_1) | instskip(NEXT) | instid1(VALU_DEP_2)
	v_and_b32_e32 v13, 0xf8, v13
	v_cmp_eq_u64_e32 vcc_lo, 0, v[8:9]
	s_delay_alu instid0(VALU_DEP_2)
	v_and_or_b32 v8, v8, 7, v13
	s_and_b32 s13, s13, vcc_lo
	s_delay_alu instid0(VALU_DEP_1) | instid1(SALU_CYCLE_1)
	v_cndmask_b32_e64 v8, v8, 0, s13
	s_delay_alu instid0(VALU_DEP_1)
	v_or_b32_e32 v88, v8, v28
.LBB4_5701:                             ;   in Loop: Header=BB4_4811 Depth=3
	s_or_b32 exec_lo, exec_lo, s74
                                        ; implicit-def: $vgpr28
.LBB4_5702:                             ;   in Loop: Header=BB4_4811 Depth=3
	s_and_not1_saveexec_b32 s13, s45
; %bb.5703:                             ;   in Loop: Header=BB4_4811 Depth=3
	v_or_b32_e32 v88, 0x7e, v28
; %bb.5704:                             ;   in Loop: Header=BB4_4811 Depth=3
	s_or_b32 exec_lo, exec_lo, s13
                                        ; implicit-def: $vgpr9
.LBB4_5705:                             ;   in Loop: Header=BB4_4811 Depth=3
	s_and_not1_saveexec_b32 s13, s44
; %bb.5706:                             ;   in Loop: Header=BB4_4811 Depth=3
	v_or_b32_e32 v88, 0x7f, v9
; %bb.5707:                             ;   in Loop: Header=BB4_4811 Depth=3
	s_or_b32 exec_lo, exec_lo, s13
	v_lshrrev_b16 v8, 8, v2
	v_dual_mov_b32 v12, 0 :: v_dual_mov_b32 v13, 0
	s_mov_b32 s13, exec_lo
	s_delay_alu instid0(VALU_DEP_2)
	v_cmpx_ne_u16_e32 0, v8
	s_cbranch_execz .LBB4_5715
; %bb.5708:                             ;   in Loop: Header=BB4_4811 Depth=3
	v_bfrev_b32_e32 v13, 1
	s_mov_b32 s44, exec_lo
	v_cmpx_ne_u16_e32 0x80, v8
	s_cbranch_execz .LBB4_5714
; %bb.5709:                             ;   in Loop: Header=BB4_4811 Depth=3
	v_and_b32_e32 v8, 0xffff, v8
	v_mov_b32_e32 v13, 0x7f800001
	s_mov_b32 s45, exec_lo
	s_delay_alu instid0(VALU_DEP_2) | instskip(NEXT) | instid1(VALU_DEP_1)
	v_and_b32_e32 v24, 0x7f, v8
	v_cmpx_ne_u32_e32 0x7f, v24
	s_cbranch_execz .LBB4_5713
; %bb.5710:                             ;   in Loop: Header=BB4_4811 Depth=3
	v_dual_mov_b32 v9, v3 :: v_dual_bitop2_b32 v8, 7, v8 bitop3:0x40
	v_lshrrev_b32_e32 v13, 3, v24
	s_mov_b32 s74, exec_lo
	v_cmpx_gt_u32_e32 8, v24
; %bb.5711:                             ;   in Loop: Header=BB4_4811 Depth=3
	s_delay_alu instid0(VALU_DEP_3) | instskip(NEXT) | instid1(VALU_DEP_1)
	v_clz_i32_u32_e32 v13, v8
	v_min_u32_e32 v13, 32, v13
	s_delay_alu instid0(VALU_DEP_1) | instskip(NEXT) | instid1(VALU_DEP_1)
	v_subrev_nc_u32_e32 v24, 28, v13
	v_lshlrev_b64_e32 v[8:9], v24, v[8:9]
	s_delay_alu instid0(VALU_DEP_1)
	v_dual_sub_nc_u32 v13, 29, v13 :: v_dual_bitop2_b32 v8, 7, v8 bitop3:0x40
; %bb.5712:                             ;   in Loop: Header=BB4_4811 Depth=3
	s_or_b32 exec_lo, exec_lo, s74
	s_delay_alu instid0(VALU_DEP_1) | instskip(NEXT) | instid1(VALU_DEP_2)
	v_dual_lshlrev_b32 v2, 16, v2 :: v_dual_lshlrev_b32 v8, 20, v8
	v_lshl_add_u32 v9, v13, 23, 0x3c000000
	s_delay_alu instid0(VALU_DEP_2) | instskip(NEXT) | instid1(VALU_DEP_1)
	v_and_b32_e32 v2, 0x80000000, v2
	v_or3_b32 v13, v8, v2, v9
.LBB4_5713:                             ;   in Loop: Header=BB4_4811 Depth=3
	s_or_b32 exec_lo, exec_lo, s45
.LBB4_5714:                             ;   in Loop: Header=BB4_4811 Depth=3
	s_delay_alu instid0(SALU_CYCLE_1)
	s_or_b32 exec_lo, exec_lo, s44
.LBB4_5715:                             ;   in Loop: Header=BB4_4811 Depth=3
	s_delay_alu instid0(SALU_CYCLE_1) | instskip(SKIP_2) | instid1(VALU_DEP_1)
	s_or_b32 exec_lo, exec_lo, s13
	v_lshrrev_b16 v2, 8, v11
	s_mov_b32 s13, exec_lo
	v_cmpx_ne_u16_e32 0, v2
	s_cbranch_execz .LBB4_5723
; %bb.5716:                             ;   in Loop: Header=BB4_4811 Depth=3
	v_bfrev_b32_e32 v12, 1
	s_mov_b32 s44, exec_lo
	v_cmpx_ne_u16_e32 0x80, v2
	s_cbranch_execz .LBB4_5722
; %bb.5717:                             ;   in Loop: Header=BB4_4811 Depth=3
	v_and_b32_e32 v2, 0xffff, v2
	v_mov_b32_e32 v12, 0x7f800001
	s_mov_b32 s45, exec_lo
	s_delay_alu instid0(VALU_DEP_2) | instskip(NEXT) | instid1(VALU_DEP_1)
	v_and_b32_e32 v8, 0x7f, v2
	v_cmpx_ne_u32_e32 0x7f, v8
	s_cbranch_execz .LBB4_5721
; %bb.5718:                             ;   in Loop: Header=BB4_4811 Depth=3
	v_dual_lshrrev_b32 v12, 3, v8 :: v_dual_bitop2_b32 v2, 7, v2 bitop3:0x40
	v_cmp_gt_u32_e32 vcc_lo, 8, v8
	s_delay_alu instid0(VALU_DEP_2)
	v_mov_b64_e32 v[8:9], v[2:3]
	s_and_saveexec_b32 s74, vcc_lo
; %bb.5719:                             ;   in Loop: Header=BB4_4811 Depth=3
	v_clz_i32_u32_e32 v8, v2
	s_delay_alu instid0(VALU_DEP_1) | instskip(NEXT) | instid1(VALU_DEP_1)
	v_min_u32_e32 v12, 32, v8
	v_subrev_nc_u32_e32 v8, 28, v12
	v_sub_nc_u32_e32 v12, 29, v12
	s_delay_alu instid0(VALU_DEP_2) | instskip(NEXT) | instid1(VALU_DEP_1)
	v_lshlrev_b64_e32 v[8:9], v8, v[2:3]
	v_and_b32_e32 v8, 7, v8
; %bb.5720:                             ;   in Loop: Header=BB4_4811 Depth=3
	s_or_b32 exec_lo, exec_lo, s74
	s_delay_alu instid0(VALU_DEP_1) | instskip(SKIP_1) | instid1(VALU_DEP_2)
	v_dual_lshlrev_b32 v2, 16, v11 :: v_dual_lshlrev_b32 v8, 20, v8
	v_lshl_add_u32 v9, v12, 23, 0x3c000000
	v_and_b32_e32 v2, 0x80000000, v2
	s_delay_alu instid0(VALU_DEP_1)
	v_or3_b32 v12, v8, v2, v9
.LBB4_5721:                             ;   in Loop: Header=BB4_4811 Depth=3
	s_or_b32 exec_lo, exec_lo, s45
.LBB4_5722:                             ;   in Loop: Header=BB4_4811 Depth=3
	s_delay_alu instid0(SALU_CYCLE_1)
	s_or_b32 exec_lo, exec_lo, s44
.LBB4_5723:                             ;   in Loop: Header=BB4_4811 Depth=3
	s_delay_alu instid0(SALU_CYCLE_1) | instskip(NEXT) | instid1(VALU_DEP_1)
	s_or_b32 exec_lo, exec_lo, s13
	v_add_f32_e32 v8, v13, v12
                                        ; implicit-def: $vgpr28
	s_mov_b32 s13, exec_lo
	s_delay_alu instid0(VALU_DEP_1) | instskip(SKIP_1) | instid1(VALU_DEP_2)
	v_and_b32_e32 v2, 0x7f800000, v8
	v_lshrrev_b32_e32 v9, 24, v8
	v_cmpx_ne_u64_e32 0x7f800000, v[2:3]
	s_xor_b32 s44, exec_lo, s13
	s_cbranch_execz .LBB4_5737
; %bb.5724:                             ;   in Loop: Header=BB4_4811 Depth=3
	v_and_b32_e32 v2, 0x7fffffff, v8
	v_and_b32_e32 v29, 0x80, v9
                                        ; implicit-def: $vgpr28
	s_mov_b32 s13, exec_lo
	s_delay_alu instid0(VALU_DEP_2)
	v_cmpx_gt_u64_e32 0x43e00001, v[2:3]
	s_xor_b32 s45, exec_lo, s13
	s_cbranch_execz .LBB4_5734
; %bb.5725:                             ;   in Loop: Header=BB4_4811 Depth=3
	v_mov_b32_e32 v28, 0
	s_mov_b32 s74, exec_lo
	v_cmpx_ne_u32_e32 0, v8
	s_cbranch_execz .LBB4_5733
; %bb.5726:                             ;   in Loop: Header=BB4_4811 Depth=3
	v_bfe_u32 v28, v8, 23, 8
	v_and_b32_e32 v2, 0x7fffff, v8
	s_delay_alu instid0(VALU_DEP_2) | instskip(SKIP_2) | instid1(VALU_DEP_4)
	v_cmp_gt_u32_e64 s13, 0x7a, v28
	v_sub_nc_u32_e32 v8, 0x79, v28
	v_cmp_eq_u32_e32 vcc_lo, 0, v28
	v_or_b32_e32 v9, 0x800000, v2
	s_delay_alu instid0(VALU_DEP_1) | instskip(NEXT) | instid1(VALU_DEP_1)
	v_dual_cndmask_b32 v8, 0, v8, s13 :: v_dual_cndmask_b32 v2, v9, v2, vcc_lo
	v_cndmask_b32_e64 v24, v8, 0x78, vcc_lo
	s_delay_alu instid0(VALU_DEP_1) | instskip(NEXT) | instid1(VALU_DEP_1)
	v_dual_add_nc_u32 v8, 20, v24 :: v_dual_add_nc_u32 v12, 19, v24
	v_lshlrev_b64_e64 v[8:9], v8, -1
	s_delay_alu instid0(VALU_DEP_2) | instskip(NEXT) | instid1(VALU_DEP_2)
	v_lshlrev_b64_e64 v[12:13], v12, 1
	v_bfi_b32 v9, v9, 0, 0
	s_delay_alu instid0(VALU_DEP_3) | instskip(NEXT) | instid1(VALU_DEP_1)
	v_bfi_b32 v8, v8, 0, v2
	v_cmp_eq_u64_e64 s13, v[8:9], v[12:13]
	v_lshrrev_b64 v[8:9], v24, v[2:3]
	s_delay_alu instid0(VALU_DEP_1)
	v_mov_b64_e32 v[12:13], v[8:9]
	s_and_saveexec_b32 s75, s13
; %bb.5727:                             ;   in Loop: Header=BB4_4811 Depth=3
	v_bfe_u32 v2, v8, 20, 1
	s_delay_alu instid0(VALU_DEP_1) | instskip(NEXT) | instid1(VALU_DEP_1)
	v_add_nc_u64_e32 v[12:13], v[8:9], v[2:3]
	v_add_nc_u64_e32 v[12:13], -1, v[12:13]
; %bb.5728:                             ;   in Loop: Header=BB4_4811 Depth=3
	s_or_b32 exec_lo, exec_lo, s75
	v_add_nc_u32_e32 v2, 0xffffff81, v28
	v_lshrrev_b32_e32 v9, 23, v8
	s_mov_b32 s13, exec_lo
	s_delay_alu instid0(VALU_DEP_2) | instskip(NEXT) | instid1(VALU_DEP_1)
	v_cndmask_b32_e64 v2, v2, 0xffffff82, vcc_lo
	v_add3_u32 v13, v24, v2, v9
	v_and_b32_e32 v2, 0xfffff, v12
                                        ; implicit-def: $vgpr12
	s_delay_alu instid0(VALU_DEP_1) | instskip(NEXT) | instid1(VALU_DEP_1)
	v_dual_add_nc_u32 v24, 6, v13 :: v_dual_add_nc_u32 v2, v2, v8
                                        ; implicit-def: $vgpr8_vgpr9
	v_cmpx_ne_u32_e32 0, v24
	s_xor_b32 s13, exec_lo, s13
; %bb.5729:                             ;   in Loop: Header=BB4_4811 Depth=3
	s_delay_alu instid0(VALU_DEP_2) | instskip(SKIP_1) | instid1(VALU_DEP_1)
	v_cmp_lt_u64_e32 vcc_lo, 0xffffff, v[2:3]
	v_add_nc_u32_e32 v8, 7, v13
	v_cndmask_b32_e32 v12, v24, v8, vcc_lo
	v_cndmask_b32_e64 v8, 0, 1, vcc_lo
	s_delay_alu instid0(VALU_DEP_1)
	v_lshrrev_b64 v[8:9], v8, v[2:3]
; %bb.5730:                             ;   in Loop: Header=BB4_4811 Depth=3
	s_and_not1_saveexec_b32 s13, s13
; %bb.5731:                             ;   in Loop: Header=BB4_4811 Depth=3
	v_mov_b64_e32 v[8:9], v[2:3]
	v_bfe_u32 v12, v2, 23, 1
; %bb.5732:                             ;   in Loop: Header=BB4_4811 Depth=3
	s_or_b32 exec_lo, exec_lo, s13
	s_delay_alu instid0(VALU_DEP_2) | instskip(NEXT) | instid1(VALU_DEP_2)
	v_lshrrev_b64 v[8:9], 20, v[8:9]
	v_cmp_gt_i32_e32 vcc_lo, 16, v12
	v_min_i32_e32 v2, 15, v12
	v_cmp_eq_u32_e64 s13, 0, v12
	s_delay_alu instid0(VALU_DEP_2) | instskip(SKIP_1) | instid1(VALU_DEP_2)
	v_dual_cndmask_b32 v9, 0, v9 :: v_dual_lshlrev_b32 v2, 3, v2
	v_cndmask_b32_e32 v8, 7, v8, vcc_lo
	v_and_b32_e32 v2, 0xf8, v2
	s_delay_alu instid0(VALU_DEP_2) | instskip(NEXT) | instid1(VALU_DEP_2)
	v_cmp_eq_u64_e32 vcc_lo, 0, v[8:9]
	v_and_or_b32 v2, v8, 7, v2
	s_and_b32 s13, s13, vcc_lo
	s_delay_alu instid0(VALU_DEP_1) | instid1(SALU_CYCLE_1)
	v_cndmask_b32_e64 v2, v2, 0, s13
	s_delay_alu instid0(VALU_DEP_1)
	v_or_b32_e32 v28, v2, v29
.LBB4_5733:                             ;   in Loop: Header=BB4_4811 Depth=3
	s_or_b32 exec_lo, exec_lo, s74
                                        ; implicit-def: $vgpr29
.LBB4_5734:                             ;   in Loop: Header=BB4_4811 Depth=3
	s_and_not1_saveexec_b32 s13, s45
; %bb.5735:                             ;   in Loop: Header=BB4_4811 Depth=3
	v_or_b32_e32 v28, 0x7e, v29
; %bb.5736:                             ;   in Loop: Header=BB4_4811 Depth=3
	s_or_b32 exec_lo, exec_lo, s13
                                        ; implicit-def: $vgpr9
.LBB4_5737:                             ;   in Loop: Header=BB4_4811 Depth=3
	s_and_not1_saveexec_b32 s13, s44
; %bb.5738:                             ;   in Loop: Header=BB4_4811 Depth=3
	v_or_b32_e32 v28, 0x7f, v9
; %bb.5739:                             ;   in Loop: Header=BB4_4811 Depth=3
	s_or_b32 exec_lo, exec_lo, s13
	v_dual_lshrrev_b32 v24, 16, v15 :: v_dual_mov_b32 v12, 0
	v_mov_b32_e32 v13, 0
	s_mov_b32 s13, exec_lo
	s_delay_alu instid0(VALU_DEP_2) | instskip(NEXT) | instid1(VALU_DEP_1)
	v_and_b32_e32 v2, 0xff, v24
	v_cmpx_ne_u16_e32 0, v2
	s_cbranch_execz .LBB4_5747
; %bb.5740:                             ;   in Loop: Header=BB4_4811 Depth=3
	v_bfrev_b32_e32 v13, 1
	s_mov_b32 s44, exec_lo
	v_cmpx_ne_u16_e32 0x80, v2
	s_cbranch_execz .LBB4_5746
; %bb.5741:                             ;   in Loop: Header=BB4_4811 Depth=3
	v_bfe_u32 v8, v15, 16, 7
	v_mov_b32_e32 v13, 0x7f800001
	s_mov_b32 s45, exec_lo
	s_delay_alu instid0(VALU_DEP_2)
	v_cmpx_ne_u32_e32 0x7f, v8
	s_cbranch_execz .LBB4_5745
; %bb.5742:                             ;   in Loop: Header=BB4_4811 Depth=3
	v_and_b32_e32 v2, 7, v24
	v_lshrrev_b32_e32 v13, 3, v8
	v_cmp_gt_u32_e32 vcc_lo, 8, v8
	s_delay_alu instid0(VALU_DEP_3)
	v_mov_b64_e32 v[8:9], v[2:3]
	s_and_saveexec_b32 s74, vcc_lo
; %bb.5743:                             ;   in Loop: Header=BB4_4811 Depth=3
	v_clz_i32_u32_e32 v8, v2
	s_delay_alu instid0(VALU_DEP_1) | instskip(NEXT) | instid1(VALU_DEP_1)
	v_min_u32_e32 v13, 32, v8
	v_subrev_nc_u32_e32 v8, 28, v13
	s_delay_alu instid0(VALU_DEP_1) | instskip(NEXT) | instid1(VALU_DEP_1)
	v_lshlrev_b64_e32 v[8:9], v8, v[2:3]
	v_dual_sub_nc_u32 v13, 29, v13 :: v_dual_bitop2_b32 v8, 7, v8 bitop3:0x40
; %bb.5744:                             ;   in Loop: Header=BB4_4811 Depth=3
	s_or_b32 exec_lo, exec_lo, s74
	v_lshlrev_b32_e32 v2, 24, v24
	s_delay_alu instid0(VALU_DEP_2) | instskip(NEXT) | instid1(VALU_DEP_3)
	v_lshlrev_b32_e32 v8, 20, v8
	v_lshl_add_u32 v9, v13, 23, 0x3c000000
	s_delay_alu instid0(VALU_DEP_3) | instskip(NEXT) | instid1(VALU_DEP_1)
	v_and_b32_e32 v2, 0x80000000, v2
	v_or3_b32 v13, v8, v2, v9
.LBB4_5745:                             ;   in Loop: Header=BB4_4811 Depth=3
	s_or_b32 exec_lo, exec_lo, s45
.LBB4_5746:                             ;   in Loop: Header=BB4_4811 Depth=3
	s_delay_alu instid0(SALU_CYCLE_1)
	s_or_b32 exec_lo, exec_lo, s44
.LBB4_5747:                             ;   in Loop: Header=BB4_4811 Depth=3
	s_delay_alu instid0(SALU_CYCLE_1) | instskip(SKIP_2) | instid1(VALU_DEP_1)
	s_or_b32 exec_lo, exec_lo, s13
	v_lshrrev_b32_e32 v2, 16, v11
	s_mov_b32 s13, exec_lo
	v_and_b32_e32 v8, 0xff, v2
	s_delay_alu instid0(VALU_DEP_1)
	v_cmpx_ne_u16_e32 0, v8
	s_cbranch_execz .LBB4_5755
; %bb.5748:                             ;   in Loop: Header=BB4_4811 Depth=3
	v_bfrev_b32_e32 v12, 1
	s_mov_b32 s44, exec_lo
	v_cmpx_ne_u16_e32 0x80, v8
	s_cbranch_execz .LBB4_5754
; %bb.5749:                             ;   in Loop: Header=BB4_4811 Depth=3
	v_bfe_u32 v8, v11, 16, 7
	v_mov_b32_e32 v12, 0x7f800001
	s_mov_b32 s45, exec_lo
	s_delay_alu instid0(VALU_DEP_2)
	v_cmpx_ne_u32_e32 0x7f, v8
	s_cbranch_execz .LBB4_5753
; %bb.5750:                             ;   in Loop: Header=BB4_4811 Depth=3
	v_dual_lshrrev_b32 v12, 3, v8 :: v_dual_bitop2_b32 v2, 7, v2 bitop3:0x40
	v_cmp_gt_u32_e32 vcc_lo, 8, v8
	s_delay_alu instid0(VALU_DEP_2)
	v_mov_b64_e32 v[8:9], v[2:3]
	s_and_saveexec_b32 s74, vcc_lo
; %bb.5751:                             ;   in Loop: Header=BB4_4811 Depth=3
	v_clz_i32_u32_e32 v8, v2
	s_delay_alu instid0(VALU_DEP_1) | instskip(NEXT) | instid1(VALU_DEP_1)
	v_min_u32_e32 v12, 32, v8
	v_subrev_nc_u32_e32 v8, 28, v12
	v_sub_nc_u32_e32 v12, 29, v12
	s_delay_alu instid0(VALU_DEP_2) | instskip(NEXT) | instid1(VALU_DEP_1)
	v_lshlrev_b64_e32 v[8:9], v8, v[2:3]
	v_and_b32_e32 v8, 7, v8
; %bb.5752:                             ;   in Loop: Header=BB4_4811 Depth=3
	s_or_b32 exec_lo, exec_lo, s74
	s_delay_alu instid0(VALU_DEP_1) | instskip(SKIP_1) | instid1(VALU_DEP_2)
	v_dual_lshlrev_b32 v2, 8, v11 :: v_dual_lshlrev_b32 v8, 20, v8
	v_lshl_add_u32 v9, v12, 23, 0x3c000000
	v_and_b32_e32 v2, 0x80000000, v2
	s_delay_alu instid0(VALU_DEP_1)
	v_or3_b32 v12, v8, v2, v9
.LBB4_5753:                             ;   in Loop: Header=BB4_4811 Depth=3
	s_or_b32 exec_lo, exec_lo, s45
.LBB4_5754:                             ;   in Loop: Header=BB4_4811 Depth=3
	s_delay_alu instid0(SALU_CYCLE_1)
	s_or_b32 exec_lo, exec_lo, s44
.LBB4_5755:                             ;   in Loop: Header=BB4_4811 Depth=3
	s_delay_alu instid0(SALU_CYCLE_1) | instskip(NEXT) | instid1(VALU_DEP_1)
	s_or_b32 exec_lo, exec_lo, s13
	v_add_f32_e32 v8, v13, v12
                                        ; implicit-def: $vgpr12
	s_mov_b32 s13, exec_lo
	s_delay_alu instid0(VALU_DEP_1) | instskip(SKIP_1) | instid1(VALU_DEP_2)
	v_and_b32_e32 v2, 0x7f800000, v8
	v_lshrrev_b32_e32 v9, 24, v8
	v_cmpx_ne_u64_e32 0x7f800000, v[2:3]
	s_xor_b32 s44, exec_lo, s13
	s_cbranch_execz .LBB4_5769
; %bb.5756:                             ;   in Loop: Header=BB4_4811 Depth=3
	v_and_b32_e32 v2, 0x7fffffff, v8
	v_and_b32_e32 v29, 0x80, v9
                                        ; implicit-def: $vgpr12
	s_mov_b32 s13, exec_lo
	s_delay_alu instid0(VALU_DEP_2)
	v_cmpx_gt_u64_e32 0x43e00001, v[2:3]
	s_xor_b32 s45, exec_lo, s13
	s_cbranch_execz .LBB4_5766
; %bb.5757:                             ;   in Loop: Header=BB4_4811 Depth=3
	v_mov_b32_e32 v12, 0
	s_mov_b32 s74, exec_lo
	v_cmpx_ne_u32_e32 0, v8
	s_cbranch_execz .LBB4_5765
; %bb.5758:                             ;   in Loop: Header=BB4_4811 Depth=3
	v_bfe_u32 v123, v8, 23, 8
	v_and_b32_e32 v2, 0x7fffff, v8
	s_delay_alu instid0(VALU_DEP_2) | instskip(SKIP_2) | instid1(VALU_DEP_4)
	v_cmp_gt_u32_e64 s13, 0x7a, v123
	v_sub_nc_u32_e32 v8, 0x79, v123
	v_cmp_eq_u32_e32 vcc_lo, 0, v123
	v_or_b32_e32 v9, 0x800000, v2
	s_delay_alu instid0(VALU_DEP_1) | instskip(NEXT) | instid1(VALU_DEP_1)
	v_dual_cndmask_b32 v8, 0, v8, s13 :: v_dual_cndmask_b32 v2, v9, v2, vcc_lo
	v_cndmask_b32_e64 v24, v8, 0x78, vcc_lo
	s_delay_alu instid0(VALU_DEP_1) | instskip(NEXT) | instid1(VALU_DEP_1)
	v_dual_add_nc_u32 v8, 20, v24 :: v_dual_add_nc_u32 v12, 19, v24
	v_lshlrev_b64_e64 v[8:9], v8, -1
	s_delay_alu instid0(VALU_DEP_2) | instskip(NEXT) | instid1(VALU_DEP_2)
	v_lshlrev_b64_e64 v[12:13], v12, 1
	v_bfi_b32 v9, v9, 0, 0
	s_delay_alu instid0(VALU_DEP_3) | instskip(NEXT) | instid1(VALU_DEP_1)
	v_bfi_b32 v8, v8, 0, v2
	v_cmp_eq_u64_e64 s13, v[8:9], v[12:13]
	v_lshrrev_b64 v[8:9], v24, v[2:3]
	s_delay_alu instid0(VALU_DEP_1)
	v_mov_b64_e32 v[12:13], v[8:9]
	s_and_saveexec_b32 s75, s13
; %bb.5759:                             ;   in Loop: Header=BB4_4811 Depth=3
	v_bfe_u32 v2, v8, 20, 1
	s_delay_alu instid0(VALU_DEP_1) | instskip(NEXT) | instid1(VALU_DEP_1)
	v_add_nc_u64_e32 v[12:13], v[8:9], v[2:3]
	v_add_nc_u64_e32 v[12:13], -1, v[12:13]
; %bb.5760:                             ;   in Loop: Header=BB4_4811 Depth=3
	s_or_b32 exec_lo, exec_lo, s75
	v_add_nc_u32_e32 v2, 0xffffff81, v123
	v_lshrrev_b32_e32 v9, 23, v8
	s_mov_b32 s13, exec_lo
	s_delay_alu instid0(VALU_DEP_2) | instskip(NEXT) | instid1(VALU_DEP_1)
	v_cndmask_b32_e64 v2, v2, 0xffffff82, vcc_lo
	v_add3_u32 v24, v24, v2, v9
	v_and_b32_e32 v2, 0xfffff, v12
                                        ; implicit-def: $vgpr12
	s_delay_alu instid0(VALU_DEP_2) | instskip(NEXT) | instid1(VALU_DEP_2)
	v_add_nc_u32_e32 v13, 6, v24
	v_add_nc_u32_e32 v2, v2, v8
                                        ; implicit-def: $vgpr8_vgpr9
	s_delay_alu instid0(VALU_DEP_2)
	v_cmpx_ne_u32_e32 0, v13
	s_xor_b32 s13, exec_lo, s13
; %bb.5761:                             ;   in Loop: Header=BB4_4811 Depth=3
	s_delay_alu instid0(VALU_DEP_2) | instskip(SKIP_1) | instid1(VALU_DEP_1)
	v_cmp_lt_u64_e32 vcc_lo, 0xffffff, v[2:3]
	v_add_nc_u32_e32 v8, 7, v24
	v_cndmask_b32_e32 v12, v13, v8, vcc_lo
	v_cndmask_b32_e64 v8, 0, 1, vcc_lo
	s_delay_alu instid0(VALU_DEP_1)
	v_lshrrev_b64 v[8:9], v8, v[2:3]
; %bb.5762:                             ;   in Loop: Header=BB4_4811 Depth=3
	s_and_not1_saveexec_b32 s13, s13
; %bb.5763:                             ;   in Loop: Header=BB4_4811 Depth=3
	v_mov_b64_e32 v[8:9], v[2:3]
	v_bfe_u32 v12, v2, 23, 1
; %bb.5764:                             ;   in Loop: Header=BB4_4811 Depth=3
	s_or_b32 exec_lo, exec_lo, s13
	s_delay_alu instid0(VALU_DEP_2) | instskip(NEXT) | instid1(VALU_DEP_2)
	v_lshrrev_b64 v[8:9], 20, v[8:9]
	v_cmp_gt_i32_e32 vcc_lo, 16, v12
	v_min_i32_e32 v2, 15, v12
	v_cmp_eq_u32_e64 s13, 0, v12
	s_delay_alu instid0(VALU_DEP_2) | instskip(SKIP_1) | instid1(VALU_DEP_2)
	v_dual_cndmask_b32 v9, 0, v9 :: v_dual_lshlrev_b32 v2, 3, v2
	v_cndmask_b32_e32 v8, 7, v8, vcc_lo
	v_and_b32_e32 v2, 0xf8, v2
	s_delay_alu instid0(VALU_DEP_2) | instskip(NEXT) | instid1(VALU_DEP_2)
	v_cmp_eq_u64_e32 vcc_lo, 0, v[8:9]
	v_and_or_b32 v2, v8, 7, v2
	s_and_b32 s13, s13, vcc_lo
	s_delay_alu instid0(VALU_DEP_1) | instid1(SALU_CYCLE_1)
	v_cndmask_b32_e64 v2, v2, 0, s13
	s_delay_alu instid0(VALU_DEP_1)
	v_or_b32_e32 v12, v2, v29
.LBB4_5765:                             ;   in Loop: Header=BB4_4811 Depth=3
	s_or_b32 exec_lo, exec_lo, s74
                                        ; implicit-def: $vgpr29
.LBB4_5766:                             ;   in Loop: Header=BB4_4811 Depth=3
	s_and_not1_saveexec_b32 s13, s45
; %bb.5767:                             ;   in Loop: Header=BB4_4811 Depth=3
	v_or_b32_e32 v12, 0x7e, v29
; %bb.5768:                             ;   in Loop: Header=BB4_4811 Depth=3
	s_or_b32 exec_lo, exec_lo, s13
                                        ; implicit-def: $vgpr9
.LBB4_5769:                             ;   in Loop: Header=BB4_4811 Depth=3
	s_and_not1_saveexec_b32 s13, s44
; %bb.5770:                             ;   in Loop: Header=BB4_4811 Depth=3
	v_or_b32_e32 v12, 0x7f, v9
; %bb.5771:                             ;   in Loop: Header=BB4_4811 Depth=3
	s_or_b32 exec_lo, exec_lo, s13
	v_cmp_lt_u64_e32 vcc_lo, s[22:23], v[14:15]
	v_dual_mov_b32 v13, 0 :: v_dual_mov_b32 v14, 0
	s_and_saveexec_b32 s13, vcc_lo
	s_cbranch_execz .LBB4_5779
; %bb.5772:                             ;   in Loop: Header=BB4_4811 Depth=3
	v_lshrrev_b32_e32 v24, 24, v15
	v_bfrev_b32_e32 v14, 1
	s_mov_b32 s44, exec_lo
	s_delay_alu instid0(VALU_DEP_2)
	v_cmpx_ne_u32_e32 0x80, v24
	s_cbranch_execz .LBB4_5778
; %bb.5773:                             ;   in Loop: Header=BB4_4811 Depth=3
	v_bfe_u32 v8, v15, 24, 7
	v_mov_b32_e32 v14, 0x7f800001
	s_mov_b32 s45, exec_lo
	s_delay_alu instid0(VALU_DEP_2)
	v_cmpx_ne_u32_e32 0x7f, v8
	s_cbranch_execz .LBB4_5777
; %bb.5774:                             ;   in Loop: Header=BB4_4811 Depth=3
	v_and_b32_e32 v2, 7, v24
	v_lshrrev_b32_e32 v14, 3, v8
	v_cmp_gt_u32_e32 vcc_lo, 8, v8
	s_delay_alu instid0(VALU_DEP_3)
	v_mov_b64_e32 v[8:9], v[2:3]
	s_and_saveexec_b32 s74, vcc_lo
; %bb.5775:                             ;   in Loop: Header=BB4_4811 Depth=3
	v_clz_i32_u32_e32 v8, v2
	s_delay_alu instid0(VALU_DEP_1) | instskip(NEXT) | instid1(VALU_DEP_1)
	v_min_u32_e32 v14, 32, v8
	v_subrev_nc_u32_e32 v8, 28, v14
	s_delay_alu instid0(VALU_DEP_1) | instskip(NEXT) | instid1(VALU_DEP_1)
	v_lshlrev_b64_e32 v[8:9], v8, v[2:3]
	v_dual_sub_nc_u32 v14, 29, v14 :: v_dual_bitop2_b32 v8, 7, v8 bitop3:0x40
; %bb.5776:                             ;   in Loop: Header=BB4_4811 Depth=3
	s_or_b32 exec_lo, exec_lo, s74
	v_lshlrev_b32_e32 v2, 24, v24
	s_delay_alu instid0(VALU_DEP_2) | instskip(NEXT) | instid1(VALU_DEP_3)
	v_lshlrev_b32_e32 v8, 20, v8
	v_lshl_add_u32 v9, v14, 23, 0x3c000000
	s_delay_alu instid0(VALU_DEP_3) | instskip(NEXT) | instid1(VALU_DEP_1)
	v_and_b32_e32 v2, 0x80000000, v2
	v_or3_b32 v14, v8, v2, v9
.LBB4_5777:                             ;   in Loop: Header=BB4_4811 Depth=3
	s_or_b32 exec_lo, exec_lo, s45
.LBB4_5778:                             ;   in Loop: Header=BB4_4811 Depth=3
	s_delay_alu instid0(SALU_CYCLE_1)
	s_or_b32 exec_lo, exec_lo, s44
.LBB4_5779:                             ;   in Loop: Header=BB4_4811 Depth=3
	s_delay_alu instid0(SALU_CYCLE_1) | instskip(NEXT) | instid1(SALU_CYCLE_1)
	s_or_b32 exec_lo, exec_lo, s13
	s_mov_b32 s13, exec_lo
	v_cmpx_lt_u64_e64 s[22:23], v[10:11]
	s_cbranch_execz .LBB4_5787
; %bb.5780:                             ;   in Loop: Header=BB4_4811 Depth=3
	v_lshrrev_b32_e32 v10, 24, v11
	v_bfrev_b32_e32 v13, 1
	s_mov_b32 s44, exec_lo
	s_delay_alu instid0(VALU_DEP_2)
	v_cmpx_ne_u32_e32 0x80, v10
	s_cbranch_execz .LBB4_5786
; %bb.5781:                             ;   in Loop: Header=BB4_4811 Depth=3
	v_bfe_u32 v8, v11, 24, 7
	v_mov_b32_e32 v13, 0x7f800001
	s_mov_b32 s45, exec_lo
	s_delay_alu instid0(VALU_DEP_2)
	v_cmpx_ne_u32_e32 0x7f, v8
	s_cbranch_execz .LBB4_5785
; %bb.5782:                             ;   in Loop: Header=BB4_4811 Depth=3
	v_dual_lshrrev_b32 v11, 3, v8 :: v_dual_bitop2_b32 v2, 7, v10 bitop3:0x40
	v_cmp_gt_u32_e32 vcc_lo, 8, v8
	s_delay_alu instid0(VALU_DEP_2)
	v_mov_b64_e32 v[8:9], v[2:3]
	s_and_saveexec_b32 s74, vcc_lo
; %bb.5783:                             ;   in Loop: Header=BB4_4811 Depth=3
	v_clz_i32_u32_e32 v8, v2
	s_delay_alu instid0(VALU_DEP_1) | instskip(NEXT) | instid1(VALU_DEP_1)
	v_min_u32_e32 v11, 32, v8
	v_subrev_nc_u32_e32 v8, 28, v11
	s_delay_alu instid0(VALU_DEP_1) | instskip(NEXT) | instid1(VALU_DEP_1)
	v_lshlrev_b64_e32 v[8:9], v8, v[2:3]
	v_dual_sub_nc_u32 v11, 29, v11 :: v_dual_bitop2_b32 v8, 7, v8 bitop3:0x40
; %bb.5784:                             ;   in Loop: Header=BB4_4811 Depth=3
	s_or_b32 exec_lo, exec_lo, s74
	s_delay_alu instid0(VALU_DEP_1) | instskip(NEXT) | instid1(VALU_DEP_2)
	v_dual_lshlrev_b32 v2, 24, v10 :: v_dual_lshlrev_b32 v8, 20, v8
	v_lshl_add_u32 v9, v11, 23, 0x3c000000
	s_delay_alu instid0(VALU_DEP_2) | instskip(NEXT) | instid1(VALU_DEP_1)
	v_and_b32_e32 v2, 0x80000000, v2
	v_or3_b32 v13, v8, v2, v9
.LBB4_5785:                             ;   in Loop: Header=BB4_4811 Depth=3
	s_or_b32 exec_lo, exec_lo, s45
.LBB4_5786:                             ;   in Loop: Header=BB4_4811 Depth=3
	s_delay_alu instid0(SALU_CYCLE_1)
	s_or_b32 exec_lo, exec_lo, s44
.LBB4_5787:                             ;   in Loop: Header=BB4_4811 Depth=3
	s_delay_alu instid0(SALU_CYCLE_1) | instskip(NEXT) | instid1(VALU_DEP_1)
	s_or_b32 exec_lo, exec_lo, s13
	v_add_f32_e32 v8, v14, v13
	s_delay_alu instid0(VALU_DEP_1) | instskip(SKIP_1) | instid1(VALU_DEP_2)
	v_and_b32_e32 v2, 0x7f800000, v8
	v_lshrrev_b32_e32 v9, 24, v8
	v_cmp_ne_u64_e32 vcc_lo, 0x7f800000, v[2:3]
                                        ; implicit-def: $vgpr2
	s_and_saveexec_b32 s13, vcc_lo
	s_delay_alu instid0(SALU_CYCLE_1)
	s_xor_b32 s44, exec_lo, s13
	s_cbranch_execz .LBB4_5801
; %bb.5788:                             ;   in Loop: Header=BB4_4811 Depth=3
	v_and_b32_e32 v2, 0x7fffffff, v8
	v_and_b32_e32 v13, 0x80, v9
	s_delay_alu instid0(VALU_DEP_2) | instskip(SKIP_1) | instid1(SALU_CYCLE_1)
	v_cmp_gt_u64_e32 vcc_lo, 0x43e00001, v[2:3]
                                        ; implicit-def: $vgpr2
	s_and_saveexec_b32 s13, vcc_lo
	s_xor_b32 s45, exec_lo, s13
	s_cbranch_execz .LBB4_5798
; %bb.5789:                             ;   in Loop: Header=BB4_4811 Depth=3
	v_mov_b32_e32 v2, 0
	s_mov_b32 s74, exec_lo
	v_cmpx_ne_u32_e32 0, v8
	s_cbranch_execz .LBB4_5797
; %bb.5790:                             ;   in Loop: Header=BB4_4811 Depth=3
	v_bfe_u32 v14, v8, 23, 8
	v_and_b32_e32 v2, 0x7fffff, v8
	s_delay_alu instid0(VALU_DEP_2) | instskip(SKIP_2) | instid1(VALU_DEP_4)
	v_cmp_gt_u32_e64 s13, 0x7a, v14
	v_sub_nc_u32_e32 v8, 0x79, v14
	v_cmp_eq_u32_e32 vcc_lo, 0, v14
	v_or_b32_e32 v9, 0x800000, v2
	s_delay_alu instid0(VALU_DEP_1) | instskip(NEXT) | instid1(VALU_DEP_1)
	v_dual_cndmask_b32 v8, 0, v8, s13 :: v_dual_cndmask_b32 v2, v9, v2, vcc_lo
	v_cndmask_b32_e64 v15, v8, 0x78, vcc_lo
	s_delay_alu instid0(VALU_DEP_1) | instskip(NEXT) | instid1(VALU_DEP_1)
	v_dual_add_nc_u32 v8, 20, v15 :: v_dual_add_nc_u32 v10, 19, v15
	v_lshlrev_b64_e64 v[8:9], v8, -1
	s_delay_alu instid0(VALU_DEP_2) | instskip(NEXT) | instid1(VALU_DEP_2)
	v_lshlrev_b64_e64 v[10:11], v10, 1
	v_bfi_b32 v9, v9, 0, 0
	s_delay_alu instid0(VALU_DEP_3) | instskip(NEXT) | instid1(VALU_DEP_1)
	v_bfi_b32 v8, v8, 0, v2
	v_cmp_eq_u64_e64 s13, v[8:9], v[10:11]
	v_lshrrev_b64 v[8:9], v15, v[2:3]
	s_delay_alu instid0(VALU_DEP_1)
	v_mov_b64_e32 v[10:11], v[8:9]
	s_and_saveexec_b32 s75, s13
; %bb.5791:                             ;   in Loop: Header=BB4_4811 Depth=3
	v_bfe_u32 v2, v8, 20, 1
	s_delay_alu instid0(VALU_DEP_1) | instskip(NEXT) | instid1(VALU_DEP_1)
	v_add_nc_u64_e32 v[10:11], v[8:9], v[2:3]
	v_add_nc_u64_e32 v[10:11], -1, v[10:11]
; %bb.5792:                             ;   in Loop: Header=BB4_4811 Depth=3
	s_or_b32 exec_lo, exec_lo, s75
	v_add_nc_u32_e32 v2, 0xffffff81, v14
	v_lshrrev_b32_e32 v9, 23, v8
	s_mov_b32 s13, exec_lo
	s_delay_alu instid0(VALU_DEP_2) | instskip(NEXT) | instid1(VALU_DEP_1)
	v_cndmask_b32_e64 v2, v2, 0xffffff82, vcc_lo
	v_add3_u32 v11, v15, v2, v9
	v_and_b32_e32 v2, 0xfffff, v10
                                        ; implicit-def: $vgpr10
	s_delay_alu instid0(VALU_DEP_1) | instskip(NEXT) | instid1(VALU_DEP_1)
	v_dual_add_nc_u32 v14, 6, v11 :: v_dual_add_nc_u32 v2, v2, v8
                                        ; implicit-def: $vgpr8_vgpr9
	v_cmpx_ne_u32_e32 0, v14
	s_xor_b32 s13, exec_lo, s13
; %bb.5793:                             ;   in Loop: Header=BB4_4811 Depth=3
	s_delay_alu instid0(VALU_DEP_2) | instskip(SKIP_1) | instid1(VALU_DEP_1)
	v_cmp_lt_u64_e32 vcc_lo, 0xffffff, v[2:3]
	v_add_nc_u32_e32 v8, 7, v11
	v_cndmask_b32_e32 v10, v14, v8, vcc_lo
	v_cndmask_b32_e64 v8, 0, 1, vcc_lo
	s_delay_alu instid0(VALU_DEP_1)
	v_lshrrev_b64 v[8:9], v8, v[2:3]
; %bb.5794:                             ;   in Loop: Header=BB4_4811 Depth=3
	s_and_not1_saveexec_b32 s13, s13
; %bb.5795:                             ;   in Loop: Header=BB4_4811 Depth=3
	v_mov_b64_e32 v[8:9], v[2:3]
	v_bfe_u32 v10, v2, 23, 1
; %bb.5796:                             ;   in Loop: Header=BB4_4811 Depth=3
	s_or_b32 exec_lo, exec_lo, s13
	s_delay_alu instid0(VALU_DEP_2) | instskip(NEXT) | instid1(VALU_DEP_2)
	v_lshrrev_b64 v[8:9], 20, v[8:9]
	v_cmp_gt_i32_e32 vcc_lo, 16, v10
	v_min_i32_e32 v2, 15, v10
	v_cmp_eq_u32_e64 s13, 0, v10
	s_delay_alu instid0(VALU_DEP_2) | instskip(SKIP_1) | instid1(VALU_DEP_2)
	v_dual_cndmask_b32 v9, 0, v9 :: v_dual_lshlrev_b32 v2, 3, v2
	v_cndmask_b32_e32 v8, 7, v8, vcc_lo
	v_and_b32_e32 v2, 0xf8, v2
	s_delay_alu instid0(VALU_DEP_2) | instskip(NEXT) | instid1(VALU_DEP_2)
	v_cmp_eq_u64_e32 vcc_lo, 0, v[8:9]
	v_and_or_b32 v2, v8, 7, v2
	s_and_b32 s13, s13, vcc_lo
	s_delay_alu instid0(VALU_DEP_1) | instid1(SALU_CYCLE_1)
	v_cndmask_b32_e64 v2, v2, 0, s13
	s_delay_alu instid0(VALU_DEP_1)
	v_or_b32_e32 v2, v2, v13
.LBB4_5797:                             ;   in Loop: Header=BB4_4811 Depth=3
	s_or_b32 exec_lo, exec_lo, s74
                                        ; implicit-def: $vgpr13
.LBB4_5798:                             ;   in Loop: Header=BB4_4811 Depth=3
	s_and_not1_saveexec_b32 s13, s45
; %bb.5799:                             ;   in Loop: Header=BB4_4811 Depth=3
	v_or_b32_e32 v2, 0x7e, v13
; %bb.5800:                             ;   in Loop: Header=BB4_4811 Depth=3
	s_or_b32 exec_lo, exec_lo, s13
                                        ; implicit-def: $vgpr9
.LBB4_5801:                             ;   in Loop: Header=BB4_4811 Depth=3
	s_and_not1_saveexec_b32 s13, s44
	s_cbranch_execz .LBB4_4810
; %bb.5802:                             ;   in Loop: Header=BB4_4811 Depth=3
	v_or_b32_e32 v2, 0x7f, v9
	s_branch .LBB4_4810
.LBB4_5803:                             ;   in Loop: Header=BB4_2595 Depth=2
	s_or_b32 exec_lo, exec_lo, s15
.LBB4_5804:                             ;   in Loop: Header=BB4_2595 Depth=2
	s_delay_alu instid0(SALU_CYCLE_1) | instskip(SKIP_3) | instid1(VALU_DEP_1)
	s_or_b32 exec_lo, exec_lo, s14
	v_dual_lshlrev_b32 v62, 10, v76 :: v_dual_mov_b32 v18, 0
	s_mov_b32 s13, 0
	s_mov_b32 s44, exec_lo
                                        ; implicit-def: $vgpr19
                                        ; implicit-def: $vgpr20
                                        ; implicit-def: $vgpr2
	v_cmpx_ne_u32_e64 v41, v62
	s_cbranch_execz .LBB4_6308
; %bb.5805:                             ;   in Loop: Header=BB4_2595 Depth=2
	v_dual_lshlrev_b32 v2, 5, v43 :: v_dual_sub_nc_u32 v9, v41, v62
	s_mov_b32 s45, exec_lo
	s_delay_alu instid0(VALU_DEP_1) | instskip(NEXT) | instid1(VALU_DEP_1)
	v_dual_sub_nc_u32 v2, v94, v2 :: v_dual_ashrrev_i32 v10, 31, v9
	v_ashrrev_i32_e32 v8, 31, v2
	s_delay_alu instid0(VALU_DEP_1) | instskip(NEXT) | instid1(VALU_DEP_1)
	v_dual_lshrrev_b32 v10, 23, v10 :: v_dual_lshrrev_b32 v8, 27, v8
	v_add_nc_u32_e32 v8, v2, v8
	s_delay_alu instid0(VALU_DEP_1) | instskip(NEXT) | instid1(VALU_DEP_1)
	v_and_b32_e32 v11, 0xffffffe0, v8
	v_dual_add_nc_u32 v10, v9, v10 :: v_dual_sub_nc_u32 v63, v2, v11
	s_delay_alu instid0(VALU_DEP_1) | instskip(SKIP_1) | instid1(VALU_DEP_3)
	v_and_b32_e32 v43, 0xfffffe00, v10
	v_dual_ashrrev_i32 v8, 5, v8 :: v_dual_ashrrev_i32 v10, 9, v10
	v_lshlrev_b32_e32 v2, 4, v63
	s_delay_alu instid0(VALU_DEP_3) | instskip(NEXT) | instid1(VALU_DEP_2)
	v_sub_nc_u32_e32 v72, v9, v43
	v_lshl_add_u32 v2, v8, 9, v2
	s_delay_alu instid0(VALU_DEP_2) | instskip(SKIP_1) | instid1(VALU_DEP_1)
	v_cmp_lt_i32_e32 vcc_lo, 15, v72
	v_add_co_ci_u32_e64 v10, null, 0, v10, vcc_lo
	v_dual_sub_nc_u32 v74, v9, v2 :: v_dual_sub_nc_u32 v73, v10, v8
	s_delay_alu instid0(VALU_DEP_1)
	v_cmpx_lt_i32_e32 15, v74
	s_cbranch_execz .LBB4_6305
; %bb.5806:                             ;   in Loop: Header=BB4_2595 Depth=2
	s_trap 2
	ds_load_b64 v[8:9], v0
	v_add_nc_u32_e32 v10, v2, v62
	s_mov_b32 s74, 0
	s_delay_alu instid0(VALU_DEP_1) | instskip(NEXT) | instid1(VALU_DEP_1)
	v_ashrrev_i32_e32 v11, 31, v10
	v_add_nc_u64_e32 v[16:17], v[10:11], v[46:47]
	v_add_nc_u64_e32 v[20:21], v[10:11], v[56:57]
	s_wait_dscnt 0x0
	v_add_nc_u64_e32 v[18:19], v[8:9], v[10:11]
	s_branch .LBB4_5808
.LBB4_5807:                             ;   in Loop: Header=BB4_5808 Depth=3
	s_or_b32 exec_lo, exec_lo, s13
	v_lshl_or_b32 v8, v61, 8, v60
	v_dual_lshlrev_b32 v9, 16, v58 :: v_dual_lshlrev_b32 v10, 24, v59
	v_lshl_or_b32 v11, v76, 8, v75
	v_dual_lshlrev_b32 v13, 16, v77 :: v_dual_lshlrev_b32 v14, 24, v78
	;; [unrolled: 2-line block ×3, first 2 shown]
	v_dual_lshlrev_b32 v2, 24, v2 :: v_dual_lshlrev_b32 v12, 16, v12
	v_lshl_or_b32 v22, v23, 8, v22
	v_or3_b32 v9, v8, v9, v10
	v_or3_b32 v8, v11, v13, v14
	;; [unrolled: 1-line block ×3, first 2 shown]
	v_sub_nc_u32_e32 v74, v74, v80
	v_or3_b32 v11, v22, v12, v2
	v_add_nc_u64_e32 v[16:17], v[16:17], v[80:81]
	v_add_nc_u64_e32 v[18:19], v[18:19], v[80:81]
	v_sub_nc_u32_e32 v73, v73, v52
	v_cmp_gt_i32_e64 s13, 16, v74
	global_store_b128 v[20:21], v[8:11], off th:TH_STORE_NT
	s_wait_xcnt 0x0
	v_add_nc_u64_e32 v[20:21], v[20:21], v[80:81]
	s_or_b32 s74, s13, s74
	s_delay_alu instid0(SALU_CYCLE_1)
	s_and_not1_b32 exec_lo, exec_lo, s74
	s_cbranch_execz .LBB4_6304
.LBB4_5808:                             ;   Parent Loop BB4_47 Depth=1
                                        ;     Parent Loop BB4_2595 Depth=2
                                        ; =>    This Inner Loop Header: Depth=3
	global_load_b128 v[12:15], v[16:17], off th:TH_LOAD_NT
	global_load_b128 v[8:11], v[18:19], off th:TH_LOAD_NT
	v_mov_b32_e32 v2, 0
	s_mov_b32 s14, exec_lo
	s_wait_loadcnt 0x1
	v_and_b32_e32 v22, 0xff, v12
	s_wait_xcnt 0x0
	s_delay_alu instid0(VALU_DEP_1)
	v_cmpx_ne_u16_e32 0, v22
	s_cbranch_execz .LBB4_5814
; %bb.5809:                             ;   in Loop: Header=BB4_5808 Depth=3
	v_bfrev_b32_e32 v2, 1
	s_mov_b32 s15, exec_lo
	v_cmpx_ne_u16_e32 0x80, v22
	s_cbranch_execz .LBB4_5813
; %bb.5810:                             ;   in Loop: Header=BB4_5808 Depth=3
	v_and_b32_e32 v22, 0x7f, v12
	v_mov_b32_e32 v2, 0x7f800001
	s_mov_b32 s75, exec_lo
	s_delay_alu instid0(VALU_DEP_2)
	v_cmpx_ne_u32_e32 0x7f, v22
	s_cbranch_execz .LBB4_5812
; %bb.5811:                             ;   in Loop: Header=BB4_5808 Depth=3
	v_dual_lshrrev_b32 v23, 3, v22 :: v_dual_bitop2_b32 v2, 7, v12 bitop3:0x40
	v_cmp_gt_u32_e64 s13, 8, v22
	s_delay_alu instid0(VALU_DEP_2) | instskip(NEXT) | instid1(VALU_DEP_1)
	v_clz_i32_u32_e32 v2, v2
	v_min_u32_e32 v2, 32, v2
	s_delay_alu instid0(VALU_DEP_1) | instskip(NEXT) | instid1(VALU_DEP_1)
	v_subrev_nc_u32_e32 v24, 28, v2
	v_dual_sub_nc_u32 v2, 29, v2 :: v_dual_cndmask_b32 v22, 0, v24, s13
	s_delay_alu instid0(VALU_DEP_1) | instskip(NEXT) | instid1(VALU_DEP_2)
	v_cndmask_b32_e64 v2, v23, v2, s13
	v_lshlrev_b64_e32 v[22:23], v22, v[12:13]
	v_lshlrev_b32_e32 v23, 24, v12
	s_delay_alu instid0(VALU_DEP_3) | instskip(NEXT) | instid1(VALU_DEP_2)
	v_lshl_add_u32 v2, v2, 23, 0x3c000000
	v_and_b32_e32 v23, 0x80000000, v23
	s_delay_alu instid0(VALU_DEP_4) | instskip(NEXT) | instid1(VALU_DEP_1)
	v_lshlrev_b32_e32 v22, 20, v22
	v_and_b32_e32 v22, 0x700000, v22
	s_delay_alu instid0(VALU_DEP_1)
	v_or3_b32 v2, v22, v23, v2
.LBB4_5812:                             ;   in Loop: Header=BB4_5808 Depth=3
	s_or_b32 exec_lo, exec_lo, s75
.LBB4_5813:                             ;   in Loop: Header=BB4_5808 Depth=3
	s_delay_alu instid0(SALU_CYCLE_1)
	s_or_b32 exec_lo, exec_lo, s15
.LBB4_5814:                             ;   in Loop: Header=BB4_5808 Depth=3
	s_delay_alu instid0(SALU_CYCLE_1) | instskip(SKIP_4) | instid1(VALU_DEP_1)
	s_or_b32 exec_lo, exec_lo, s14
	s_wait_loadcnt 0x0
	v_and_b32_e32 v23, 0xff, v8
	s_mov_b32 s14, 0
	s_mov_b32 s15, exec_lo
	v_cmpx_lt_i16_e32 0x7f, v23
	s_xor_b32 s15, exec_lo, s15
	s_cbranch_execz .LBB4_5849
; %bb.5815:                             ;   in Loop: Header=BB4_5808 Depth=3
	s_mov_b32 s14, -1
	s_mov_b32 s75, exec_lo
	v_cmpx_eq_u16_e32 0x80, v23
; %bb.5816:                             ;   in Loop: Header=BB4_5808 Depth=3
	s_xor_b32 s14, exec_lo, -1
; %bb.5817:                             ;   in Loop: Header=BB4_5808 Depth=3
	s_or_b32 exec_lo, exec_lo, s75
	s_delay_alu instid0(SALU_CYCLE_1)
	s_and_b32 s14, s14, exec_lo
                                        ; implicit-def: $vgpr23
	s_or_saveexec_b32 s15, s15
	v_bfrev_b32_e32 v22, 1
	s_xor_b32 exec_lo, exec_lo, s15
	s_cbranch_execnz .LBB4_5850
.LBB4_5818:                             ;   in Loop: Header=BB4_5808 Depth=3
	s_or_b32 exec_lo, exec_lo, s15
	s_and_saveexec_b32 s15, s14
	s_cbranch_execz .LBB4_5820
.LBB4_5819:                             ;   in Loop: Header=BB4_5808 Depth=3
	v_and_b32_e32 v22, 7, v8
	v_and_b32_e32 v24, 0x7f, v8
	v_bfe_u32 v23, v8, 3, 4
	s_delay_alu instid0(VALU_DEP_3) | instskip(NEXT) | instid1(VALU_DEP_3)
	v_clz_i32_u32_e32 v22, v22
	v_cmp_gt_u32_e64 s13, 8, v24
	s_delay_alu instid0(VALU_DEP_2) | instskip(NEXT) | instid1(VALU_DEP_1)
	v_min_u32_e32 v22, 32, v22
	v_subrev_nc_u32_e32 v25, 28, v22
	v_sub_nc_u32_e32 v22, 29, v22
	s_delay_alu instid0(VALU_DEP_1) | instskip(SKIP_1) | instid1(VALU_DEP_2)
	v_dual_cndmask_b32 v26, v23, v22, s13 :: v_dual_cndmask_b32 v22, 0, v25, s13
	v_cmp_ne_u32_e64 s13, 0x7f, v24
	v_lshl_add_u32 v25, v26, 23, 0x3c000000
	s_delay_alu instid0(VALU_DEP_3) | instskip(SKIP_1) | instid1(VALU_DEP_1)
	v_lshlrev_b64_e32 v[22:23], v22, v[8:9]
	v_lshlrev_b32_e32 v23, 24, v8
	v_and_b32_e32 v23, 0x80000000, v23
	s_delay_alu instid0(VALU_DEP_3) | instskip(NEXT) | instid1(VALU_DEP_1)
	v_lshlrev_b32_e32 v22, 20, v22
	v_and_b32_e32 v22, 0x700000, v22
	s_delay_alu instid0(VALU_DEP_1) | instskip(NEXT) | instid1(VALU_DEP_1)
	v_or3_b32 v22, v22, v23, v25
	v_cndmask_b32_e64 v22, 0x7f800001, v22, s13
.LBB4_5820:                             ;   in Loop: Header=BB4_5808 Depth=3
	s_or_b32 exec_lo, exec_lo, s15
	s_delay_alu instid0(VALU_DEP_1) | instskip(SKIP_1) | instid1(VALU_DEP_1)
	v_add_f32_e32 v22, v2, v22
                                        ; implicit-def: $vgpr75
	s_mov_b32 s14, exec_lo
	v_and_b32_e32 v2, 0x7f800000, v22
	v_lshrrev_b32_e32 v23, 24, v22
	s_delay_alu instid0(VALU_DEP_2)
	v_cmpx_ne_u64_e32 0x7f800000, v[2:3]
	s_xor_b32 s15, exec_lo, s14
	s_cbranch_execz .LBB4_5834
; %bb.5821:                             ;   in Loop: Header=BB4_5808 Depth=3
	v_and_b32_e32 v2, 0x7fffffff, v22
	v_and_b32_e32 v26, 0x80, v23
                                        ; implicit-def: $vgpr75
	s_mov_b32 s14, exec_lo
	s_delay_alu instid0(VALU_DEP_2)
	v_cmpx_gt_u64_e32 0x43e00001, v[2:3]
	s_xor_b32 s75, exec_lo, s14
	s_cbranch_execz .LBB4_5831
; %bb.5822:                             ;   in Loop: Header=BB4_5808 Depth=3
	v_mov_b32_e32 v75, 0
	s_mov_b32 s76, exec_lo
	v_cmpx_ne_u32_e32 0, v22
	s_cbranch_execz .LBB4_5830
; %bb.5823:                             ;   in Loop: Header=BB4_5808 Depth=3
	v_bfe_u32 v24, v22, 23, 8
	s_delay_alu instid0(VALU_DEP_1) | instskip(SKIP_1) | instid1(VALU_DEP_1)
	v_sub_nc_u32_e32 v2, 0x79, v24
	v_cmp_gt_u32_e64 s13, 0x7a, v24
	v_cndmask_b32_e64 v2, 0, v2, s13
	v_cmp_eq_u32_e64 s13, 0, v24
	s_delay_alu instid0(VALU_DEP_1) | instskip(SKIP_1) | instid1(VALU_DEP_2)
	v_cndmask_b32_e64 v25, v2, 0x78, s13
	v_and_b32_e32 v2, 0x7fffff, v22
	v_add_nc_u32_e32 v22, 20, v25
	s_delay_alu instid0(VALU_DEP_2) | instskip(SKIP_1) | instid1(VALU_DEP_3)
	v_or_b32_e32 v27, 0x800000, v2
	v_add_nc_u32_e32 v28, 19, v25
	v_lshlrev_b64_e64 v[22:23], v22, -1
	s_delay_alu instid0(VALU_DEP_3) | instskip(NEXT) | instid1(VALU_DEP_3)
	v_cndmask_b32_e64 v2, v27, v2, s13
	v_lshlrev_b64_e64 v[28:29], v28, 1
	s_delay_alu instid0(VALU_DEP_3) | instskip(NEXT) | instid1(VALU_DEP_3)
	v_bfi_b32 v59, v23, 0, 0
	v_bfi_b32 v58, v22, 0, v2
	v_lshrrev_b64 v[22:23], v25, v[2:3]
	s_delay_alu instid0(VALU_DEP_2) | instskip(NEXT) | instid1(VALU_DEP_2)
	v_cmp_eq_u64_e64 s14, v[58:59], v[28:29]
	v_mov_b64_e32 v[58:59], v[22:23]
	s_and_saveexec_b32 s77, s14
; %bb.5824:                             ;   in Loop: Header=BB4_5808 Depth=3
	v_bfe_u32 v2, v22, 20, 1
	s_delay_alu instid0(VALU_DEP_1) | instskip(NEXT) | instid1(VALU_DEP_1)
	v_add_nc_u64_e32 v[28:29], v[22:23], v[2:3]
	v_add_nc_u64_e32 v[58:59], -1, v[28:29]
; %bb.5825:                             ;   in Loop: Header=BB4_5808 Depth=3
	s_or_b32 exec_lo, exec_lo, s77
	v_add_nc_u32_e32 v2, 0xffffff81, v24
	v_lshrrev_b32_e32 v23, 23, v22
	s_mov_b32 s14, exec_lo
                                        ; implicit-def: $vgpr24
	s_delay_alu instid0(VALU_DEP_2) | instskip(NEXT) | instid1(VALU_DEP_1)
	v_cndmask_b32_e64 v2, v2, 0xffffff82, s13
	v_add3_u32 v25, v25, v2, v23
	v_and_b32_e32 v2, 0xfffff, v58
	s_delay_alu instid0(VALU_DEP_1) | instskip(NEXT) | instid1(VALU_DEP_1)
	v_dual_add_nc_u32 v27, 6, v25 :: v_dual_add_nc_u32 v2, v2, v22
                                        ; implicit-def: $vgpr22_vgpr23
	v_cmpx_ne_u32_e32 0, v27
	s_xor_b32 s14, exec_lo, s14
; %bb.5826:                             ;   in Loop: Header=BB4_5808 Depth=3
	s_delay_alu instid0(VALU_DEP_2) | instskip(SKIP_1) | instid1(VALU_DEP_1)
	v_cmp_lt_u64_e64 s13, 0xffffff, v[2:3]
	v_add_nc_u32_e32 v22, 7, v25
	v_cndmask_b32_e64 v24, v27, v22, s13
	v_cndmask_b32_e64 v22, 0, 1, s13
	s_delay_alu instid0(VALU_DEP_1)
	v_lshrrev_b64 v[22:23], v22, v[2:3]
; %bb.5827:                             ;   in Loop: Header=BB4_5808 Depth=3
	s_and_not1_saveexec_b32 s13, s14
; %bb.5828:                             ;   in Loop: Header=BB4_5808 Depth=3
	v_mov_b64_e32 v[22:23], v[2:3]
	v_bfe_u32 v24, v2, 23, 1
; %bb.5829:                             ;   in Loop: Header=BB4_5808 Depth=3
	s_or_b32 exec_lo, exec_lo, s13
	s_delay_alu instid0(VALU_DEP_2) | instskip(NEXT) | instid1(VALU_DEP_2)
	v_lshrrev_b64 v[22:23], 20, v[22:23]
	v_cmp_gt_i32_e64 s13, 16, v24
	v_min_i32_e32 v2, 15, v24
	v_cmp_eq_u32_e64 s14, 0, v24
	s_delay_alu instid0(VALU_DEP_2) | instskip(SKIP_1) | instid1(VALU_DEP_2)
	v_dual_cndmask_b32 v23, 0, v23, s13 :: v_dual_lshlrev_b32 v2, 3, v2
	v_cndmask_b32_e64 v22, 7, v22, s13
	v_and_b32_e32 v2, 0xf8, v2
	s_delay_alu instid0(VALU_DEP_2) | instskip(NEXT) | instid1(VALU_DEP_2)
	v_cmp_eq_u64_e64 s13, 0, v[22:23]
	v_and_or_b32 v2, v22, 7, v2
	s_and_b32 s13, s14, s13
	s_delay_alu instid0(VALU_DEP_1) | instid1(SALU_CYCLE_1)
	v_cndmask_b32_e64 v2, v2, 0, s13
	s_delay_alu instid0(VALU_DEP_1)
	v_or_b32_e32 v75, v2, v26
.LBB4_5830:                             ;   in Loop: Header=BB4_5808 Depth=3
	s_or_b32 exec_lo, exec_lo, s76
                                        ; implicit-def: $vgpr26
.LBB4_5831:                             ;   in Loop: Header=BB4_5808 Depth=3
	s_and_not1_saveexec_b32 s13, s75
; %bb.5832:                             ;   in Loop: Header=BB4_5808 Depth=3
	v_or_b32_e32 v75, 0x7e, v26
; %bb.5833:                             ;   in Loop: Header=BB4_5808 Depth=3
	s_or_b32 exec_lo, exec_lo, s13
                                        ; implicit-def: $vgpr23
.LBB4_5834:                             ;   in Loop: Header=BB4_5808 Depth=3
	s_and_not1_saveexec_b32 s13, s15
; %bb.5835:                             ;   in Loop: Header=BB4_5808 Depth=3
	v_or_b32_e32 v75, 0x7f, v23
; %bb.5836:                             ;   in Loop: Header=BB4_5808 Depth=3
	s_or_b32 exec_lo, exec_lo, s13
	v_lshrrev_b16 v2, 8, v12
	v_mov_b32_e32 v22, 0
	s_mov_b32 s14, exec_lo
	s_delay_alu instid0(VALU_DEP_2)
	v_cmpx_ne_u16_e32 0, v2
	s_cbranch_execz .LBB4_5844
; %bb.5837:                             ;   in Loop: Header=BB4_5808 Depth=3
	v_bfrev_b32_e32 v22, 1
	s_mov_b32 s15, exec_lo
	v_cmpx_ne_u16_e32 0x80, v2
	s_cbranch_execz .LBB4_5843
; %bb.5838:                             ;   in Loop: Header=BB4_5808 Depth=3
	v_and_b32_e32 v2, 0xffff, v2
	v_mov_b32_e32 v22, 0x7f800001
	s_mov_b32 s75, exec_lo
	s_delay_alu instid0(VALU_DEP_2) | instskip(NEXT) | instid1(VALU_DEP_1)
	v_and_b32_e32 v23, 0x7f, v2
	v_cmpx_ne_u32_e32 0x7f, v23
	s_cbranch_execz .LBB4_5842
; %bb.5839:                             ;   in Loop: Header=BB4_5808 Depth=3
	v_dual_lshrrev_b32 v24, 3, v23 :: v_dual_bitop2_b32 v2, 7, v2 bitop3:0x40
	v_cmp_gt_u32_e64 s13, 8, v23
	s_delay_alu instid0(VALU_DEP_2)
	v_mov_b64_e32 v[22:23], v[2:3]
	s_and_saveexec_b32 s76, s13
; %bb.5840:                             ;   in Loop: Header=BB4_5808 Depth=3
	v_clz_i32_u32_e32 v22, v2
	s_delay_alu instid0(VALU_DEP_1) | instskip(NEXT) | instid1(VALU_DEP_1)
	v_min_u32_e32 v24, 32, v22
	v_subrev_nc_u32_e32 v22, 28, v24
	s_delay_alu instid0(VALU_DEP_1) | instskip(NEXT) | instid1(VALU_DEP_1)
	v_lshlrev_b64_e32 v[22:23], v22, v[2:3]
	v_dual_sub_nc_u32 v24, 29, v24 :: v_dual_bitop2_b32 v22, 7, v22 bitop3:0x40
; %bb.5841:                             ;   in Loop: Header=BB4_5808 Depth=3
	s_or_b32 exec_lo, exec_lo, s76
	s_delay_alu instid0(VALU_DEP_1) | instskip(NEXT) | instid1(VALU_DEP_2)
	v_dual_lshlrev_b32 v2, 16, v12 :: v_dual_lshlrev_b32 v22, 20, v22
	v_lshl_add_u32 v23, v24, 23, 0x3c000000
	s_delay_alu instid0(VALU_DEP_2) | instskip(NEXT) | instid1(VALU_DEP_1)
	v_and_b32_e32 v2, 0x80000000, v2
	v_or3_b32 v22, v22, v2, v23
.LBB4_5842:                             ;   in Loop: Header=BB4_5808 Depth=3
	s_or_b32 exec_lo, exec_lo, s75
.LBB4_5843:                             ;   in Loop: Header=BB4_5808 Depth=3
	s_delay_alu instid0(SALU_CYCLE_1)
	s_or_b32 exec_lo, exec_lo, s15
.LBB4_5844:                             ;   in Loop: Header=BB4_5808 Depth=3
	s_delay_alu instid0(SALU_CYCLE_1) | instskip(SKIP_3) | instid1(VALU_DEP_1)
	s_or_b32 exec_lo, exec_lo, s14
	v_lshrrev_b16 v23, 8, v8
	s_mov_b32 s15, 0
	s_mov_b32 s14, exec_lo
	v_cmpx_lt_i16_e32 0x7f, v23
	s_xor_b32 s14, exec_lo, s14
	s_cbranch_execz .LBB4_5851
; %bb.5845:                             ;   in Loop: Header=BB4_5808 Depth=3
	s_mov_b32 s15, -1
	s_mov_b32 s75, exec_lo
	v_cmpx_eq_u16_e32 0x80, v23
; %bb.5846:                             ;   in Loop: Header=BB4_5808 Depth=3
	s_xor_b32 s15, exec_lo, -1
; %bb.5847:                             ;   in Loop: Header=BB4_5808 Depth=3
	s_or_b32 exec_lo, exec_lo, s75
	s_delay_alu instid0(SALU_CYCLE_1)
	s_and_b32 s15, s15, exec_lo
	s_or_saveexec_b32 s14, s14
	v_bfrev_b32_e32 v24, 1
	s_xor_b32 exec_lo, exec_lo, s14
	s_cbranch_execnz .LBB4_5852
.LBB4_5848:                             ;   in Loop: Header=BB4_5808 Depth=3
	s_or_b32 exec_lo, exec_lo, s14
	s_and_saveexec_b32 s14, s15
	s_cbranch_execnz .LBB4_5853
	s_branch .LBB4_5856
.LBB4_5849:                             ;   in Loop: Header=BB4_5808 Depth=3
	s_or_saveexec_b32 s15, s15
	v_bfrev_b32_e32 v22, 1
	s_xor_b32 exec_lo, exec_lo, s15
	s_cbranch_execz .LBB4_5818
.LBB4_5850:                             ;   in Loop: Header=BB4_5808 Depth=3
	v_cmp_ne_u16_e64 s13, 0, v23
	v_mov_b32_e32 v22, 0
	s_and_not1_b32 s14, s14, exec_lo
	s_and_b32 s13, s13, exec_lo
	s_delay_alu instid0(SALU_CYCLE_1)
	s_or_b32 s14, s14, s13
	s_or_b32 exec_lo, exec_lo, s15
	s_and_saveexec_b32 s15, s14
	s_cbranch_execnz .LBB4_5819
	s_branch .LBB4_5820
.LBB4_5851:                             ;   in Loop: Header=BB4_5808 Depth=3
	s_or_saveexec_b32 s14, s14
	v_bfrev_b32_e32 v24, 1
	s_xor_b32 exec_lo, exec_lo, s14
	s_cbranch_execz .LBB4_5848
.LBB4_5852:                             ;   in Loop: Header=BB4_5808 Depth=3
	v_cmp_ne_u16_e64 s13, 0, v23
	v_mov_b32_e32 v24, 0
	s_and_not1_b32 s15, s15, exec_lo
	s_and_b32 s13, s13, exec_lo
	s_delay_alu instid0(SALU_CYCLE_1)
	s_or_b32 s15, s15, s13
	s_or_b32 exec_lo, exec_lo, s14
	s_and_saveexec_b32 s14, s15
	s_cbranch_execz .LBB4_5856
.LBB4_5853:                             ;   in Loop: Header=BB4_5808 Depth=3
	v_and_b32_e32 v2, 0xffff, v23
	v_mov_b32_e32 v24, 0x7f800001
	s_mov_b32 s15, exec_lo
	s_delay_alu instid0(VALU_DEP_2) | instskip(NEXT) | instid1(VALU_DEP_1)
	v_and_b32_e32 v25, 0x7f, v2
	v_cmpx_ne_u32_e32 0x7f, v25
	s_cbranch_execz .LBB4_5855
; %bb.5854:                             ;   in Loop: Header=BB4_5808 Depth=3
	v_and_b32_e32 v24, 7, v2
	v_cmp_gt_u32_e64 s13, 8, v25
	s_delay_alu instid0(VALU_DEP_2) | instskip(NEXT) | instid1(VALU_DEP_1)
	v_clz_i32_u32_e32 v26, v24
	v_min_u32_e32 v28, 32, v26
	s_delay_alu instid0(VALU_DEP_1) | instskip(NEXT) | instid1(VALU_DEP_1)
	v_subrev_nc_u32_e32 v26, 28, v28
	v_lshlrev_b64_e32 v[26:27], v26, v[2:3]
	v_dual_lshrrev_b32 v2, 3, v25 :: v_dual_sub_nc_u32 v27, 29, v28
	s_delay_alu instid0(VALU_DEP_2) | instskip(NEXT) | instid1(VALU_DEP_1)
	v_dual_lshlrev_b32 v23, 24, v23 :: v_dual_bitop2_b32 v25, 7, v26 bitop3:0x40
	v_dual_cndmask_b32 v24, v24, v25, s13 :: v_dual_cndmask_b32 v2, v2, v27, s13
	s_delay_alu instid0(VALU_DEP_2) | instskip(NEXT) | instid1(VALU_DEP_2)
	v_and_b32_e32 v23, 0x80000000, v23
	v_lshlrev_b32_e32 v24, 20, v24
	s_delay_alu instid0(VALU_DEP_3) | instskip(NEXT) | instid1(VALU_DEP_1)
	v_lshl_add_u32 v2, v2, 23, 0x3c000000
	v_or3_b32 v24, v24, v23, v2
.LBB4_5855:                             ;   in Loop: Header=BB4_5808 Depth=3
	s_or_b32 exec_lo, exec_lo, s15
.LBB4_5856:                             ;   in Loop: Header=BB4_5808 Depth=3
	s_delay_alu instid0(SALU_CYCLE_1) | instskip(NEXT) | instid1(VALU_DEP_1)
	s_or_b32 exec_lo, exec_lo, s14
	v_add_f32_e32 v22, v22, v24
                                        ; implicit-def: $vgpr76
	s_mov_b32 s14, exec_lo
	s_delay_alu instid0(VALU_DEP_1) | instskip(SKIP_1) | instid1(VALU_DEP_2)
	v_and_b32_e32 v2, 0x7f800000, v22
	v_lshrrev_b32_e32 v23, 24, v22
	v_cmpx_ne_u64_e32 0x7f800000, v[2:3]
	s_xor_b32 s15, exec_lo, s14
	s_cbranch_execz .LBB4_5870
; %bb.5857:                             ;   in Loop: Header=BB4_5808 Depth=3
	v_and_b32_e32 v2, 0x7fffffff, v22
	v_and_b32_e32 v26, 0x80, v23
                                        ; implicit-def: $vgpr76
	s_mov_b32 s14, exec_lo
	s_delay_alu instid0(VALU_DEP_2)
	v_cmpx_gt_u64_e32 0x43e00001, v[2:3]
	s_xor_b32 s75, exec_lo, s14
	s_cbranch_execz .LBB4_5867
; %bb.5858:                             ;   in Loop: Header=BB4_5808 Depth=3
	v_mov_b32_e32 v76, 0
	s_mov_b32 s76, exec_lo
	v_cmpx_ne_u32_e32 0, v22
	s_cbranch_execz .LBB4_5866
; %bb.5859:                             ;   in Loop: Header=BB4_5808 Depth=3
	v_bfe_u32 v24, v22, 23, 8
	s_delay_alu instid0(VALU_DEP_1) | instskip(SKIP_1) | instid1(VALU_DEP_1)
	v_sub_nc_u32_e32 v2, 0x79, v24
	v_cmp_gt_u32_e64 s13, 0x7a, v24
	v_cndmask_b32_e64 v2, 0, v2, s13
	v_cmp_eq_u32_e64 s13, 0, v24
	s_delay_alu instid0(VALU_DEP_1) | instskip(SKIP_1) | instid1(VALU_DEP_2)
	v_cndmask_b32_e64 v25, v2, 0x78, s13
	v_and_b32_e32 v2, 0x7fffff, v22
	v_add_nc_u32_e32 v22, 20, v25
	s_delay_alu instid0(VALU_DEP_2) | instskip(SKIP_1) | instid1(VALU_DEP_3)
	v_or_b32_e32 v27, 0x800000, v2
	v_add_nc_u32_e32 v28, 19, v25
	v_lshlrev_b64_e64 v[22:23], v22, -1
	s_delay_alu instid0(VALU_DEP_3) | instskip(NEXT) | instid1(VALU_DEP_3)
	v_cndmask_b32_e64 v2, v27, v2, s13
	v_lshlrev_b64_e64 v[28:29], v28, 1
	s_delay_alu instid0(VALU_DEP_3) | instskip(NEXT) | instid1(VALU_DEP_3)
	v_bfi_b32 v59, v23, 0, 0
	v_bfi_b32 v58, v22, 0, v2
	v_lshrrev_b64 v[22:23], v25, v[2:3]
	s_delay_alu instid0(VALU_DEP_2) | instskip(NEXT) | instid1(VALU_DEP_2)
	v_cmp_eq_u64_e64 s14, v[58:59], v[28:29]
	v_mov_b64_e32 v[58:59], v[22:23]
	s_and_saveexec_b32 s77, s14
; %bb.5860:                             ;   in Loop: Header=BB4_5808 Depth=3
	v_bfe_u32 v2, v22, 20, 1
	s_delay_alu instid0(VALU_DEP_1) | instskip(NEXT) | instid1(VALU_DEP_1)
	v_add_nc_u64_e32 v[28:29], v[22:23], v[2:3]
	v_add_nc_u64_e32 v[58:59], -1, v[28:29]
; %bb.5861:                             ;   in Loop: Header=BB4_5808 Depth=3
	s_or_b32 exec_lo, exec_lo, s77
	v_add_nc_u32_e32 v2, 0xffffff81, v24
	v_lshrrev_b32_e32 v23, 23, v22
	s_mov_b32 s14, exec_lo
                                        ; implicit-def: $vgpr24
	s_delay_alu instid0(VALU_DEP_2) | instskip(NEXT) | instid1(VALU_DEP_1)
	v_cndmask_b32_e64 v2, v2, 0xffffff82, s13
	v_add3_u32 v25, v25, v2, v23
	v_and_b32_e32 v2, 0xfffff, v58
	s_delay_alu instid0(VALU_DEP_1) | instskip(NEXT) | instid1(VALU_DEP_1)
	v_dual_add_nc_u32 v27, 6, v25 :: v_dual_add_nc_u32 v2, v2, v22
                                        ; implicit-def: $vgpr22_vgpr23
	v_cmpx_ne_u32_e32 0, v27
	s_xor_b32 s14, exec_lo, s14
; %bb.5862:                             ;   in Loop: Header=BB4_5808 Depth=3
	s_delay_alu instid0(VALU_DEP_2) | instskip(SKIP_1) | instid1(VALU_DEP_1)
	v_cmp_lt_u64_e64 s13, 0xffffff, v[2:3]
	v_add_nc_u32_e32 v22, 7, v25
	v_cndmask_b32_e64 v24, v27, v22, s13
	v_cndmask_b32_e64 v22, 0, 1, s13
	s_delay_alu instid0(VALU_DEP_1)
	v_lshrrev_b64 v[22:23], v22, v[2:3]
; %bb.5863:                             ;   in Loop: Header=BB4_5808 Depth=3
	s_and_not1_saveexec_b32 s13, s14
; %bb.5864:                             ;   in Loop: Header=BB4_5808 Depth=3
	v_mov_b64_e32 v[22:23], v[2:3]
	v_bfe_u32 v24, v2, 23, 1
; %bb.5865:                             ;   in Loop: Header=BB4_5808 Depth=3
	s_or_b32 exec_lo, exec_lo, s13
	s_delay_alu instid0(VALU_DEP_2) | instskip(NEXT) | instid1(VALU_DEP_2)
	v_lshrrev_b64 v[22:23], 20, v[22:23]
	v_cmp_gt_i32_e64 s13, 16, v24
	v_min_i32_e32 v2, 15, v24
	v_cmp_eq_u32_e64 s14, 0, v24
	s_delay_alu instid0(VALU_DEP_2) | instskip(SKIP_1) | instid1(VALU_DEP_2)
	v_dual_cndmask_b32 v23, 0, v23, s13 :: v_dual_lshlrev_b32 v2, 3, v2
	v_cndmask_b32_e64 v22, 7, v22, s13
	v_and_b32_e32 v2, 0xf8, v2
	s_delay_alu instid0(VALU_DEP_2) | instskip(NEXT) | instid1(VALU_DEP_2)
	v_cmp_eq_u64_e64 s13, 0, v[22:23]
	v_and_or_b32 v2, v22, 7, v2
	s_and_b32 s13, s14, s13
	s_delay_alu instid0(VALU_DEP_1) | instid1(SALU_CYCLE_1)
	v_cndmask_b32_e64 v2, v2, 0, s13
	s_delay_alu instid0(VALU_DEP_1)
	v_or_b32_e32 v76, v2, v26
.LBB4_5866:                             ;   in Loop: Header=BB4_5808 Depth=3
	s_or_b32 exec_lo, exec_lo, s76
                                        ; implicit-def: $vgpr26
.LBB4_5867:                             ;   in Loop: Header=BB4_5808 Depth=3
	s_and_not1_saveexec_b32 s13, s75
; %bb.5868:                             ;   in Loop: Header=BB4_5808 Depth=3
	v_or_b32_e32 v76, 0x7e, v26
; %bb.5869:                             ;   in Loop: Header=BB4_5808 Depth=3
	s_or_b32 exec_lo, exec_lo, s13
                                        ; implicit-def: $vgpr23
.LBB4_5870:                             ;   in Loop: Header=BB4_5808 Depth=3
	s_and_not1_saveexec_b32 s13, s15
; %bb.5871:                             ;   in Loop: Header=BB4_5808 Depth=3
	v_or_b32_e32 v76, 0x7f, v23
; %bb.5872:                             ;   in Loop: Header=BB4_5808 Depth=3
	s_or_b32 exec_lo, exec_lo, s13
	v_dual_lshrrev_b32 v24, 16, v12 :: v_dual_mov_b32 v22, 0
	s_mov_b32 s14, exec_lo
	s_delay_alu instid0(VALU_DEP_1) | instskip(NEXT) | instid1(VALU_DEP_1)
	v_and_b32_e32 v2, 0xff, v24
	v_cmpx_ne_u16_e32 0, v2
	s_cbranch_execz .LBB4_5880
; %bb.5873:                             ;   in Loop: Header=BB4_5808 Depth=3
	v_bfrev_b32_e32 v22, 1
	s_mov_b32 s15, exec_lo
	v_cmpx_ne_u16_e32 0x80, v2
	s_cbranch_execz .LBB4_5879
; %bb.5874:                             ;   in Loop: Header=BB4_5808 Depth=3
	v_bfe_u32 v23, v12, 16, 7
	v_mov_b32_e32 v22, 0x7f800001
	s_mov_b32 s75, exec_lo
	s_delay_alu instid0(VALU_DEP_2)
	v_cmpx_ne_u32_e32 0x7f, v23
	s_cbranch_execz .LBB4_5878
; %bb.5875:                             ;   in Loop: Header=BB4_5808 Depth=3
	v_dual_lshrrev_b32 v25, 3, v23 :: v_dual_bitop2_b32 v2, 7, v24 bitop3:0x40
	v_cmp_gt_u32_e64 s13, 8, v23
	s_delay_alu instid0(VALU_DEP_2)
	v_mov_b64_e32 v[22:23], v[2:3]
	s_and_saveexec_b32 s76, s13
; %bb.5876:                             ;   in Loop: Header=BB4_5808 Depth=3
	v_clz_i32_u32_e32 v22, v2
	s_delay_alu instid0(VALU_DEP_1) | instskip(NEXT) | instid1(VALU_DEP_1)
	v_min_u32_e32 v25, 32, v22
	v_subrev_nc_u32_e32 v22, 28, v25
	s_delay_alu instid0(VALU_DEP_1) | instskip(NEXT) | instid1(VALU_DEP_1)
	v_lshlrev_b64_e32 v[22:23], v22, v[2:3]
	v_dual_sub_nc_u32 v25, 29, v25 :: v_dual_bitop2_b32 v22, 7, v22 bitop3:0x40
; %bb.5877:                             ;   in Loop: Header=BB4_5808 Depth=3
	s_or_b32 exec_lo, exec_lo, s76
	s_delay_alu instid0(VALU_DEP_1) | instskip(NEXT) | instid1(VALU_DEP_2)
	v_dual_lshlrev_b32 v2, 24, v24 :: v_dual_lshlrev_b32 v22, 20, v22
	v_lshl_add_u32 v23, v25, 23, 0x3c000000
	s_delay_alu instid0(VALU_DEP_2) | instskip(NEXT) | instid1(VALU_DEP_1)
	v_and_b32_e32 v2, 0x80000000, v2
	v_or3_b32 v22, v22, v2, v23
.LBB4_5878:                             ;   in Loop: Header=BB4_5808 Depth=3
	s_or_b32 exec_lo, exec_lo, s75
.LBB4_5879:                             ;   in Loop: Header=BB4_5808 Depth=3
	s_delay_alu instid0(SALU_CYCLE_1)
	s_or_b32 exec_lo, exec_lo, s15
.LBB4_5880:                             ;   in Loop: Header=BB4_5808 Depth=3
	s_delay_alu instid0(SALU_CYCLE_1) | instskip(SKIP_3) | instid1(VALU_DEP_1)
	s_or_b32 exec_lo, exec_lo, s14
	v_lshrrev_b32_e32 v2, 16, v8
	s_mov_b32 s15, 0
	s_mov_b32 s14, exec_lo
	v_and_b32_e32 v24, 0xff, v2
	s_delay_alu instid0(VALU_DEP_1)
	v_cmpx_lt_i16_e32 0x7f, v24
	s_xor_b32 s14, exec_lo, s14
	s_cbranch_execz .LBB4_5885
; %bb.5881:                             ;   in Loop: Header=BB4_5808 Depth=3
	s_mov_b32 s15, -1
	s_mov_b32 s75, exec_lo
	v_cmpx_eq_u16_e32 0x80, v24
; %bb.5882:                             ;   in Loop: Header=BB4_5808 Depth=3
	s_xor_b32 s15, exec_lo, -1
; %bb.5883:                             ;   in Loop: Header=BB4_5808 Depth=3
	s_or_b32 exec_lo, exec_lo, s75
	s_delay_alu instid0(SALU_CYCLE_1)
	s_and_b32 s15, s15, exec_lo
                                        ; implicit-def: $vgpr24
	s_or_saveexec_b32 s14, s14
	v_bfrev_b32_e32 v23, 1
	s_xor_b32 exec_lo, exec_lo, s14
	s_cbranch_execnz .LBB4_5886
.LBB4_5884:                             ;   in Loop: Header=BB4_5808 Depth=3
	s_or_b32 exec_lo, exec_lo, s14
	s_and_saveexec_b32 s14, s15
	s_cbranch_execnz .LBB4_5887
	s_branch .LBB4_5890
.LBB4_5885:                             ;   in Loop: Header=BB4_5808 Depth=3
	s_or_saveexec_b32 s14, s14
	v_bfrev_b32_e32 v23, 1
	s_xor_b32 exec_lo, exec_lo, s14
	s_cbranch_execz .LBB4_5884
.LBB4_5886:                             ;   in Loop: Header=BB4_5808 Depth=3
	v_cmp_ne_u16_e64 s13, 0, v24
	v_mov_b32_e32 v23, 0
	s_and_not1_b32 s15, s15, exec_lo
	s_and_b32 s13, s13, exec_lo
	s_delay_alu instid0(SALU_CYCLE_1)
	s_or_b32 s15, s15, s13
	s_or_b32 exec_lo, exec_lo, s14
	s_and_saveexec_b32 s14, s15
	s_cbranch_execz .LBB4_5890
.LBB4_5887:                             ;   in Loop: Header=BB4_5808 Depth=3
	v_and_b32_e32 v24, 0x7f, v2
	v_mov_b32_e32 v23, 0x7f800001
	s_mov_b32 s15, exec_lo
	s_delay_alu instid0(VALU_DEP_2)
	v_cmpx_ne_u32_e32 0x7f, v24
	s_cbranch_execz .LBB4_5889
; %bb.5888:                             ;   in Loop: Header=BB4_5808 Depth=3
	v_and_b32_e32 v23, 7, v2
	v_cmp_gt_u32_e64 s13, 8, v24
	s_delay_alu instid0(VALU_DEP_2) | instskip(NEXT) | instid1(VALU_DEP_1)
	v_clz_i32_u32_e32 v25, v23
	v_min_u32_e32 v25, 32, v25
	s_delay_alu instid0(VALU_DEP_1) | instskip(NEXT) | instid1(VALU_DEP_1)
	v_subrev_nc_u32_e32 v26, 28, v25
	v_lshlrev_b64_e32 v[26:27], v26, v[2:3]
	v_dual_lshrrev_b32 v27, 3, v24 :: v_dual_sub_nc_u32 v25, 29, v25
	s_delay_alu instid0(VALU_DEP_2) | instskip(NEXT) | instid1(VALU_DEP_2)
	v_and_b32_e32 v24, 7, v26
	v_dual_lshlrev_b32 v2, 24, v2 :: v_dual_cndmask_b32 v25, v27, v25, s13
	s_delay_alu instid0(VALU_DEP_2) | instskip(NEXT) | instid1(VALU_DEP_2)
	v_cndmask_b32_e64 v23, v23, v24, s13
	v_and_b32_e32 v2, 0x80000000, v2
	s_delay_alu instid0(VALU_DEP_3) | instskip(NEXT) | instid1(VALU_DEP_3)
	v_lshl_add_u32 v24, v25, 23, 0x3c000000
	v_lshlrev_b32_e32 v23, 20, v23
	s_delay_alu instid0(VALU_DEP_1)
	v_or3_b32 v23, v23, v2, v24
.LBB4_5889:                             ;   in Loop: Header=BB4_5808 Depth=3
	s_or_b32 exec_lo, exec_lo, s15
.LBB4_5890:                             ;   in Loop: Header=BB4_5808 Depth=3
	s_delay_alu instid0(SALU_CYCLE_1) | instskip(NEXT) | instid1(VALU_DEP_1)
	s_or_b32 exec_lo, exec_lo, s14
	v_add_f32_e32 v22, v22, v23
                                        ; implicit-def: $vgpr77
	s_mov_b32 s14, exec_lo
	s_delay_alu instid0(VALU_DEP_1) | instskip(SKIP_1) | instid1(VALU_DEP_2)
	v_and_b32_e32 v2, 0x7f800000, v22
	v_lshrrev_b32_e32 v23, 24, v22
	v_cmpx_ne_u64_e32 0x7f800000, v[2:3]
	s_xor_b32 s15, exec_lo, s14
	s_cbranch_execz .LBB4_5904
; %bb.5891:                             ;   in Loop: Header=BB4_5808 Depth=3
	v_and_b32_e32 v2, 0x7fffffff, v22
	v_and_b32_e32 v26, 0x80, v23
                                        ; implicit-def: $vgpr77
	s_mov_b32 s14, exec_lo
	s_delay_alu instid0(VALU_DEP_2)
	v_cmpx_gt_u64_e32 0x43e00001, v[2:3]
	s_xor_b32 s75, exec_lo, s14
	s_cbranch_execz .LBB4_5901
; %bb.5892:                             ;   in Loop: Header=BB4_5808 Depth=3
	v_mov_b32_e32 v77, 0
	s_mov_b32 s76, exec_lo
	v_cmpx_ne_u32_e32 0, v22
	s_cbranch_execz .LBB4_5900
; %bb.5893:                             ;   in Loop: Header=BB4_5808 Depth=3
	v_bfe_u32 v24, v22, 23, 8
	s_delay_alu instid0(VALU_DEP_1) | instskip(SKIP_1) | instid1(VALU_DEP_1)
	v_sub_nc_u32_e32 v2, 0x79, v24
	v_cmp_gt_u32_e64 s13, 0x7a, v24
	v_cndmask_b32_e64 v2, 0, v2, s13
	v_cmp_eq_u32_e64 s13, 0, v24
	s_delay_alu instid0(VALU_DEP_1) | instskip(SKIP_1) | instid1(VALU_DEP_2)
	v_cndmask_b32_e64 v25, v2, 0x78, s13
	v_and_b32_e32 v2, 0x7fffff, v22
	v_add_nc_u32_e32 v22, 20, v25
	s_delay_alu instid0(VALU_DEP_2) | instskip(SKIP_1) | instid1(VALU_DEP_3)
	v_or_b32_e32 v27, 0x800000, v2
	v_add_nc_u32_e32 v28, 19, v25
	v_lshlrev_b64_e64 v[22:23], v22, -1
	s_delay_alu instid0(VALU_DEP_3) | instskip(NEXT) | instid1(VALU_DEP_3)
	v_cndmask_b32_e64 v2, v27, v2, s13
	v_lshlrev_b64_e64 v[28:29], v28, 1
	s_delay_alu instid0(VALU_DEP_3) | instskip(NEXT) | instid1(VALU_DEP_3)
	v_bfi_b32 v59, v23, 0, 0
	v_bfi_b32 v58, v22, 0, v2
	v_lshrrev_b64 v[22:23], v25, v[2:3]
	s_delay_alu instid0(VALU_DEP_2) | instskip(NEXT) | instid1(VALU_DEP_2)
	v_cmp_eq_u64_e64 s14, v[58:59], v[28:29]
	v_mov_b64_e32 v[58:59], v[22:23]
	s_and_saveexec_b32 s77, s14
; %bb.5894:                             ;   in Loop: Header=BB4_5808 Depth=3
	v_bfe_u32 v2, v22, 20, 1
	s_delay_alu instid0(VALU_DEP_1) | instskip(NEXT) | instid1(VALU_DEP_1)
	v_add_nc_u64_e32 v[28:29], v[22:23], v[2:3]
	v_add_nc_u64_e32 v[58:59], -1, v[28:29]
; %bb.5895:                             ;   in Loop: Header=BB4_5808 Depth=3
	s_or_b32 exec_lo, exec_lo, s77
	v_add_nc_u32_e32 v2, 0xffffff81, v24
	v_lshrrev_b32_e32 v23, 23, v22
	s_mov_b32 s14, exec_lo
                                        ; implicit-def: $vgpr24
	s_delay_alu instid0(VALU_DEP_2) | instskip(NEXT) | instid1(VALU_DEP_1)
	v_cndmask_b32_e64 v2, v2, 0xffffff82, s13
	v_add3_u32 v25, v25, v2, v23
	v_and_b32_e32 v2, 0xfffff, v58
	s_delay_alu instid0(VALU_DEP_1) | instskip(NEXT) | instid1(VALU_DEP_1)
	v_dual_add_nc_u32 v27, 6, v25 :: v_dual_add_nc_u32 v2, v2, v22
                                        ; implicit-def: $vgpr22_vgpr23
	v_cmpx_ne_u32_e32 0, v27
	s_xor_b32 s14, exec_lo, s14
; %bb.5896:                             ;   in Loop: Header=BB4_5808 Depth=3
	s_delay_alu instid0(VALU_DEP_2) | instskip(SKIP_1) | instid1(VALU_DEP_1)
	v_cmp_lt_u64_e64 s13, 0xffffff, v[2:3]
	v_add_nc_u32_e32 v22, 7, v25
	v_cndmask_b32_e64 v24, v27, v22, s13
	v_cndmask_b32_e64 v22, 0, 1, s13
	s_delay_alu instid0(VALU_DEP_1)
	v_lshrrev_b64 v[22:23], v22, v[2:3]
; %bb.5897:                             ;   in Loop: Header=BB4_5808 Depth=3
	s_and_not1_saveexec_b32 s13, s14
; %bb.5898:                             ;   in Loop: Header=BB4_5808 Depth=3
	v_mov_b64_e32 v[22:23], v[2:3]
	v_bfe_u32 v24, v2, 23, 1
; %bb.5899:                             ;   in Loop: Header=BB4_5808 Depth=3
	s_or_b32 exec_lo, exec_lo, s13
	s_delay_alu instid0(VALU_DEP_2) | instskip(NEXT) | instid1(VALU_DEP_2)
	v_lshrrev_b64 v[22:23], 20, v[22:23]
	v_cmp_gt_i32_e64 s13, 16, v24
	v_min_i32_e32 v2, 15, v24
	v_cmp_eq_u32_e64 s14, 0, v24
	s_delay_alu instid0(VALU_DEP_2) | instskip(SKIP_1) | instid1(VALU_DEP_2)
	v_dual_cndmask_b32 v23, 0, v23, s13 :: v_dual_lshlrev_b32 v2, 3, v2
	v_cndmask_b32_e64 v22, 7, v22, s13
	v_and_b32_e32 v2, 0xf8, v2
	s_delay_alu instid0(VALU_DEP_2) | instskip(NEXT) | instid1(VALU_DEP_2)
	v_cmp_eq_u64_e64 s13, 0, v[22:23]
	v_and_or_b32 v2, v22, 7, v2
	s_and_b32 s13, s14, s13
	s_delay_alu instid0(VALU_DEP_1) | instid1(SALU_CYCLE_1)
	v_cndmask_b32_e64 v2, v2, 0, s13
	s_delay_alu instid0(VALU_DEP_1)
	v_or_b32_e32 v77, v2, v26
.LBB4_5900:                             ;   in Loop: Header=BB4_5808 Depth=3
	s_or_b32 exec_lo, exec_lo, s76
                                        ; implicit-def: $vgpr26
.LBB4_5901:                             ;   in Loop: Header=BB4_5808 Depth=3
	s_and_not1_saveexec_b32 s13, s75
; %bb.5902:                             ;   in Loop: Header=BB4_5808 Depth=3
	v_or_b32_e32 v77, 0x7e, v26
; %bb.5903:                             ;   in Loop: Header=BB4_5808 Depth=3
	s_or_b32 exec_lo, exec_lo, s13
                                        ; implicit-def: $vgpr23
.LBB4_5904:                             ;   in Loop: Header=BB4_5808 Depth=3
	s_and_not1_saveexec_b32 s13, s15
; %bb.5905:                             ;   in Loop: Header=BB4_5808 Depth=3
	v_or_b32_e32 v77, 0x7f, v23
; %bb.5906:                             ;   in Loop: Header=BB4_5808 Depth=3
	s_or_b32 exec_lo, exec_lo, s13
	v_mov_b32_e32 v22, 0
	s_mov_b32 s14, exec_lo
	v_cmpx_lt_u32_e32 0xffffff, v12
	s_cbranch_execz .LBB4_5914
; %bb.5907:                             ;   in Loop: Header=BB4_5808 Depth=3
	v_lshrrev_b32_e32 v24, 24, v12
	v_bfrev_b32_e32 v22, 1
	s_mov_b32 s15, exec_lo
	s_delay_alu instid0(VALU_DEP_2)
	v_cmpx_ne_u32_e32 0x80, v24
	s_cbranch_execz .LBB4_5913
; %bb.5908:                             ;   in Loop: Header=BB4_5808 Depth=3
	v_bfe_u32 v23, v12, 24, 7
	v_mov_b32_e32 v22, 0x7f800001
	s_mov_b32 s75, exec_lo
	s_delay_alu instid0(VALU_DEP_2)
	v_cmpx_ne_u32_e32 0x7f, v23
	s_cbranch_execz .LBB4_5912
; %bb.5909:                             ;   in Loop: Header=BB4_5808 Depth=3
	v_dual_lshrrev_b32 v25, 3, v23 :: v_dual_bitop2_b32 v2, 7, v24 bitop3:0x40
	v_cmp_gt_u32_e64 s13, 8, v23
	s_delay_alu instid0(VALU_DEP_2)
	v_mov_b64_e32 v[22:23], v[2:3]
	s_and_saveexec_b32 s76, s13
; %bb.5910:                             ;   in Loop: Header=BB4_5808 Depth=3
	v_clz_i32_u32_e32 v22, v2
	s_delay_alu instid0(VALU_DEP_1) | instskip(NEXT) | instid1(VALU_DEP_1)
	v_min_u32_e32 v25, 32, v22
	v_subrev_nc_u32_e32 v22, 28, v25
	s_delay_alu instid0(VALU_DEP_1) | instskip(NEXT) | instid1(VALU_DEP_1)
	v_lshlrev_b64_e32 v[22:23], v22, v[2:3]
	v_dual_sub_nc_u32 v25, 29, v25 :: v_dual_bitop2_b32 v22, 7, v22 bitop3:0x40
; %bb.5911:                             ;   in Loop: Header=BB4_5808 Depth=3
	s_or_b32 exec_lo, exec_lo, s76
	s_delay_alu instid0(VALU_DEP_1) | instskip(NEXT) | instid1(VALU_DEP_2)
	v_dual_lshlrev_b32 v2, 24, v24 :: v_dual_lshlrev_b32 v22, 20, v22
	v_lshl_add_u32 v23, v25, 23, 0x3c000000
	s_delay_alu instid0(VALU_DEP_2) | instskip(NEXT) | instid1(VALU_DEP_1)
	v_and_b32_e32 v2, 0x80000000, v2
	v_or3_b32 v22, v22, v2, v23
.LBB4_5912:                             ;   in Loop: Header=BB4_5808 Depth=3
	s_or_b32 exec_lo, exec_lo, s75
.LBB4_5913:                             ;   in Loop: Header=BB4_5808 Depth=3
	s_delay_alu instid0(SALU_CYCLE_1)
	s_or_b32 exec_lo, exec_lo, s15
.LBB4_5914:                             ;   in Loop: Header=BB4_5808 Depth=3
	s_delay_alu instid0(SALU_CYCLE_1) | instskip(SKIP_3) | instid1(VALU_DEP_3)
	s_or_b32 exec_lo, exec_lo, s14
	v_lshrrev_b32_e32 v2, 24, v8
	v_bfe_u32 v23, v8, 24, 7
	v_cmp_gt_u32_e64 s15, 0x1000000, v8
	v_cmp_eq_u32_e64 s13, 0x80, v2
	s_delay_alu instid0(VALU_DEP_3) | instskip(NEXT) | instid1(VALU_DEP_2)
	v_cmp_eq_u32_e64 s14, 0x7f, v23
	v_cndmask_b32_e64 v24, 0x7f800001, v91, s13
	s_or_b32 s13, s13, s14
	s_delay_alu instid0(SALU_CYCLE_1) | instskip(NEXT) | instid1(VALU_DEP_1)
	s_nor_b32 s13, s15, s13
	v_cndmask_b32_e64 v24, v24, 0, s15
	s_and_saveexec_b32 s14, s13
	s_cbranch_execz .LBB4_5916
; %bb.5915:                             ;   in Loop: Header=BB4_5808 Depth=3
	v_and_b32_e32 v26, 7, v2
	v_cmp_gt_u32_e64 s13, 8, v23
	s_delay_alu instid0(VALU_DEP_2) | instskip(NEXT) | instid1(VALU_DEP_1)
	v_clz_i32_u32_e32 v24, v26
	v_min_u32_e32 v27, 32, v24
	s_delay_alu instid0(VALU_DEP_1) | instskip(NEXT) | instid1(VALU_DEP_1)
	v_subrev_nc_u32_e32 v24, 28, v27
	v_lshlrev_b64_e32 v[24:25], v24, v[2:3]
	v_lshrrev_b32_e32 v25, 3, v23
	v_dual_sub_nc_u32 v27, 29, v27 :: v_dual_lshlrev_b32 v2, 24, v2
	s_delay_alu instid0(VALU_DEP_1) | instskip(NEXT) | instid1(VALU_DEP_2)
	v_dual_cndmask_b32 v24, v25, v27, s13 :: v_dual_bitop2_b32 v23, 7, v24 bitop3:0x40
	v_and_b32_e32 v2, 0x80000000, v2
	s_delay_alu instid0(VALU_DEP_2) | instskip(NEXT) | instid1(VALU_DEP_3)
	v_cndmask_b32_e64 v23, v26, v23, s13
	v_lshl_add_u32 v24, v24, 23, 0x3c000000
	s_delay_alu instid0(VALU_DEP_2) | instskip(NEXT) | instid1(VALU_DEP_1)
	v_lshlrev_b32_e32 v23, 20, v23
	v_or3_b32 v24, v23, v2, v24
.LBB4_5916:                             ;   in Loop: Header=BB4_5808 Depth=3
	s_or_b32 exec_lo, exec_lo, s14
	s_delay_alu instid0(VALU_DEP_1) | instskip(SKIP_1) | instid1(VALU_DEP_1)
	v_add_f32_e32 v22, v22, v24
                                        ; implicit-def: $vgpr78
	s_mov_b32 s14, exec_lo
	v_and_b32_e32 v2, 0x7f800000, v22
	v_lshrrev_b32_e32 v23, 24, v22
	s_delay_alu instid0(VALU_DEP_2)
	v_cmpx_ne_u64_e32 0x7f800000, v[2:3]
	s_xor_b32 s15, exec_lo, s14
	s_cbranch_execz .LBB4_5930
; %bb.5917:                             ;   in Loop: Header=BB4_5808 Depth=3
	v_and_b32_e32 v2, 0x7fffffff, v22
	v_and_b32_e32 v26, 0x80, v23
                                        ; implicit-def: $vgpr78
	s_mov_b32 s14, exec_lo
	s_delay_alu instid0(VALU_DEP_2)
	v_cmpx_gt_u64_e32 0x43e00001, v[2:3]
	s_xor_b32 s75, exec_lo, s14
	s_cbranch_execz .LBB4_5927
; %bb.5918:                             ;   in Loop: Header=BB4_5808 Depth=3
	v_mov_b32_e32 v78, 0
	s_mov_b32 s76, exec_lo
	v_cmpx_ne_u32_e32 0, v22
	s_cbranch_execz .LBB4_5926
; %bb.5919:                             ;   in Loop: Header=BB4_5808 Depth=3
	v_bfe_u32 v24, v22, 23, 8
	s_delay_alu instid0(VALU_DEP_1) | instskip(SKIP_1) | instid1(VALU_DEP_1)
	v_sub_nc_u32_e32 v2, 0x79, v24
	v_cmp_gt_u32_e64 s13, 0x7a, v24
	v_cndmask_b32_e64 v2, 0, v2, s13
	v_cmp_eq_u32_e64 s13, 0, v24
	s_delay_alu instid0(VALU_DEP_1) | instskip(SKIP_1) | instid1(VALU_DEP_2)
	v_cndmask_b32_e64 v25, v2, 0x78, s13
	v_and_b32_e32 v2, 0x7fffff, v22
	v_add_nc_u32_e32 v22, 20, v25
	s_delay_alu instid0(VALU_DEP_2) | instskip(SKIP_1) | instid1(VALU_DEP_3)
	v_or_b32_e32 v27, 0x800000, v2
	v_add_nc_u32_e32 v28, 19, v25
	v_lshlrev_b64_e64 v[22:23], v22, -1
	s_delay_alu instid0(VALU_DEP_3) | instskip(NEXT) | instid1(VALU_DEP_3)
	v_cndmask_b32_e64 v2, v27, v2, s13
	v_lshlrev_b64_e64 v[28:29], v28, 1
	s_delay_alu instid0(VALU_DEP_3) | instskip(NEXT) | instid1(VALU_DEP_3)
	v_bfi_b32 v59, v23, 0, 0
	v_bfi_b32 v58, v22, 0, v2
	v_lshrrev_b64 v[22:23], v25, v[2:3]
	s_delay_alu instid0(VALU_DEP_2) | instskip(NEXT) | instid1(VALU_DEP_2)
	v_cmp_eq_u64_e64 s14, v[58:59], v[28:29]
	v_mov_b64_e32 v[58:59], v[22:23]
	s_and_saveexec_b32 s77, s14
; %bb.5920:                             ;   in Loop: Header=BB4_5808 Depth=3
	v_bfe_u32 v2, v22, 20, 1
	s_delay_alu instid0(VALU_DEP_1) | instskip(NEXT) | instid1(VALU_DEP_1)
	v_add_nc_u64_e32 v[28:29], v[22:23], v[2:3]
	v_add_nc_u64_e32 v[58:59], -1, v[28:29]
; %bb.5921:                             ;   in Loop: Header=BB4_5808 Depth=3
	s_or_b32 exec_lo, exec_lo, s77
	v_add_nc_u32_e32 v2, 0xffffff81, v24
	v_lshrrev_b32_e32 v23, 23, v22
	s_mov_b32 s14, exec_lo
                                        ; implicit-def: $vgpr24
	s_delay_alu instid0(VALU_DEP_2) | instskip(NEXT) | instid1(VALU_DEP_1)
	v_cndmask_b32_e64 v2, v2, 0xffffff82, s13
	v_add3_u32 v25, v25, v2, v23
	v_and_b32_e32 v2, 0xfffff, v58
	s_delay_alu instid0(VALU_DEP_1) | instskip(NEXT) | instid1(VALU_DEP_1)
	v_dual_add_nc_u32 v27, 6, v25 :: v_dual_add_nc_u32 v2, v2, v22
                                        ; implicit-def: $vgpr22_vgpr23
	v_cmpx_ne_u32_e32 0, v27
	s_xor_b32 s14, exec_lo, s14
; %bb.5922:                             ;   in Loop: Header=BB4_5808 Depth=3
	s_delay_alu instid0(VALU_DEP_2) | instskip(SKIP_1) | instid1(VALU_DEP_1)
	v_cmp_lt_u64_e64 s13, 0xffffff, v[2:3]
	v_add_nc_u32_e32 v22, 7, v25
	v_cndmask_b32_e64 v24, v27, v22, s13
	v_cndmask_b32_e64 v22, 0, 1, s13
	s_delay_alu instid0(VALU_DEP_1)
	v_lshrrev_b64 v[22:23], v22, v[2:3]
; %bb.5923:                             ;   in Loop: Header=BB4_5808 Depth=3
	s_and_not1_saveexec_b32 s13, s14
; %bb.5924:                             ;   in Loop: Header=BB4_5808 Depth=3
	v_mov_b64_e32 v[22:23], v[2:3]
	v_bfe_u32 v24, v2, 23, 1
; %bb.5925:                             ;   in Loop: Header=BB4_5808 Depth=3
	s_or_b32 exec_lo, exec_lo, s13
	s_delay_alu instid0(VALU_DEP_2) | instskip(NEXT) | instid1(VALU_DEP_2)
	v_lshrrev_b64 v[22:23], 20, v[22:23]
	v_cmp_gt_i32_e64 s13, 16, v24
	v_min_i32_e32 v2, 15, v24
	v_cmp_eq_u32_e64 s14, 0, v24
	s_delay_alu instid0(VALU_DEP_2) | instskip(SKIP_1) | instid1(VALU_DEP_2)
	v_dual_cndmask_b32 v23, 0, v23, s13 :: v_dual_lshlrev_b32 v2, 3, v2
	v_cndmask_b32_e64 v22, 7, v22, s13
	v_and_b32_e32 v2, 0xf8, v2
	s_delay_alu instid0(VALU_DEP_2) | instskip(NEXT) | instid1(VALU_DEP_2)
	v_cmp_eq_u64_e64 s13, 0, v[22:23]
	v_and_or_b32 v2, v22, 7, v2
	s_and_b32 s13, s14, s13
	s_delay_alu instid0(VALU_DEP_1) | instid1(SALU_CYCLE_1)
	v_cndmask_b32_e64 v2, v2, 0, s13
	s_delay_alu instid0(VALU_DEP_1)
	v_or_b32_e32 v78, v2, v26
.LBB4_5926:                             ;   in Loop: Header=BB4_5808 Depth=3
	s_or_b32 exec_lo, exec_lo, s76
                                        ; implicit-def: $vgpr26
.LBB4_5927:                             ;   in Loop: Header=BB4_5808 Depth=3
	s_and_not1_saveexec_b32 s13, s75
; %bb.5928:                             ;   in Loop: Header=BB4_5808 Depth=3
	v_or_b32_e32 v78, 0x7e, v26
; %bb.5929:                             ;   in Loop: Header=BB4_5808 Depth=3
	s_or_b32 exec_lo, exec_lo, s13
                                        ; implicit-def: $vgpr23
.LBB4_5930:                             ;   in Loop: Header=BB4_5808 Depth=3
	s_and_not1_saveexec_b32 s13, s15
; %bb.5931:                             ;   in Loop: Header=BB4_5808 Depth=3
	v_or_b32_e32 v78, 0x7f, v23
; %bb.5932:                             ;   in Loop: Header=BB4_5808 Depth=3
	s_or_b32 exec_lo, exec_lo, s13
	v_and_b32_e32 v22, 0xff, v13
	v_dual_mov_b32 v2, v13 :: v_dual_mov_b32 v26, 0
	s_mov_b32 s14, exec_lo
	s_delay_alu instid0(VALU_DEP_2)
	v_cmpx_ne_u16_e32 0, v22
	s_cbranch_execz .LBB4_5938
; %bb.5933:                             ;   in Loop: Header=BB4_5808 Depth=3
	v_bfrev_b32_e32 v26, 1
	s_mov_b32 s15, exec_lo
	v_cmpx_ne_u16_e32 0x80, v22
	s_cbranch_execz .LBB4_5937
; %bb.5934:                             ;   in Loop: Header=BB4_5808 Depth=3
	v_and_b32_e32 v22, 0x7f, v13
	v_mov_b32_e32 v26, 0x7f800001
	s_mov_b32 s75, exec_lo
	s_delay_alu instid0(VALU_DEP_2)
	v_cmpx_ne_u32_e32 0x7f, v22
	s_cbranch_execz .LBB4_5936
; %bb.5935:                             ;   in Loop: Header=BB4_5808 Depth=3
	v_dual_lshrrev_b32 v24, 3, v22 :: v_dual_bitop2_b32 v23, 7, v13 bitop3:0x40
	v_cmp_gt_u32_e64 s13, 8, v22
	s_delay_alu instid0(VALU_DEP_2) | instskip(NEXT) | instid1(VALU_DEP_1)
	v_clz_i32_u32_e32 v23, v23
	v_min_u32_e32 v23, 32, v23
	s_delay_alu instid0(VALU_DEP_1) | instskip(NEXT) | instid1(VALU_DEP_1)
	v_subrev_nc_u32_e32 v25, 28, v23
	v_dual_sub_nc_u32 v23, 29, v23 :: v_dual_cndmask_b32 v22, 0, v25, s13
	s_delay_alu instid0(VALU_DEP_1) | instskip(NEXT) | instid1(VALU_DEP_2)
	v_cndmask_b32_e64 v24, v24, v23, s13
	v_lshlrev_b64_e32 v[22:23], v22, v[2:3]
	v_lshlrev_b32_e32 v23, 24, v2
	s_delay_alu instid0(VALU_DEP_3) | instskip(NEXT) | instid1(VALU_DEP_2)
	v_lshl_add_u32 v24, v24, 23, 0x3c000000
	v_and_b32_e32 v23, 0x80000000, v23
	s_delay_alu instid0(VALU_DEP_4) | instskip(NEXT) | instid1(VALU_DEP_1)
	v_lshlrev_b32_e32 v22, 20, v22
	v_and_b32_e32 v22, 0x700000, v22
	s_delay_alu instid0(VALU_DEP_1)
	v_or3_b32 v26, v22, v23, v24
.LBB4_5936:                             ;   in Loop: Header=BB4_5808 Depth=3
	s_or_b32 exec_lo, exec_lo, s75
.LBB4_5937:                             ;   in Loop: Header=BB4_5808 Depth=3
	s_delay_alu instid0(SALU_CYCLE_1)
	s_or_b32 exec_lo, exec_lo, s15
.LBB4_5938:                             ;   in Loop: Header=BB4_5808 Depth=3
	s_delay_alu instid0(SALU_CYCLE_1) | instskip(SKIP_4) | instid1(VALU_DEP_2)
	s_or_b32 exec_lo, exec_lo, s14
	v_and_b32_e32 v23, 0xff, v9
	v_mov_b32_e32 v22, v9
	s_mov_b32 s14, 0
	s_mov_b32 s15, exec_lo
	v_cmpx_lt_i16_e32 0x7f, v23
	s_xor_b32 s15, exec_lo, s15
	s_cbranch_execz .LBB4_5973
; %bb.5939:                             ;   in Loop: Header=BB4_5808 Depth=3
	s_mov_b32 s14, -1
	s_mov_b32 s75, exec_lo
	v_cmpx_eq_u16_e32 0x80, v23
; %bb.5940:                             ;   in Loop: Header=BB4_5808 Depth=3
	s_xor_b32 s14, exec_lo, -1
; %bb.5941:                             ;   in Loop: Header=BB4_5808 Depth=3
	s_or_b32 exec_lo, exec_lo, s75
	s_delay_alu instid0(SALU_CYCLE_1)
	s_and_b32 s14, s14, exec_lo
                                        ; implicit-def: $vgpr23
	s_or_saveexec_b32 s15, s15
	v_bfrev_b32_e32 v24, 1
	s_xor_b32 exec_lo, exec_lo, s15
	s_cbranch_execnz .LBB4_5974
.LBB4_5942:                             ;   in Loop: Header=BB4_5808 Depth=3
	s_or_b32 exec_lo, exec_lo, s15
	v_mov_b32_e32 v23, v3
	s_and_saveexec_b32 s15, s14
	s_cbranch_execz .LBB4_5944
.LBB4_5943:                             ;   in Loop: Header=BB4_5808 Depth=3
	v_and_b32_e32 v24, 7, v9
	v_and_b32_e32 v27, 0x7f, v9
	v_bfe_u32 v25, v9, 3, 4
	s_delay_alu instid0(VALU_DEP_3) | instskip(NEXT) | instid1(VALU_DEP_3)
	v_clz_i32_u32_e32 v24, v24
	v_cmp_gt_u32_e64 s13, 8, v27
	s_delay_alu instid0(VALU_DEP_2) | instskip(NEXT) | instid1(VALU_DEP_1)
	v_min_u32_e32 v24, 32, v24
	v_subrev_nc_u32_e32 v28, 28, v24
	v_sub_nc_u32_e32 v24, 29, v24
	s_delay_alu instid0(VALU_DEP_1) | instskip(NEXT) | instid1(VALU_DEP_3)
	v_cndmask_b32_e64 v29, v25, v24, s13
	v_cndmask_b32_e64 v24, 0, v28, s13
	v_cmp_ne_u32_e64 s13, 0x7f, v27
	s_delay_alu instid0(VALU_DEP_2) | instskip(SKIP_1) | instid1(VALU_DEP_1)
	v_lshlrev_b64_e32 v[24:25], v24, v[22:23]
	v_lshlrev_b32_e32 v23, 24, v22
	v_and_b32_e32 v23, 0x80000000, v23
	s_delay_alu instid0(VALU_DEP_3) | instskip(SKIP_1) | instid1(VALU_DEP_2)
	v_lshlrev_b32_e32 v24, 20, v24
	v_lshl_add_u32 v25, v29, 23, 0x3c000000
	v_and_b32_e32 v24, 0x700000, v24
	s_delay_alu instid0(VALU_DEP_1) | instskip(NEXT) | instid1(VALU_DEP_1)
	v_or3_b32 v23, v24, v23, v25
	v_cndmask_b32_e64 v24, 0x7f800001, v23, s13
.LBB4_5944:                             ;   in Loop: Header=BB4_5808 Depth=3
	s_or_b32 exec_lo, exec_lo, s15
	s_delay_alu instid0(VALU_DEP_1) | instskip(SKIP_1) | instid1(VALU_DEP_1)
	v_dual_add_f32 v24, v26, v24 :: v_dual_mov_b32 v27, v3
                                        ; implicit-def: $vgpr60
	s_mov_b32 s14, exec_lo
	v_and_b32_e32 v26, 0x7f800000, v24
	v_lshrrev_b32_e32 v23, 24, v24
	s_delay_alu instid0(VALU_DEP_2)
	v_cmpx_ne_u64_e32 0x7f800000, v[26:27]
	s_xor_b32 s15, exec_lo, s14
	s_cbranch_execz .LBB4_5958
; %bb.5945:                             ;   in Loop: Header=BB4_5808 Depth=3
	v_and_b32_e32 v26, 0x7fffffff, v24
	v_mov_b32_e32 v27, v3
	v_and_b32_e32 v23, 0x80, v23
                                        ; implicit-def: $vgpr60
	s_mov_b32 s14, exec_lo
	s_delay_alu instid0(VALU_DEP_2)
	v_cmpx_gt_u64_e32 0x43e00001, v[26:27]
	s_xor_b32 s75, exec_lo, s14
	s_cbranch_execz .LBB4_5955
; %bb.5946:                             ;   in Loop: Header=BB4_5808 Depth=3
	v_mov_b32_e32 v60, 0
	s_mov_b32 s76, exec_lo
	v_cmpx_ne_u32_e32 0, v24
	s_cbranch_execz .LBB4_5954
; %bb.5947:                             ;   in Loop: Header=BB4_5808 Depth=3
	v_bfe_u32 v25, v24, 23, 8
	v_and_b32_e32 v24, 0x7fffff, v24
	s_delay_alu instid0(VALU_DEP_2) | instskip(SKIP_1) | instid1(VALU_DEP_3)
	v_dual_mov_b32 v59, v3 :: v_dual_sub_nc_u32 v26, 0x79, v25
	v_cmp_gt_u32_e64 s13, 0x7a, v25
	v_or_b32_e32 v68, 0x800000, v24
	s_delay_alu instid0(VALU_DEP_2) | instskip(SKIP_1) | instid1(VALU_DEP_1)
	v_cndmask_b32_e64 v26, 0, v26, s13
	v_cmp_eq_u32_e64 s13, 0, v25
	v_cndmask_b32_e64 v58, v68, v24, s13
	s_delay_alu instid0(VALU_DEP_3) | instskip(NEXT) | instid1(VALU_DEP_1)
	v_cndmask_b32_e64 v26, v26, 0x78, s13
	v_add_nc_u32_e32 v27, 20, v26
	s_delay_alu instid0(VALU_DEP_1) | instskip(SKIP_1) | instid1(VALU_DEP_1)
	v_lshlrev_b64_e64 v[28:29], v27, -1
	v_add_nc_u32_e32 v27, 19, v26
	v_lshlrev_b64_e64 v[60:61], v27, 1
	s_delay_alu instid0(VALU_DEP_3) | instskip(SKIP_2) | instid1(VALU_DEP_1)
	v_bfi_b32 v28, v28, 0, v58
	v_lshrrev_b64 v[58:59], v26, v[58:59]
	v_bfi_b32 v29, v29, 0, 0
	v_cmp_eq_u64_e64 s14, v[28:29], v[60:61]
	s_delay_alu instid0(VALU_DEP_3)
	v_mov_b64_e32 v[60:61], v[58:59]
	s_and_saveexec_b32 s77, s14
; %bb.5948:                             ;   in Loop: Header=BB4_5808 Depth=3
	v_bfe_u32 v28, v58, 20, 1
	v_mov_b32_e32 v29, v3
	s_delay_alu instid0(VALU_DEP_1) | instskip(NEXT) | instid1(VALU_DEP_1)
	v_add_nc_u64_e32 v[28:29], v[58:59], v[28:29]
	v_add_nc_u64_e32 v[60:61], -1, v[28:29]
; %bb.5949:                             ;   in Loop: Header=BB4_5808 Depth=3
	s_or_b32 exec_lo, exec_lo, s77
	v_dual_mov_b32 v59, v3 :: v_dual_add_nc_u32 v24, 0xffffff81, v25
	v_lshrrev_b32_e32 v25, 23, v58
	s_mov_b32 s14, exec_lo
	s_delay_alu instid0(VALU_DEP_2) | instskip(NEXT) | instid1(VALU_DEP_1)
	v_cndmask_b32_e64 v24, v24, 0xffffff82, s13
	v_add3_u32 v25, v26, v24, v25
	v_and_b32_e32 v24, 0xfffff, v60
	s_delay_alu instid0(VALU_DEP_1) | instskip(NEXT) | instid1(VALU_DEP_1)
	v_dual_add_nc_u32 v26, 6, v25 :: v_dual_add_nc_u32 v58, v24, v58
                                        ; implicit-def: $vgpr24
	v_cmpx_ne_u32_e32 0, v26
	s_xor_b32 s14, exec_lo, s14
; %bb.5950:                             ;   in Loop: Header=BB4_5808 Depth=3
	s_delay_alu instid0(VALU_DEP_2) | instskip(SKIP_1) | instid1(VALU_DEP_2)
	v_cmp_lt_u64_e64 s13, 0xffffff, v[58:59]
	v_add_nc_u32_e32 v24, 7, v25
	v_cndmask_b32_e64 v25, 0, 1, s13
	s_delay_alu instid0(VALU_DEP_2) | instskip(NEXT) | instid1(VALU_DEP_2)
	v_cndmask_b32_e64 v24, v26, v24, s13
	v_lshrrev_b64 v[58:59], v25, v[58:59]
; %bb.5951:                             ;   in Loop: Header=BB4_5808 Depth=3
	s_and_not1_saveexec_b32 s13, s14
; %bb.5952:                             ;   in Loop: Header=BB4_5808 Depth=3
	s_delay_alu instid0(VALU_DEP_1)
	v_bfe_u32 v24, v58, 23, 1
; %bb.5953:                             ;   in Loop: Header=BB4_5808 Depth=3
	s_or_b32 exec_lo, exec_lo, s13
	s_delay_alu instid0(VALU_DEP_2) | instskip(NEXT) | instid1(VALU_DEP_2)
	v_lshrrev_b64 v[26:27], 20, v[58:59]
	v_cmp_gt_i32_e64 s13, 16, v24
	v_min_i32_e32 v25, 15, v24
	v_cmp_eq_u32_e64 s14, 0, v24
	s_delay_alu instid0(VALU_DEP_2) | instskip(SKIP_1) | instid1(VALU_DEP_2)
	v_dual_cndmask_b32 v27, 0, v27, s13 :: v_dual_lshlrev_b32 v25, 3, v25
	v_cndmask_b32_e64 v26, 7, v26, s13
	v_and_b32_e32 v25, 0xf8, v25
	s_delay_alu instid0(VALU_DEP_2) | instskip(NEXT) | instid1(VALU_DEP_2)
	v_cmp_eq_u64_e64 s13, 0, v[26:27]
	v_and_or_b32 v24, v26, 7, v25
	s_and_b32 s13, s14, s13
	s_delay_alu instid0(VALU_DEP_1) | instid1(SALU_CYCLE_1)
	v_cndmask_b32_e64 v24, v24, 0, s13
	s_delay_alu instid0(VALU_DEP_1)
	v_or_b32_e32 v60, v24, v23
.LBB4_5954:                             ;   in Loop: Header=BB4_5808 Depth=3
	s_or_b32 exec_lo, exec_lo, s76
                                        ; implicit-def: $vgpr23
.LBB4_5955:                             ;   in Loop: Header=BB4_5808 Depth=3
	s_and_not1_saveexec_b32 s13, s75
; %bb.5956:                             ;   in Loop: Header=BB4_5808 Depth=3
	v_or_b32_e32 v60, 0x7e, v23
; %bb.5957:                             ;   in Loop: Header=BB4_5808 Depth=3
	s_or_b32 exec_lo, exec_lo, s13
                                        ; implicit-def: $vgpr23
.LBB4_5958:                             ;   in Loop: Header=BB4_5808 Depth=3
	s_and_not1_saveexec_b32 s13, s15
; %bb.5959:                             ;   in Loop: Header=BB4_5808 Depth=3
	v_or_b32_e32 v60, 0x7f, v23
; %bb.5960:                             ;   in Loop: Header=BB4_5808 Depth=3
	s_or_b32 exec_lo, exec_lo, s13
	v_lshrrev_b16 v24, 8, v2
	v_mov_b32_e32 v23, 0
	s_mov_b32 s14, exec_lo
	s_delay_alu instid0(VALU_DEP_2)
	v_cmpx_ne_u16_e32 0, v24
	s_cbranch_execz .LBB4_5968
; %bb.5961:                             ;   in Loop: Header=BB4_5808 Depth=3
	v_bfrev_b32_e32 v23, 1
	s_mov_b32 s15, exec_lo
	v_cmpx_ne_u16_e32 0x80, v24
	s_cbranch_execz .LBB4_5967
; %bb.5962:                             ;   in Loop: Header=BB4_5808 Depth=3
	v_and_b32_e32 v25, 0xffff, v24
	v_mov_b32_e32 v23, 0x7f800001
	s_mov_b32 s75, exec_lo
	s_delay_alu instid0(VALU_DEP_2) | instskip(NEXT) | instid1(VALU_DEP_1)
	v_and_b32_e32 v24, 0x7f, v25
	v_cmpx_ne_u32_e32 0x7f, v24
	s_cbranch_execz .LBB4_5966
; %bb.5963:                             ;   in Loop: Header=BB4_5808 Depth=3
	v_dual_mov_b32 v59, v3 :: v_dual_bitop2_b32 v58, 7, v25 bitop3:0x40
	v_lshrrev_b32_e32 v23, 3, v24
	s_mov_b32 s76, exec_lo
	v_cmpx_gt_u32_e32 8, v24
; %bb.5964:                             ;   in Loop: Header=BB4_5808 Depth=3
	s_delay_alu instid0(VALU_DEP_3) | instskip(NEXT) | instid1(VALU_DEP_1)
	v_clz_i32_u32_e32 v23, v58
	v_min_u32_e32 v23, 32, v23
	s_delay_alu instid0(VALU_DEP_1) | instskip(NEXT) | instid1(VALU_DEP_1)
	v_subrev_nc_u32_e32 v24, 28, v23
	v_lshlrev_b64_e32 v[24:25], v24, v[58:59]
	s_delay_alu instid0(VALU_DEP_1)
	v_dual_sub_nc_u32 v23, 29, v23 :: v_dual_bitop2_b32 v58, 7, v24 bitop3:0x40
; %bb.5965:                             ;   in Loop: Header=BB4_5808 Depth=3
	s_or_b32 exec_lo, exec_lo, s76
	v_lshlrev_b32_e32 v2, 16, v2
	s_delay_alu instid0(VALU_DEP_2) | instskip(NEXT) | instid1(VALU_DEP_3)
	v_lshlrev_b32_e32 v24, 20, v58
	v_lshl_add_u32 v23, v23, 23, 0x3c000000
	s_delay_alu instid0(VALU_DEP_3) | instskip(NEXT) | instid1(VALU_DEP_1)
	v_and_b32_e32 v2, 0x80000000, v2
	v_or3_b32 v23, v24, v2, v23
.LBB4_5966:                             ;   in Loop: Header=BB4_5808 Depth=3
	s_or_b32 exec_lo, exec_lo, s75
.LBB4_5967:                             ;   in Loop: Header=BB4_5808 Depth=3
	s_delay_alu instid0(SALU_CYCLE_1)
	s_or_b32 exec_lo, exec_lo, s15
.LBB4_5968:                             ;   in Loop: Header=BB4_5808 Depth=3
	s_delay_alu instid0(SALU_CYCLE_1) | instskip(SKIP_3) | instid1(VALU_DEP_1)
	s_or_b32 exec_lo, exec_lo, s14
	v_lshrrev_b16 v22, 8, v22
	s_mov_b32 s15, 0
	s_mov_b32 s14, exec_lo
	v_cmpx_lt_i16_e32 0x7f, v22
	s_xor_b32 s14, exec_lo, s14
	s_cbranch_execz .LBB4_5975
; %bb.5969:                             ;   in Loop: Header=BB4_5808 Depth=3
	s_mov_b32 s15, -1
	s_mov_b32 s75, exec_lo
	v_cmpx_eq_u16_e32 0x80, v22
; %bb.5970:                             ;   in Loop: Header=BB4_5808 Depth=3
	s_xor_b32 s15, exec_lo, -1
; %bb.5971:                             ;   in Loop: Header=BB4_5808 Depth=3
	s_or_b32 exec_lo, exec_lo, s75
	s_delay_alu instid0(SALU_CYCLE_1)
	s_and_b32 s15, s15, exec_lo
	s_or_saveexec_b32 s14, s14
	v_bfrev_b32_e32 v24, 1
	s_xor_b32 exec_lo, exec_lo, s14
	s_cbranch_execnz .LBB4_5976
.LBB4_5972:                             ;   in Loop: Header=BB4_5808 Depth=3
	s_or_b32 exec_lo, exec_lo, s14
	s_and_saveexec_b32 s14, s15
	s_cbranch_execnz .LBB4_5977
	s_branch .LBB4_5980
.LBB4_5973:                             ;   in Loop: Header=BB4_5808 Depth=3
	s_or_saveexec_b32 s15, s15
	v_bfrev_b32_e32 v24, 1
	s_xor_b32 exec_lo, exec_lo, s15
	s_cbranch_execz .LBB4_5942
.LBB4_5974:                             ;   in Loop: Header=BB4_5808 Depth=3
	v_cmp_ne_u16_e64 s13, 0, v23
	v_mov_b32_e32 v24, 0
	s_and_not1_b32 s14, s14, exec_lo
	s_and_b32 s13, s13, exec_lo
	s_delay_alu instid0(SALU_CYCLE_1)
	s_or_b32 s14, s14, s13
	s_or_b32 exec_lo, exec_lo, s15
	v_mov_b32_e32 v23, v3
	s_and_saveexec_b32 s15, s14
	s_cbranch_execnz .LBB4_5943
	s_branch .LBB4_5944
.LBB4_5975:                             ;   in Loop: Header=BB4_5808 Depth=3
	s_or_saveexec_b32 s14, s14
	v_bfrev_b32_e32 v24, 1
	s_xor_b32 exec_lo, exec_lo, s14
	s_cbranch_execz .LBB4_5972
.LBB4_5976:                             ;   in Loop: Header=BB4_5808 Depth=3
	v_cmp_ne_u16_e64 s13, 0, v22
	v_mov_b32_e32 v24, 0
	s_and_not1_b32 s15, s15, exec_lo
	s_and_b32 s13, s13, exec_lo
	s_delay_alu instid0(SALU_CYCLE_1)
	s_or_b32 s15, s15, s13
	s_or_b32 exec_lo, exec_lo, s14
	s_and_saveexec_b32 s14, s15
	s_cbranch_execz .LBB4_5980
.LBB4_5977:                             ;   in Loop: Header=BB4_5808 Depth=3
	v_and_b32_e32 v2, 0xffff, v22
	v_mov_b32_e32 v24, 0x7f800001
	s_mov_b32 s15, exec_lo
	s_delay_alu instid0(VALU_DEP_2) | instskip(NEXT) | instid1(VALU_DEP_1)
	v_and_b32_e32 v25, 0x7f, v2
	v_cmpx_ne_u32_e32 0x7f, v25
	s_cbranch_execz .LBB4_5979
; %bb.5978:                             ;   in Loop: Header=BB4_5808 Depth=3
	v_and_b32_e32 v24, 7, v2
	v_cmp_gt_u32_e64 s13, 8, v25
	s_delay_alu instid0(VALU_DEP_2) | instskip(NEXT) | instid1(VALU_DEP_1)
	v_clz_i32_u32_e32 v26, v24
	v_min_u32_e32 v28, 32, v26
	s_delay_alu instid0(VALU_DEP_1) | instskip(NEXT) | instid1(VALU_DEP_1)
	v_subrev_nc_u32_e32 v26, 28, v28
	v_lshlrev_b64_e32 v[26:27], v26, v[2:3]
	v_dual_lshrrev_b32 v2, 3, v25 :: v_dual_sub_nc_u32 v27, 29, v28
	s_delay_alu instid0(VALU_DEP_2) | instskip(NEXT) | instid1(VALU_DEP_2)
	v_and_b32_e32 v25, 7, v26
	v_dual_lshlrev_b32 v22, 24, v22 :: v_dual_cndmask_b32 v2, v2, v27, s13
	s_delay_alu instid0(VALU_DEP_2) | instskip(NEXT) | instid1(VALU_DEP_2)
	v_cndmask_b32_e64 v24, v24, v25, s13
	v_and_b32_e32 v22, 0x80000000, v22
	s_delay_alu instid0(VALU_DEP_3) | instskip(NEXT) | instid1(VALU_DEP_3)
	v_lshl_add_u32 v2, v2, 23, 0x3c000000
	v_lshlrev_b32_e32 v24, 20, v24
	s_delay_alu instid0(VALU_DEP_1)
	v_or3_b32 v24, v24, v22, v2
.LBB4_5979:                             ;   in Loop: Header=BB4_5808 Depth=3
	s_or_b32 exec_lo, exec_lo, s15
.LBB4_5980:                             ;   in Loop: Header=BB4_5808 Depth=3
	s_delay_alu instid0(SALU_CYCLE_1) | instskip(NEXT) | instid1(VALU_DEP_1)
	s_or_b32 exec_lo, exec_lo, s14
	v_add_f32_e32 v22, v23, v24
                                        ; implicit-def: $vgpr61
	s_mov_b32 s14, exec_lo
	s_delay_alu instid0(VALU_DEP_1) | instskip(SKIP_1) | instid1(VALU_DEP_2)
	v_and_b32_e32 v2, 0x7f800000, v22
	v_lshrrev_b32_e32 v23, 24, v22
	v_cmpx_ne_u64_e32 0x7f800000, v[2:3]
	s_xor_b32 s15, exec_lo, s14
	s_cbranch_execz .LBB4_5994
; %bb.5981:                             ;   in Loop: Header=BB4_5808 Depth=3
	v_and_b32_e32 v2, 0x7fffffff, v22
	v_and_b32_e32 v26, 0x80, v23
                                        ; implicit-def: $vgpr61
	s_mov_b32 s14, exec_lo
	s_delay_alu instid0(VALU_DEP_2)
	v_cmpx_gt_u64_e32 0x43e00001, v[2:3]
	s_xor_b32 s75, exec_lo, s14
	s_cbranch_execz .LBB4_5991
; %bb.5982:                             ;   in Loop: Header=BB4_5808 Depth=3
	v_mov_b32_e32 v61, 0
	s_mov_b32 s76, exec_lo
	v_cmpx_ne_u32_e32 0, v22
	s_cbranch_execz .LBB4_5990
; %bb.5983:                             ;   in Loop: Header=BB4_5808 Depth=3
	v_bfe_u32 v24, v22, 23, 8
	s_delay_alu instid0(VALU_DEP_1) | instskip(SKIP_1) | instid1(VALU_DEP_1)
	v_sub_nc_u32_e32 v2, 0x79, v24
	v_cmp_gt_u32_e64 s13, 0x7a, v24
	v_cndmask_b32_e64 v2, 0, v2, s13
	v_cmp_eq_u32_e64 s13, 0, v24
	s_delay_alu instid0(VALU_DEP_1) | instskip(SKIP_1) | instid1(VALU_DEP_2)
	v_cndmask_b32_e64 v25, v2, 0x78, s13
	v_and_b32_e32 v2, 0x7fffff, v22
	v_add_nc_u32_e32 v22, 20, v25
	s_delay_alu instid0(VALU_DEP_2) | instskip(SKIP_1) | instid1(VALU_DEP_3)
	v_or_b32_e32 v27, 0x800000, v2
	v_add_nc_u32_e32 v28, 19, v25
	v_lshlrev_b64_e64 v[22:23], v22, -1
	s_delay_alu instid0(VALU_DEP_3) | instskip(NEXT) | instid1(VALU_DEP_3)
	v_cndmask_b32_e64 v2, v27, v2, s13
	v_lshlrev_b64_e64 v[28:29], v28, 1
	s_delay_alu instid0(VALU_DEP_3) | instskip(NEXT) | instid1(VALU_DEP_3)
	v_bfi_b32 v59, v23, 0, 0
	v_bfi_b32 v58, v22, 0, v2
	v_lshrrev_b64 v[22:23], v25, v[2:3]
	s_delay_alu instid0(VALU_DEP_2) | instskip(NEXT) | instid1(VALU_DEP_2)
	v_cmp_eq_u64_e64 s14, v[58:59], v[28:29]
	v_mov_b64_e32 v[58:59], v[22:23]
	s_and_saveexec_b32 s77, s14
; %bb.5984:                             ;   in Loop: Header=BB4_5808 Depth=3
	v_bfe_u32 v2, v22, 20, 1
	s_delay_alu instid0(VALU_DEP_1) | instskip(NEXT) | instid1(VALU_DEP_1)
	v_add_nc_u64_e32 v[28:29], v[22:23], v[2:3]
	v_add_nc_u64_e32 v[58:59], -1, v[28:29]
; %bb.5985:                             ;   in Loop: Header=BB4_5808 Depth=3
	s_or_b32 exec_lo, exec_lo, s77
	v_add_nc_u32_e32 v2, 0xffffff81, v24
	v_lshrrev_b32_e32 v23, 23, v22
	s_mov_b32 s14, exec_lo
                                        ; implicit-def: $vgpr24
	s_delay_alu instid0(VALU_DEP_2) | instskip(NEXT) | instid1(VALU_DEP_1)
	v_cndmask_b32_e64 v2, v2, 0xffffff82, s13
	v_add3_u32 v25, v25, v2, v23
	v_and_b32_e32 v2, 0xfffff, v58
	s_delay_alu instid0(VALU_DEP_1) | instskip(NEXT) | instid1(VALU_DEP_1)
	v_dual_add_nc_u32 v27, 6, v25 :: v_dual_add_nc_u32 v2, v2, v22
                                        ; implicit-def: $vgpr22_vgpr23
	v_cmpx_ne_u32_e32 0, v27
	s_xor_b32 s14, exec_lo, s14
; %bb.5986:                             ;   in Loop: Header=BB4_5808 Depth=3
	s_delay_alu instid0(VALU_DEP_2) | instskip(SKIP_1) | instid1(VALU_DEP_1)
	v_cmp_lt_u64_e64 s13, 0xffffff, v[2:3]
	v_add_nc_u32_e32 v22, 7, v25
	v_cndmask_b32_e64 v24, v27, v22, s13
	v_cndmask_b32_e64 v22, 0, 1, s13
	s_delay_alu instid0(VALU_DEP_1)
	v_lshrrev_b64 v[22:23], v22, v[2:3]
; %bb.5987:                             ;   in Loop: Header=BB4_5808 Depth=3
	s_and_not1_saveexec_b32 s13, s14
; %bb.5988:                             ;   in Loop: Header=BB4_5808 Depth=3
	v_mov_b64_e32 v[22:23], v[2:3]
	v_bfe_u32 v24, v2, 23, 1
; %bb.5989:                             ;   in Loop: Header=BB4_5808 Depth=3
	s_or_b32 exec_lo, exec_lo, s13
	s_delay_alu instid0(VALU_DEP_2) | instskip(NEXT) | instid1(VALU_DEP_2)
	v_lshrrev_b64 v[22:23], 20, v[22:23]
	v_cmp_gt_i32_e64 s13, 16, v24
	v_min_i32_e32 v2, 15, v24
	v_cmp_eq_u32_e64 s14, 0, v24
	s_delay_alu instid0(VALU_DEP_2) | instskip(SKIP_1) | instid1(VALU_DEP_2)
	v_dual_cndmask_b32 v23, 0, v23, s13 :: v_dual_lshlrev_b32 v2, 3, v2
	v_cndmask_b32_e64 v22, 7, v22, s13
	v_and_b32_e32 v2, 0xf8, v2
	s_delay_alu instid0(VALU_DEP_2) | instskip(NEXT) | instid1(VALU_DEP_2)
	v_cmp_eq_u64_e64 s13, 0, v[22:23]
	v_and_or_b32 v2, v22, 7, v2
	s_and_b32 s13, s14, s13
	s_delay_alu instid0(VALU_DEP_1) | instid1(SALU_CYCLE_1)
	v_cndmask_b32_e64 v2, v2, 0, s13
	s_delay_alu instid0(VALU_DEP_1)
	v_or_b32_e32 v61, v2, v26
.LBB4_5990:                             ;   in Loop: Header=BB4_5808 Depth=3
	s_or_b32 exec_lo, exec_lo, s76
                                        ; implicit-def: $vgpr26
.LBB4_5991:                             ;   in Loop: Header=BB4_5808 Depth=3
	s_and_not1_saveexec_b32 s13, s75
; %bb.5992:                             ;   in Loop: Header=BB4_5808 Depth=3
	v_or_b32_e32 v61, 0x7e, v26
; %bb.5993:                             ;   in Loop: Header=BB4_5808 Depth=3
	s_or_b32 exec_lo, exec_lo, s13
                                        ; implicit-def: $vgpr23
.LBB4_5994:                             ;   in Loop: Header=BB4_5808 Depth=3
	s_and_not1_saveexec_b32 s13, s15
; %bb.5995:                             ;   in Loop: Header=BB4_5808 Depth=3
	v_or_b32_e32 v61, 0x7f, v23
; %bb.5996:                             ;   in Loop: Header=BB4_5808 Depth=3
	s_or_b32 exec_lo, exec_lo, s13
	v_dual_lshrrev_b32 v24, 16, v13 :: v_dual_mov_b32 v22, 0
	s_mov_b32 s14, exec_lo
	s_delay_alu instid0(VALU_DEP_1) | instskip(NEXT) | instid1(VALU_DEP_1)
	v_and_b32_e32 v2, 0xff, v24
	v_cmpx_ne_u16_e32 0, v2
	s_cbranch_execz .LBB4_6004
; %bb.5997:                             ;   in Loop: Header=BB4_5808 Depth=3
	v_bfrev_b32_e32 v22, 1
	s_mov_b32 s15, exec_lo
	v_cmpx_ne_u16_e32 0x80, v2
	s_cbranch_execz .LBB4_6003
; %bb.5998:                             ;   in Loop: Header=BB4_5808 Depth=3
	v_bfe_u32 v23, v13, 16, 7
	v_mov_b32_e32 v22, 0x7f800001
	s_mov_b32 s75, exec_lo
	s_delay_alu instid0(VALU_DEP_2)
	v_cmpx_ne_u32_e32 0x7f, v23
	s_cbranch_execz .LBB4_6002
; %bb.5999:                             ;   in Loop: Header=BB4_5808 Depth=3
	v_dual_lshrrev_b32 v25, 3, v23 :: v_dual_bitop2_b32 v2, 7, v24 bitop3:0x40
	v_cmp_gt_u32_e64 s13, 8, v23
	s_delay_alu instid0(VALU_DEP_2)
	v_mov_b64_e32 v[22:23], v[2:3]
	s_and_saveexec_b32 s76, s13
; %bb.6000:                             ;   in Loop: Header=BB4_5808 Depth=3
	v_clz_i32_u32_e32 v22, v2
	s_delay_alu instid0(VALU_DEP_1) | instskip(NEXT) | instid1(VALU_DEP_1)
	v_min_u32_e32 v25, 32, v22
	v_subrev_nc_u32_e32 v22, 28, v25
	s_delay_alu instid0(VALU_DEP_1) | instskip(NEXT) | instid1(VALU_DEP_1)
	v_lshlrev_b64_e32 v[22:23], v22, v[2:3]
	v_dual_sub_nc_u32 v25, 29, v25 :: v_dual_bitop2_b32 v22, 7, v22 bitop3:0x40
; %bb.6001:                             ;   in Loop: Header=BB4_5808 Depth=3
	s_or_b32 exec_lo, exec_lo, s76
	s_delay_alu instid0(VALU_DEP_1) | instskip(NEXT) | instid1(VALU_DEP_2)
	v_dual_lshlrev_b32 v2, 24, v24 :: v_dual_lshlrev_b32 v22, 20, v22
	v_lshl_add_u32 v23, v25, 23, 0x3c000000
	s_delay_alu instid0(VALU_DEP_2) | instskip(NEXT) | instid1(VALU_DEP_1)
	v_and_b32_e32 v2, 0x80000000, v2
	v_or3_b32 v22, v22, v2, v23
.LBB4_6002:                             ;   in Loop: Header=BB4_5808 Depth=3
	s_or_b32 exec_lo, exec_lo, s75
.LBB4_6003:                             ;   in Loop: Header=BB4_5808 Depth=3
	s_delay_alu instid0(SALU_CYCLE_1)
	s_or_b32 exec_lo, exec_lo, s15
.LBB4_6004:                             ;   in Loop: Header=BB4_5808 Depth=3
	s_delay_alu instid0(SALU_CYCLE_1) | instskip(SKIP_3) | instid1(VALU_DEP_1)
	s_or_b32 exec_lo, exec_lo, s14
	v_lshrrev_b32_e32 v2, 16, v9
	s_mov_b32 s15, 0
	s_mov_b32 s14, exec_lo
	v_and_b32_e32 v24, 0xff, v2
	s_delay_alu instid0(VALU_DEP_1)
	v_cmpx_lt_i16_e32 0x7f, v24
	s_xor_b32 s14, exec_lo, s14
	s_cbranch_execz .LBB4_6009
; %bb.6005:                             ;   in Loop: Header=BB4_5808 Depth=3
	s_mov_b32 s15, -1
	s_mov_b32 s75, exec_lo
	v_cmpx_eq_u16_e32 0x80, v24
; %bb.6006:                             ;   in Loop: Header=BB4_5808 Depth=3
	s_xor_b32 s15, exec_lo, -1
; %bb.6007:                             ;   in Loop: Header=BB4_5808 Depth=3
	s_or_b32 exec_lo, exec_lo, s75
	s_delay_alu instid0(SALU_CYCLE_1)
	s_and_b32 s15, s15, exec_lo
                                        ; implicit-def: $vgpr24
	s_or_saveexec_b32 s14, s14
	v_bfrev_b32_e32 v23, 1
	s_xor_b32 exec_lo, exec_lo, s14
	s_cbranch_execnz .LBB4_6010
.LBB4_6008:                             ;   in Loop: Header=BB4_5808 Depth=3
	s_or_b32 exec_lo, exec_lo, s14
	s_and_saveexec_b32 s14, s15
	s_cbranch_execnz .LBB4_6011
	s_branch .LBB4_6014
.LBB4_6009:                             ;   in Loop: Header=BB4_5808 Depth=3
	s_or_saveexec_b32 s14, s14
	v_bfrev_b32_e32 v23, 1
	s_xor_b32 exec_lo, exec_lo, s14
	s_cbranch_execz .LBB4_6008
.LBB4_6010:                             ;   in Loop: Header=BB4_5808 Depth=3
	v_cmp_ne_u16_e64 s13, 0, v24
	v_mov_b32_e32 v23, 0
	s_and_not1_b32 s15, s15, exec_lo
	s_and_b32 s13, s13, exec_lo
	s_delay_alu instid0(SALU_CYCLE_1)
	s_or_b32 s15, s15, s13
	s_or_b32 exec_lo, exec_lo, s14
	s_and_saveexec_b32 s14, s15
	s_cbranch_execz .LBB4_6014
.LBB4_6011:                             ;   in Loop: Header=BB4_5808 Depth=3
	v_and_b32_e32 v24, 0x7f, v2
	v_mov_b32_e32 v23, 0x7f800001
	s_mov_b32 s15, exec_lo
	s_delay_alu instid0(VALU_DEP_2)
	v_cmpx_ne_u32_e32 0x7f, v24
	s_cbranch_execz .LBB4_6013
; %bb.6012:                             ;   in Loop: Header=BB4_5808 Depth=3
	v_and_b32_e32 v23, 7, v2
	v_cmp_gt_u32_e64 s13, 8, v24
	s_delay_alu instid0(VALU_DEP_2) | instskip(NEXT) | instid1(VALU_DEP_1)
	v_clz_i32_u32_e32 v25, v23
	v_min_u32_e32 v25, 32, v25
	s_delay_alu instid0(VALU_DEP_1) | instskip(NEXT) | instid1(VALU_DEP_1)
	v_subrev_nc_u32_e32 v26, 28, v25
	v_lshlrev_b64_e32 v[26:27], v26, v[2:3]
	v_dual_lshrrev_b32 v27, 3, v24 :: v_dual_sub_nc_u32 v25, 29, v25
	s_delay_alu instid0(VALU_DEP_2) | instskip(NEXT) | instid1(VALU_DEP_2)
	v_and_b32_e32 v24, 7, v26
	v_dual_lshlrev_b32 v2, 24, v2 :: v_dual_cndmask_b32 v25, v27, v25, s13
	s_delay_alu instid0(VALU_DEP_2) | instskip(NEXT) | instid1(VALU_DEP_2)
	v_cndmask_b32_e64 v23, v23, v24, s13
	v_and_b32_e32 v2, 0x80000000, v2
	s_delay_alu instid0(VALU_DEP_3) | instskip(NEXT) | instid1(VALU_DEP_3)
	v_lshl_add_u32 v24, v25, 23, 0x3c000000
	v_lshlrev_b32_e32 v23, 20, v23
	s_delay_alu instid0(VALU_DEP_1)
	v_or3_b32 v23, v23, v2, v24
.LBB4_6013:                             ;   in Loop: Header=BB4_5808 Depth=3
	s_or_b32 exec_lo, exec_lo, s15
.LBB4_6014:                             ;   in Loop: Header=BB4_5808 Depth=3
	s_delay_alu instid0(SALU_CYCLE_1) | instskip(NEXT) | instid1(VALU_DEP_1)
	s_or_b32 exec_lo, exec_lo, s14
	v_add_f32_e32 v22, v22, v23
                                        ; implicit-def: $vgpr58
	s_mov_b32 s14, exec_lo
	s_delay_alu instid0(VALU_DEP_1) | instskip(SKIP_1) | instid1(VALU_DEP_2)
	v_and_b32_e32 v2, 0x7f800000, v22
	v_lshrrev_b32_e32 v23, 24, v22
	v_cmpx_ne_u64_e32 0x7f800000, v[2:3]
	s_xor_b32 s15, exec_lo, s14
	s_cbranch_execz .LBB4_6028
; %bb.6015:                             ;   in Loop: Header=BB4_5808 Depth=3
	v_and_b32_e32 v2, 0x7fffffff, v22
	v_and_b32_e32 v26, 0x80, v23
                                        ; implicit-def: $vgpr58
	s_mov_b32 s14, exec_lo
	s_delay_alu instid0(VALU_DEP_2)
	v_cmpx_gt_u64_e32 0x43e00001, v[2:3]
	s_xor_b32 s75, exec_lo, s14
	s_cbranch_execz .LBB4_6025
; %bb.6016:                             ;   in Loop: Header=BB4_5808 Depth=3
	v_mov_b32_e32 v58, 0
	s_mov_b32 s76, exec_lo
	v_cmpx_ne_u32_e32 0, v22
	s_cbranch_execz .LBB4_6024
; %bb.6017:                             ;   in Loop: Header=BB4_5808 Depth=3
	v_bfe_u32 v24, v22, 23, 8
	s_delay_alu instid0(VALU_DEP_1) | instskip(SKIP_1) | instid1(VALU_DEP_1)
	v_sub_nc_u32_e32 v2, 0x79, v24
	v_cmp_gt_u32_e64 s13, 0x7a, v24
	v_cndmask_b32_e64 v2, 0, v2, s13
	v_cmp_eq_u32_e64 s13, 0, v24
	s_delay_alu instid0(VALU_DEP_1) | instskip(SKIP_1) | instid1(VALU_DEP_2)
	v_cndmask_b32_e64 v25, v2, 0x78, s13
	v_and_b32_e32 v2, 0x7fffff, v22
	v_add_nc_u32_e32 v22, 20, v25
	s_delay_alu instid0(VALU_DEP_2) | instskip(SKIP_1) | instid1(VALU_DEP_3)
	v_or_b32_e32 v27, 0x800000, v2
	v_add_nc_u32_e32 v28, 19, v25
	v_lshlrev_b64_e64 v[22:23], v22, -1
	s_delay_alu instid0(VALU_DEP_3) | instskip(NEXT) | instid1(VALU_DEP_3)
	v_cndmask_b32_e64 v2, v27, v2, s13
	v_lshlrev_b64_e64 v[28:29], v28, 1
	s_delay_alu instid0(VALU_DEP_3) | instskip(NEXT) | instid1(VALU_DEP_3)
	v_bfi_b32 v59, v23, 0, 0
	v_bfi_b32 v58, v22, 0, v2
	v_lshrrev_b64 v[22:23], v25, v[2:3]
	s_delay_alu instid0(VALU_DEP_2) | instskip(NEXT) | instid1(VALU_DEP_2)
	v_cmp_eq_u64_e64 s14, v[58:59], v[28:29]
	v_mov_b64_e32 v[58:59], v[22:23]
	s_and_saveexec_b32 s77, s14
; %bb.6018:                             ;   in Loop: Header=BB4_5808 Depth=3
	v_bfe_u32 v2, v22, 20, 1
	s_delay_alu instid0(VALU_DEP_1) | instskip(NEXT) | instid1(VALU_DEP_1)
	v_add_nc_u64_e32 v[28:29], v[22:23], v[2:3]
	v_add_nc_u64_e32 v[58:59], -1, v[28:29]
; %bb.6019:                             ;   in Loop: Header=BB4_5808 Depth=3
	s_or_b32 exec_lo, exec_lo, s77
	v_add_nc_u32_e32 v2, 0xffffff81, v24
	v_lshrrev_b32_e32 v23, 23, v22
	s_mov_b32 s14, exec_lo
                                        ; implicit-def: $vgpr24
	s_delay_alu instid0(VALU_DEP_2) | instskip(NEXT) | instid1(VALU_DEP_1)
	v_cndmask_b32_e64 v2, v2, 0xffffff82, s13
	v_add3_u32 v25, v25, v2, v23
	v_and_b32_e32 v2, 0xfffff, v58
	s_delay_alu instid0(VALU_DEP_1) | instskip(NEXT) | instid1(VALU_DEP_1)
	v_dual_add_nc_u32 v27, 6, v25 :: v_dual_add_nc_u32 v2, v2, v22
                                        ; implicit-def: $vgpr22_vgpr23
	v_cmpx_ne_u32_e32 0, v27
	s_xor_b32 s14, exec_lo, s14
; %bb.6020:                             ;   in Loop: Header=BB4_5808 Depth=3
	s_delay_alu instid0(VALU_DEP_2) | instskip(SKIP_1) | instid1(VALU_DEP_1)
	v_cmp_lt_u64_e64 s13, 0xffffff, v[2:3]
	v_add_nc_u32_e32 v22, 7, v25
	v_cndmask_b32_e64 v24, v27, v22, s13
	v_cndmask_b32_e64 v22, 0, 1, s13
	s_delay_alu instid0(VALU_DEP_1)
	v_lshrrev_b64 v[22:23], v22, v[2:3]
; %bb.6021:                             ;   in Loop: Header=BB4_5808 Depth=3
	s_and_not1_saveexec_b32 s13, s14
; %bb.6022:                             ;   in Loop: Header=BB4_5808 Depth=3
	v_mov_b64_e32 v[22:23], v[2:3]
	v_bfe_u32 v24, v2, 23, 1
; %bb.6023:                             ;   in Loop: Header=BB4_5808 Depth=3
	s_or_b32 exec_lo, exec_lo, s13
	s_delay_alu instid0(VALU_DEP_2) | instskip(NEXT) | instid1(VALU_DEP_2)
	v_lshrrev_b64 v[22:23], 20, v[22:23]
	v_cmp_gt_i32_e64 s13, 16, v24
	v_min_i32_e32 v2, 15, v24
	v_cmp_eq_u32_e64 s14, 0, v24
	s_delay_alu instid0(VALU_DEP_2) | instskip(SKIP_1) | instid1(VALU_DEP_2)
	v_dual_cndmask_b32 v23, 0, v23, s13 :: v_dual_lshlrev_b32 v2, 3, v2
	v_cndmask_b32_e64 v22, 7, v22, s13
	v_and_b32_e32 v2, 0xf8, v2
	s_delay_alu instid0(VALU_DEP_2) | instskip(NEXT) | instid1(VALU_DEP_2)
	v_cmp_eq_u64_e64 s13, 0, v[22:23]
	v_and_or_b32 v2, v22, 7, v2
	s_and_b32 s13, s14, s13
	s_delay_alu instid0(VALU_DEP_1) | instid1(SALU_CYCLE_1)
	v_cndmask_b32_e64 v2, v2, 0, s13
	s_delay_alu instid0(VALU_DEP_1)
	v_or_b32_e32 v58, v2, v26
.LBB4_6024:                             ;   in Loop: Header=BB4_5808 Depth=3
	s_or_b32 exec_lo, exec_lo, s76
                                        ; implicit-def: $vgpr26
.LBB4_6025:                             ;   in Loop: Header=BB4_5808 Depth=3
	s_and_not1_saveexec_b32 s13, s75
; %bb.6026:                             ;   in Loop: Header=BB4_5808 Depth=3
	v_or_b32_e32 v58, 0x7e, v26
; %bb.6027:                             ;   in Loop: Header=BB4_5808 Depth=3
	s_or_b32 exec_lo, exec_lo, s13
                                        ; implicit-def: $vgpr23
.LBB4_6028:                             ;   in Loop: Header=BB4_5808 Depth=3
	s_and_not1_saveexec_b32 s13, s15
; %bb.6029:                             ;   in Loop: Header=BB4_5808 Depth=3
	v_or_b32_e32 v58, 0x7f, v23
; %bb.6030:                             ;   in Loop: Header=BB4_5808 Depth=3
	s_or_b32 exec_lo, exec_lo, s13
	v_cmp_lt_u64_e64 s13, s[22:23], v[12:13]
	v_mov_b32_e32 v12, 0
	s_and_saveexec_b32 s14, s13
	s_cbranch_execz .LBB4_6038
; %bb.6031:                             ;   in Loop: Header=BB4_5808 Depth=3
	v_lshrrev_b32_e32 v22, 24, v13
	v_bfrev_b32_e32 v12, 1
	s_mov_b32 s15, exec_lo
	s_delay_alu instid0(VALU_DEP_2)
	v_cmpx_ne_u32_e32 0x80, v22
	s_cbranch_execz .LBB4_6037
; %bb.6032:                             ;   in Loop: Header=BB4_5808 Depth=3
	v_bfe_u32 v13, v13, 24, 7
	v_mov_b32_e32 v12, 0x7f800001
	s_mov_b32 s75, exec_lo
	s_delay_alu instid0(VALU_DEP_2)
	v_cmpx_ne_u32_e32 0x7f, v13
	s_cbranch_execz .LBB4_6036
; %bb.6033:                             ;   in Loop: Header=BB4_5808 Depth=3
	v_dual_lshrrev_b32 v23, 3, v13 :: v_dual_bitop2_b32 v2, 7, v22 bitop3:0x40
	v_cmp_gt_u32_e64 s13, 8, v13
	s_delay_alu instid0(VALU_DEP_2)
	v_mov_b64_e32 v[12:13], v[2:3]
	s_and_saveexec_b32 s76, s13
; %bb.6034:                             ;   in Loop: Header=BB4_5808 Depth=3
	v_clz_i32_u32_e32 v12, v2
	s_delay_alu instid0(VALU_DEP_1) | instskip(NEXT) | instid1(VALU_DEP_1)
	v_min_u32_e32 v23, 32, v12
	v_subrev_nc_u32_e32 v12, 28, v23
	s_delay_alu instid0(VALU_DEP_1) | instskip(NEXT) | instid1(VALU_DEP_1)
	v_lshlrev_b64_e32 v[12:13], v12, v[2:3]
	v_dual_sub_nc_u32 v23, 29, v23 :: v_dual_bitop2_b32 v12, 7, v12 bitop3:0x40
; %bb.6035:                             ;   in Loop: Header=BB4_5808 Depth=3
	s_or_b32 exec_lo, exec_lo, s76
	s_delay_alu instid0(VALU_DEP_1) | instskip(NEXT) | instid1(VALU_DEP_2)
	v_dual_lshlrev_b32 v2, 24, v22 :: v_dual_lshlrev_b32 v12, 20, v12
	v_lshl_add_u32 v13, v23, 23, 0x3c000000
	s_delay_alu instid0(VALU_DEP_2) | instskip(NEXT) | instid1(VALU_DEP_1)
	v_and_b32_e32 v2, 0x80000000, v2
	v_or3_b32 v12, v12, v2, v13
.LBB4_6036:                             ;   in Loop: Header=BB4_5808 Depth=3
	s_or_b32 exec_lo, exec_lo, s75
.LBB4_6037:                             ;   in Loop: Header=BB4_5808 Depth=3
	s_delay_alu instid0(SALU_CYCLE_1)
	s_or_b32 exec_lo, exec_lo, s15
.LBB4_6038:                             ;   in Loop: Header=BB4_5808 Depth=3
	s_delay_alu instid0(SALU_CYCLE_1) | instskip(SKIP_3) | instid1(VALU_DEP_3)
	s_or_b32 exec_lo, exec_lo, s14
	v_lshrrev_b32_e32 v2, 24, v9
	v_bfe_u32 v13, v9, 24, 7
	v_cmp_gt_u64_e64 s15, s[24:25], v[8:9]
	v_cmp_eq_u32_e64 s14, 0x80, v2
	s_delay_alu instid0(VALU_DEP_3) | instskip(NEXT) | instid1(VALU_DEP_2)
	v_cmp_eq_u32_e64 s13, 0x7f, v13
	v_cndmask_b32_e64 v22, 0x7f800001, v91, s14
	s_or_b32 s13, s14, s13
	s_delay_alu instid0(SALU_CYCLE_1) | instskip(NEXT) | instid1(VALU_DEP_1)
	s_nor_b32 s13, s15, s13
	v_cndmask_b32_e64 v8, v22, 0, s15
	s_and_saveexec_b32 s14, s13
	s_cbranch_execz .LBB4_6040
; %bb.6039:                             ;   in Loop: Header=BB4_5808 Depth=3
	v_and_b32_e32 v22, 7, v2
	v_cmp_gt_u32_e64 s13, 8, v13
	s_delay_alu instid0(VALU_DEP_2) | instskip(NEXT) | instid1(VALU_DEP_1)
	v_clz_i32_u32_e32 v8, v22
	v_min_u32_e32 v23, 32, v8
	s_delay_alu instid0(VALU_DEP_1) | instskip(NEXT) | instid1(VALU_DEP_1)
	v_subrev_nc_u32_e32 v8, 28, v23
	v_lshlrev_b64_e32 v[8:9], v8, v[2:3]
	v_dual_lshrrev_b32 v9, 3, v13 :: v_dual_sub_nc_u32 v23, 29, v23
	s_delay_alu instid0(VALU_DEP_2) | instskip(NEXT) | instid1(VALU_DEP_1)
	v_dual_lshlrev_b32 v2, 24, v2 :: v_dual_bitop2_b32 v8, 7, v8 bitop3:0x40
	v_dual_cndmask_b32 v9, v9, v23, s13 :: v_dual_cndmask_b32 v8, v22, v8, s13
	s_delay_alu instid0(VALU_DEP_2) | instskip(NEXT) | instid1(VALU_DEP_2)
	v_and_b32_e32 v2, 0x80000000, v2
	v_lshl_add_u32 v9, v9, 23, 0x3c000000
	s_delay_alu instid0(VALU_DEP_3) | instskip(NEXT) | instid1(VALU_DEP_1)
	v_lshlrev_b32_e32 v8, 20, v8
	v_or3_b32 v8, v8, v2, v9
.LBB4_6040:                             ;   in Loop: Header=BB4_5808 Depth=3
	s_or_b32 exec_lo, exec_lo, s14
	s_delay_alu instid0(VALU_DEP_1) | instskip(SKIP_1) | instid1(VALU_DEP_1)
	v_add_f32_e32 v8, v12, v8
                                        ; implicit-def: $vgpr59
	s_mov_b32 s14, exec_lo
	v_and_b32_e32 v2, 0x7f800000, v8
	v_lshrrev_b32_e32 v9, 24, v8
	s_delay_alu instid0(VALU_DEP_2)
	v_cmpx_ne_u64_e32 0x7f800000, v[2:3]
	s_xor_b32 s15, exec_lo, s14
	s_cbranch_execz .LBB4_6054
; %bb.6041:                             ;   in Loop: Header=BB4_5808 Depth=3
	v_and_b32_e32 v2, 0x7fffffff, v8
	v_and_b32_e32 v22, 0x80, v9
                                        ; implicit-def: $vgpr59
	s_mov_b32 s14, exec_lo
	s_delay_alu instid0(VALU_DEP_2)
	v_cmpx_gt_u64_e32 0x43e00001, v[2:3]
	s_xor_b32 s75, exec_lo, s14
	s_cbranch_execz .LBB4_6051
; %bb.6042:                             ;   in Loop: Header=BB4_5808 Depth=3
	v_mov_b32_e32 v59, 0
	s_mov_b32 s76, exec_lo
	v_cmpx_ne_u32_e32 0, v8
	s_cbranch_execz .LBB4_6050
; %bb.6043:                             ;   in Loop: Header=BB4_5808 Depth=3
	v_bfe_u32 v23, v8, 23, 8
	s_delay_alu instid0(VALU_DEP_1) | instskip(SKIP_1) | instid1(VALU_DEP_1)
	v_sub_nc_u32_e32 v2, 0x79, v23
	v_cmp_gt_u32_e64 s13, 0x7a, v23
	v_cndmask_b32_e64 v2, 0, v2, s13
	v_cmp_eq_u32_e64 s13, 0, v23
	s_delay_alu instid0(VALU_DEP_1) | instskip(SKIP_1) | instid1(VALU_DEP_2)
	v_cndmask_b32_e64 v24, v2, 0x78, s13
	v_and_b32_e32 v2, 0x7fffff, v8
	v_add_nc_u32_e32 v8, 20, v24
	s_delay_alu instid0(VALU_DEP_2) | instskip(SKIP_1) | instid1(VALU_DEP_3)
	v_or_b32_e32 v12, 0x800000, v2
	v_add_nc_u32_e32 v13, 19, v24
	v_lshlrev_b64_e64 v[8:9], v8, -1
	s_delay_alu instid0(VALU_DEP_3) | instskip(NEXT) | instid1(VALU_DEP_3)
	v_cndmask_b32_e64 v2, v12, v2, s13
	v_lshlrev_b64_e64 v[12:13], v13, 1
	s_delay_alu instid0(VALU_DEP_3) | instskip(NEXT) | instid1(VALU_DEP_3)
	v_bfi_b32 v27, v9, 0, 0
	v_bfi_b32 v26, v8, 0, v2
	v_lshrrev_b64 v[8:9], v24, v[2:3]
	s_delay_alu instid0(VALU_DEP_2) | instskip(NEXT) | instid1(VALU_DEP_2)
	v_cmp_eq_u64_e64 s14, v[26:27], v[12:13]
	v_mov_b64_e32 v[12:13], v[8:9]
	s_and_saveexec_b32 s77, s14
; %bb.6044:                             ;   in Loop: Header=BB4_5808 Depth=3
	v_bfe_u32 v2, v8, 20, 1
	s_delay_alu instid0(VALU_DEP_1) | instskip(NEXT) | instid1(VALU_DEP_1)
	v_add_nc_u64_e32 v[12:13], v[8:9], v[2:3]
	v_add_nc_u64_e32 v[12:13], -1, v[12:13]
; %bb.6045:                             ;   in Loop: Header=BB4_5808 Depth=3
	s_or_b32 exec_lo, exec_lo, s77
	v_add_nc_u32_e32 v2, 0xffffff81, v23
	v_lshrrev_b32_e32 v9, 23, v8
	s_mov_b32 s14, exec_lo
	s_delay_alu instid0(VALU_DEP_2) | instskip(NEXT) | instid1(VALU_DEP_1)
	v_cndmask_b32_e64 v2, v2, 0xffffff82, s13
	v_add3_u32 v13, v24, v2, v9
	v_and_b32_e32 v2, 0xfffff, v12
                                        ; implicit-def: $vgpr12
	s_delay_alu instid0(VALU_DEP_1) | instskip(NEXT) | instid1(VALU_DEP_1)
	v_dual_add_nc_u32 v23, 6, v13 :: v_dual_add_nc_u32 v2, v2, v8
                                        ; implicit-def: $vgpr8_vgpr9
	v_cmpx_ne_u32_e32 0, v23
	s_xor_b32 s14, exec_lo, s14
; %bb.6046:                             ;   in Loop: Header=BB4_5808 Depth=3
	s_delay_alu instid0(VALU_DEP_2) | instskip(SKIP_1) | instid1(VALU_DEP_1)
	v_cmp_lt_u64_e64 s13, 0xffffff, v[2:3]
	v_add_nc_u32_e32 v8, 7, v13
	v_cndmask_b32_e64 v12, v23, v8, s13
	v_cndmask_b32_e64 v8, 0, 1, s13
	s_delay_alu instid0(VALU_DEP_1)
	v_lshrrev_b64 v[8:9], v8, v[2:3]
; %bb.6047:                             ;   in Loop: Header=BB4_5808 Depth=3
	s_and_not1_saveexec_b32 s13, s14
; %bb.6048:                             ;   in Loop: Header=BB4_5808 Depth=3
	v_mov_b64_e32 v[8:9], v[2:3]
	v_bfe_u32 v12, v2, 23, 1
; %bb.6049:                             ;   in Loop: Header=BB4_5808 Depth=3
	s_or_b32 exec_lo, exec_lo, s13
	s_delay_alu instid0(VALU_DEP_2) | instskip(NEXT) | instid1(VALU_DEP_2)
	v_lshrrev_b64 v[8:9], 20, v[8:9]
	v_cmp_gt_i32_e64 s13, 16, v12
	v_min_i32_e32 v2, 15, v12
	v_cmp_eq_u32_e64 s14, 0, v12
	s_delay_alu instid0(VALU_DEP_2) | instskip(SKIP_1) | instid1(VALU_DEP_2)
	v_dual_cndmask_b32 v9, 0, v9, s13 :: v_dual_lshlrev_b32 v2, 3, v2
	v_cndmask_b32_e64 v8, 7, v8, s13
	v_and_b32_e32 v2, 0xf8, v2
	s_delay_alu instid0(VALU_DEP_2) | instskip(NEXT) | instid1(VALU_DEP_2)
	v_cmp_eq_u64_e64 s13, 0, v[8:9]
	v_and_or_b32 v2, v8, 7, v2
	s_and_b32 s13, s14, s13
	s_delay_alu instid0(VALU_DEP_1) | instid1(SALU_CYCLE_1)
	v_cndmask_b32_e64 v2, v2, 0, s13
	s_delay_alu instid0(VALU_DEP_1)
	v_or_b32_e32 v59, v2, v22
.LBB4_6050:                             ;   in Loop: Header=BB4_5808 Depth=3
	s_or_b32 exec_lo, exec_lo, s76
                                        ; implicit-def: $vgpr22
.LBB4_6051:                             ;   in Loop: Header=BB4_5808 Depth=3
	s_and_not1_saveexec_b32 s13, s75
; %bb.6052:                             ;   in Loop: Header=BB4_5808 Depth=3
	v_or_b32_e32 v59, 0x7e, v22
; %bb.6053:                             ;   in Loop: Header=BB4_5808 Depth=3
	s_or_b32 exec_lo, exec_lo, s13
                                        ; implicit-def: $vgpr9
.LBB4_6054:                             ;   in Loop: Header=BB4_5808 Depth=3
	s_and_not1_saveexec_b32 s13, s15
; %bb.6055:                             ;   in Loop: Header=BB4_5808 Depth=3
	v_or_b32_e32 v59, 0x7f, v9
; %bb.6056:                             ;   in Loop: Header=BB4_5808 Depth=3
	s_or_b32 exec_lo, exec_lo, s13
	v_and_b32_e32 v8, 0xff, v14
	v_mov_b32_e32 v2, 0
	s_mov_b32 s14, exec_lo
	s_delay_alu instid0(VALU_DEP_2)
	v_cmpx_ne_u16_e32 0, v8
	s_cbranch_execz .LBB4_6062
; %bb.6057:                             ;   in Loop: Header=BB4_5808 Depth=3
	v_bfrev_b32_e32 v2, 1
	s_mov_b32 s15, exec_lo
	v_cmpx_ne_u16_e32 0x80, v8
	s_cbranch_execz .LBB4_6061
; %bb.6058:                             ;   in Loop: Header=BB4_5808 Depth=3
	v_and_b32_e32 v8, 0x7f, v14
	v_mov_b32_e32 v2, 0x7f800001
	s_mov_b32 s75, exec_lo
	s_delay_alu instid0(VALU_DEP_2)
	v_cmpx_ne_u32_e32 0x7f, v8
	s_cbranch_execz .LBB4_6060
; %bb.6059:                             ;   in Loop: Header=BB4_5808 Depth=3
	v_dual_lshrrev_b32 v9, 3, v8 :: v_dual_bitop2_b32 v2, 7, v14 bitop3:0x40
	v_cmp_gt_u32_e64 s13, 8, v8
	s_delay_alu instid0(VALU_DEP_2) | instskip(NEXT) | instid1(VALU_DEP_1)
	v_clz_i32_u32_e32 v2, v2
	v_min_u32_e32 v2, 32, v2
	s_delay_alu instid0(VALU_DEP_1) | instskip(NEXT) | instid1(VALU_DEP_1)
	v_subrev_nc_u32_e32 v12, 28, v2
	v_dual_sub_nc_u32 v2, 29, v2 :: v_dual_cndmask_b32 v8, 0, v12, s13
	s_delay_alu instid0(VALU_DEP_1) | instskip(NEXT) | instid1(VALU_DEP_2)
	v_cndmask_b32_e64 v2, v9, v2, s13
	v_lshlrev_b64_e32 v[8:9], v8, v[14:15]
	v_lshlrev_b32_e32 v9, 24, v14
	s_delay_alu instid0(VALU_DEP_1) | instskip(NEXT) | instid1(VALU_DEP_3)
	v_and_b32_e32 v9, 0x80000000, v9
	v_lshlrev_b32_e32 v8, 20, v8
	v_lshl_add_u32 v2, v2, 23, 0x3c000000
	s_delay_alu instid0(VALU_DEP_2) | instskip(NEXT) | instid1(VALU_DEP_1)
	v_and_b32_e32 v8, 0x700000, v8
	v_or3_b32 v2, v8, v9, v2
.LBB4_6060:                             ;   in Loop: Header=BB4_5808 Depth=3
	s_or_b32 exec_lo, exec_lo, s75
.LBB4_6061:                             ;   in Loop: Header=BB4_5808 Depth=3
	s_delay_alu instid0(SALU_CYCLE_1)
	s_or_b32 exec_lo, exec_lo, s15
.LBB4_6062:                             ;   in Loop: Header=BB4_5808 Depth=3
	s_delay_alu instid0(SALU_CYCLE_1) | instskip(SKIP_3) | instid1(VALU_DEP_1)
	s_or_b32 exec_lo, exec_lo, s14
	v_and_b32_e32 v9, 0xff, v10
	s_mov_b32 s14, 0
	s_mov_b32 s15, exec_lo
	v_cmpx_lt_i16_e32 0x7f, v9
	s_xor_b32 s15, exec_lo, s15
	s_cbranch_execz .LBB4_6097
; %bb.6063:                             ;   in Loop: Header=BB4_5808 Depth=3
	s_mov_b32 s14, -1
	s_mov_b32 s75, exec_lo
	v_cmpx_eq_u16_e32 0x80, v9
; %bb.6064:                             ;   in Loop: Header=BB4_5808 Depth=3
	s_xor_b32 s14, exec_lo, -1
; %bb.6065:                             ;   in Loop: Header=BB4_5808 Depth=3
	s_or_b32 exec_lo, exec_lo, s75
	s_delay_alu instid0(SALU_CYCLE_1)
	s_and_b32 s14, s14, exec_lo
                                        ; implicit-def: $vgpr9
	s_or_saveexec_b32 s15, s15
	v_bfrev_b32_e32 v8, 1
	s_xor_b32 exec_lo, exec_lo, s15
	s_cbranch_execnz .LBB4_6098
.LBB4_6066:                             ;   in Loop: Header=BB4_5808 Depth=3
	s_or_b32 exec_lo, exec_lo, s15
	s_and_saveexec_b32 s15, s14
	s_cbranch_execz .LBB4_6068
.LBB4_6067:                             ;   in Loop: Header=BB4_5808 Depth=3
	v_and_b32_e32 v8, 7, v10
	v_and_b32_e32 v12, 0x7f, v10
	v_bfe_u32 v9, v10, 3, 4
	s_delay_alu instid0(VALU_DEP_3) | instskip(NEXT) | instid1(VALU_DEP_3)
	v_clz_i32_u32_e32 v8, v8
	v_cmp_gt_u32_e64 s13, 8, v12
	s_delay_alu instid0(VALU_DEP_2) | instskip(NEXT) | instid1(VALU_DEP_1)
	v_min_u32_e32 v8, 32, v8
	v_subrev_nc_u32_e32 v13, 28, v8
	v_sub_nc_u32_e32 v8, 29, v8
	s_delay_alu instid0(VALU_DEP_1) | instskip(SKIP_1) | instid1(VALU_DEP_2)
	v_dual_cndmask_b32 v22, v9, v8, s13 :: v_dual_cndmask_b32 v8, 0, v13, s13
	v_cmp_ne_u32_e64 s13, 0x7f, v12
	v_lshl_add_u32 v13, v22, 23, 0x3c000000
	s_delay_alu instid0(VALU_DEP_3) | instskip(SKIP_1) | instid1(VALU_DEP_1)
	v_lshlrev_b64_e32 v[8:9], v8, v[10:11]
	v_lshlrev_b32_e32 v9, 24, v10
	v_and_b32_e32 v9, 0x80000000, v9
	s_delay_alu instid0(VALU_DEP_3) | instskip(NEXT) | instid1(VALU_DEP_1)
	v_lshlrev_b32_e32 v8, 20, v8
	v_and_b32_e32 v8, 0x700000, v8
	s_delay_alu instid0(VALU_DEP_1) | instskip(NEXT) | instid1(VALU_DEP_1)
	v_or3_b32 v8, v8, v9, v13
	v_cndmask_b32_e64 v8, 0x7f800001, v8, s13
.LBB4_6068:                             ;   in Loop: Header=BB4_5808 Depth=3
	s_or_b32 exec_lo, exec_lo, s15
	s_delay_alu instid0(VALU_DEP_1) | instskip(SKIP_1) | instid1(VALU_DEP_1)
	v_add_f32_e32 v8, v2, v8
                                        ; implicit-def: $vgpr79
	s_mov_b32 s14, exec_lo
	v_and_b32_e32 v2, 0x7f800000, v8
	v_lshrrev_b32_e32 v9, 24, v8
	s_delay_alu instid0(VALU_DEP_2)
	v_cmpx_ne_u64_e32 0x7f800000, v[2:3]
	s_xor_b32 s15, exec_lo, s14
	s_cbranch_execz .LBB4_6082
; %bb.6069:                             ;   in Loop: Header=BB4_5808 Depth=3
	v_and_b32_e32 v2, 0x7fffffff, v8
	v_and_b32_e32 v22, 0x80, v9
                                        ; implicit-def: $vgpr79
	s_mov_b32 s14, exec_lo
	s_delay_alu instid0(VALU_DEP_2)
	v_cmpx_gt_u64_e32 0x43e00001, v[2:3]
	s_xor_b32 s75, exec_lo, s14
	s_cbranch_execz .LBB4_6079
; %bb.6070:                             ;   in Loop: Header=BB4_5808 Depth=3
	v_mov_b32_e32 v79, 0
	s_mov_b32 s76, exec_lo
	v_cmpx_ne_u32_e32 0, v8
	s_cbranch_execz .LBB4_6078
; %bb.6071:                             ;   in Loop: Header=BB4_5808 Depth=3
	v_bfe_u32 v23, v8, 23, 8
	s_delay_alu instid0(VALU_DEP_1) | instskip(SKIP_1) | instid1(VALU_DEP_1)
	v_sub_nc_u32_e32 v2, 0x79, v23
	v_cmp_gt_u32_e64 s13, 0x7a, v23
	v_cndmask_b32_e64 v2, 0, v2, s13
	v_cmp_eq_u32_e64 s13, 0, v23
	s_delay_alu instid0(VALU_DEP_1) | instskip(SKIP_1) | instid1(VALU_DEP_2)
	v_cndmask_b32_e64 v24, v2, 0x78, s13
	v_and_b32_e32 v2, 0x7fffff, v8
	v_add_nc_u32_e32 v8, 20, v24
	s_delay_alu instid0(VALU_DEP_2) | instskip(SKIP_1) | instid1(VALU_DEP_3)
	v_or_b32_e32 v12, 0x800000, v2
	v_add_nc_u32_e32 v13, 19, v24
	v_lshlrev_b64_e64 v[8:9], v8, -1
	s_delay_alu instid0(VALU_DEP_3) | instskip(NEXT) | instid1(VALU_DEP_3)
	v_cndmask_b32_e64 v2, v12, v2, s13
	v_lshlrev_b64_e64 v[12:13], v13, 1
	s_delay_alu instid0(VALU_DEP_3) | instskip(NEXT) | instid1(VALU_DEP_3)
	v_bfi_b32 v27, v9, 0, 0
	v_bfi_b32 v26, v8, 0, v2
	v_lshrrev_b64 v[8:9], v24, v[2:3]
	s_delay_alu instid0(VALU_DEP_2) | instskip(NEXT) | instid1(VALU_DEP_2)
	v_cmp_eq_u64_e64 s14, v[26:27], v[12:13]
	v_mov_b64_e32 v[12:13], v[8:9]
	s_and_saveexec_b32 s77, s14
; %bb.6072:                             ;   in Loop: Header=BB4_5808 Depth=3
	v_bfe_u32 v2, v8, 20, 1
	s_delay_alu instid0(VALU_DEP_1) | instskip(NEXT) | instid1(VALU_DEP_1)
	v_add_nc_u64_e32 v[12:13], v[8:9], v[2:3]
	v_add_nc_u64_e32 v[12:13], -1, v[12:13]
; %bb.6073:                             ;   in Loop: Header=BB4_5808 Depth=3
	s_or_b32 exec_lo, exec_lo, s77
	v_add_nc_u32_e32 v2, 0xffffff81, v23
	v_lshrrev_b32_e32 v9, 23, v8
	s_mov_b32 s14, exec_lo
	s_delay_alu instid0(VALU_DEP_2) | instskip(NEXT) | instid1(VALU_DEP_1)
	v_cndmask_b32_e64 v2, v2, 0xffffff82, s13
	v_add3_u32 v13, v24, v2, v9
	v_and_b32_e32 v2, 0xfffff, v12
                                        ; implicit-def: $vgpr12
	s_delay_alu instid0(VALU_DEP_1) | instskip(NEXT) | instid1(VALU_DEP_1)
	v_dual_add_nc_u32 v23, 6, v13 :: v_dual_add_nc_u32 v2, v2, v8
                                        ; implicit-def: $vgpr8_vgpr9
	v_cmpx_ne_u32_e32 0, v23
	s_xor_b32 s14, exec_lo, s14
; %bb.6074:                             ;   in Loop: Header=BB4_5808 Depth=3
	s_delay_alu instid0(VALU_DEP_2) | instskip(SKIP_1) | instid1(VALU_DEP_1)
	v_cmp_lt_u64_e64 s13, 0xffffff, v[2:3]
	v_add_nc_u32_e32 v8, 7, v13
	v_cndmask_b32_e64 v12, v23, v8, s13
	v_cndmask_b32_e64 v8, 0, 1, s13
	s_delay_alu instid0(VALU_DEP_1)
	v_lshrrev_b64 v[8:9], v8, v[2:3]
; %bb.6075:                             ;   in Loop: Header=BB4_5808 Depth=3
	s_and_not1_saveexec_b32 s13, s14
; %bb.6076:                             ;   in Loop: Header=BB4_5808 Depth=3
	v_mov_b64_e32 v[8:9], v[2:3]
	v_bfe_u32 v12, v2, 23, 1
; %bb.6077:                             ;   in Loop: Header=BB4_5808 Depth=3
	s_or_b32 exec_lo, exec_lo, s13
	s_delay_alu instid0(VALU_DEP_2) | instskip(NEXT) | instid1(VALU_DEP_2)
	v_lshrrev_b64 v[8:9], 20, v[8:9]
	v_cmp_gt_i32_e64 s13, 16, v12
	v_min_i32_e32 v2, 15, v12
	v_cmp_eq_u32_e64 s14, 0, v12
	s_delay_alu instid0(VALU_DEP_2) | instskip(SKIP_1) | instid1(VALU_DEP_2)
	v_dual_cndmask_b32 v9, 0, v9, s13 :: v_dual_lshlrev_b32 v2, 3, v2
	v_cndmask_b32_e64 v8, 7, v8, s13
	v_and_b32_e32 v2, 0xf8, v2
	s_delay_alu instid0(VALU_DEP_2) | instskip(NEXT) | instid1(VALU_DEP_2)
	v_cmp_eq_u64_e64 s13, 0, v[8:9]
	v_and_or_b32 v2, v8, 7, v2
	s_and_b32 s13, s14, s13
	s_delay_alu instid0(VALU_DEP_1) | instid1(SALU_CYCLE_1)
	v_cndmask_b32_e64 v2, v2, 0, s13
	s_delay_alu instid0(VALU_DEP_1)
	v_or_b32_e32 v79, v2, v22
.LBB4_6078:                             ;   in Loop: Header=BB4_5808 Depth=3
	s_or_b32 exec_lo, exec_lo, s76
                                        ; implicit-def: $vgpr22
.LBB4_6079:                             ;   in Loop: Header=BB4_5808 Depth=3
	s_and_not1_saveexec_b32 s13, s75
; %bb.6080:                             ;   in Loop: Header=BB4_5808 Depth=3
	v_or_b32_e32 v79, 0x7e, v22
; %bb.6081:                             ;   in Loop: Header=BB4_5808 Depth=3
	s_or_b32 exec_lo, exec_lo, s13
                                        ; implicit-def: $vgpr9
.LBB4_6082:                             ;   in Loop: Header=BB4_5808 Depth=3
	s_and_not1_saveexec_b32 s13, s15
; %bb.6083:                             ;   in Loop: Header=BB4_5808 Depth=3
	v_or_b32_e32 v79, 0x7f, v9
; %bb.6084:                             ;   in Loop: Header=BB4_5808 Depth=3
	s_or_b32 exec_lo, exec_lo, s13
	v_lshrrev_b16 v2, 8, v14
	v_mov_b32_e32 v8, 0
	s_mov_b32 s14, exec_lo
	s_delay_alu instid0(VALU_DEP_2)
	v_cmpx_ne_u16_e32 0, v2
	s_cbranch_execz .LBB4_6092
; %bb.6085:                             ;   in Loop: Header=BB4_5808 Depth=3
	v_bfrev_b32_e32 v8, 1
	s_mov_b32 s15, exec_lo
	v_cmpx_ne_u16_e32 0x80, v2
	s_cbranch_execz .LBB4_6091
; %bb.6086:                             ;   in Loop: Header=BB4_5808 Depth=3
	v_and_b32_e32 v2, 0xffff, v2
	v_mov_b32_e32 v8, 0x7f800001
	s_mov_b32 s75, exec_lo
	s_delay_alu instid0(VALU_DEP_2) | instskip(NEXT) | instid1(VALU_DEP_1)
	v_and_b32_e32 v9, 0x7f, v2
	v_cmpx_ne_u32_e32 0x7f, v9
	s_cbranch_execz .LBB4_6090
; %bb.6087:                             ;   in Loop: Header=BB4_5808 Depth=3
	v_dual_lshrrev_b32 v12, 3, v9 :: v_dual_bitop2_b32 v2, 7, v2 bitop3:0x40
	v_cmp_gt_u32_e64 s13, 8, v9
	s_delay_alu instid0(VALU_DEP_2)
	v_mov_b64_e32 v[8:9], v[2:3]
	s_and_saveexec_b32 s76, s13
; %bb.6088:                             ;   in Loop: Header=BB4_5808 Depth=3
	v_clz_i32_u32_e32 v8, v2
	s_delay_alu instid0(VALU_DEP_1) | instskip(NEXT) | instid1(VALU_DEP_1)
	v_min_u32_e32 v12, 32, v8
	v_subrev_nc_u32_e32 v8, 28, v12
	v_sub_nc_u32_e32 v12, 29, v12
	s_delay_alu instid0(VALU_DEP_2) | instskip(NEXT) | instid1(VALU_DEP_1)
	v_lshlrev_b64_e32 v[8:9], v8, v[2:3]
	v_and_b32_e32 v8, 7, v8
; %bb.6089:                             ;   in Loop: Header=BB4_5808 Depth=3
	s_or_b32 exec_lo, exec_lo, s76
	s_delay_alu instid0(VALU_DEP_1) | instskip(SKIP_1) | instid1(VALU_DEP_2)
	v_dual_lshlrev_b32 v2, 16, v14 :: v_dual_lshlrev_b32 v8, 20, v8
	v_lshl_add_u32 v9, v12, 23, 0x3c000000
	v_and_b32_e32 v2, 0x80000000, v2
	s_delay_alu instid0(VALU_DEP_1)
	v_or3_b32 v8, v8, v2, v9
.LBB4_6090:                             ;   in Loop: Header=BB4_5808 Depth=3
	s_or_b32 exec_lo, exec_lo, s75
.LBB4_6091:                             ;   in Loop: Header=BB4_5808 Depth=3
	s_delay_alu instid0(SALU_CYCLE_1)
	s_or_b32 exec_lo, exec_lo, s15
.LBB4_6092:                             ;   in Loop: Header=BB4_5808 Depth=3
	s_delay_alu instid0(SALU_CYCLE_1) | instskip(SKIP_3) | instid1(VALU_DEP_1)
	s_or_b32 exec_lo, exec_lo, s14
	v_lshrrev_b16 v9, 8, v10
	s_mov_b32 s15, 0
	s_mov_b32 s14, exec_lo
	v_cmpx_lt_i16_e32 0x7f, v9
	s_xor_b32 s14, exec_lo, s14
	s_cbranch_execz .LBB4_6099
; %bb.6093:                             ;   in Loop: Header=BB4_5808 Depth=3
	s_mov_b32 s15, -1
	s_mov_b32 s75, exec_lo
	v_cmpx_eq_u16_e32 0x80, v9
; %bb.6094:                             ;   in Loop: Header=BB4_5808 Depth=3
	s_xor_b32 s15, exec_lo, -1
; %bb.6095:                             ;   in Loop: Header=BB4_5808 Depth=3
	s_or_b32 exec_lo, exec_lo, s75
	s_delay_alu instid0(SALU_CYCLE_1)
	s_and_b32 s15, s15, exec_lo
	s_or_saveexec_b32 s14, s14
	v_bfrev_b32_e32 v12, 1
	s_xor_b32 exec_lo, exec_lo, s14
	s_cbranch_execnz .LBB4_6100
.LBB4_6096:                             ;   in Loop: Header=BB4_5808 Depth=3
	s_or_b32 exec_lo, exec_lo, s14
	s_and_saveexec_b32 s14, s15
	s_cbranch_execnz .LBB4_6101
	s_branch .LBB4_6104
.LBB4_6097:                             ;   in Loop: Header=BB4_5808 Depth=3
	s_or_saveexec_b32 s15, s15
	v_bfrev_b32_e32 v8, 1
	s_xor_b32 exec_lo, exec_lo, s15
	s_cbranch_execz .LBB4_6066
.LBB4_6098:                             ;   in Loop: Header=BB4_5808 Depth=3
	v_cmp_ne_u16_e64 s13, 0, v9
	v_mov_b32_e32 v8, 0
	s_and_not1_b32 s14, s14, exec_lo
	s_and_b32 s13, s13, exec_lo
	s_delay_alu instid0(SALU_CYCLE_1)
	s_or_b32 s14, s14, s13
	s_or_b32 exec_lo, exec_lo, s15
	s_and_saveexec_b32 s15, s14
	s_cbranch_execnz .LBB4_6067
	s_branch .LBB4_6068
.LBB4_6099:                             ;   in Loop: Header=BB4_5808 Depth=3
	s_or_saveexec_b32 s14, s14
	v_bfrev_b32_e32 v12, 1
	s_xor_b32 exec_lo, exec_lo, s14
	s_cbranch_execz .LBB4_6096
.LBB4_6100:                             ;   in Loop: Header=BB4_5808 Depth=3
	v_cmp_ne_u16_e64 s13, 0, v9
	v_mov_b32_e32 v12, 0
	s_and_not1_b32 s15, s15, exec_lo
	s_and_b32 s13, s13, exec_lo
	s_delay_alu instid0(SALU_CYCLE_1)
	s_or_b32 s15, s15, s13
	s_or_b32 exec_lo, exec_lo, s14
	s_and_saveexec_b32 s14, s15
	s_cbranch_execz .LBB4_6104
.LBB4_6101:                             ;   in Loop: Header=BB4_5808 Depth=3
	v_and_b32_e32 v2, 0xffff, v9
	v_mov_b32_e32 v12, 0x7f800001
	s_mov_b32 s15, exec_lo
	s_delay_alu instid0(VALU_DEP_2) | instskip(NEXT) | instid1(VALU_DEP_1)
	v_and_b32_e32 v13, 0x7f, v2
	v_cmpx_ne_u32_e32 0x7f, v13
	s_cbranch_execz .LBB4_6103
; %bb.6102:                             ;   in Loop: Header=BB4_5808 Depth=3
	v_and_b32_e32 v12, 7, v2
	v_cmp_gt_u32_e64 s13, 8, v13
	s_delay_alu instid0(VALU_DEP_2) | instskip(NEXT) | instid1(VALU_DEP_1)
	v_clz_i32_u32_e32 v22, v12
	v_min_u32_e32 v24, 32, v22
	s_delay_alu instid0(VALU_DEP_1) | instskip(NEXT) | instid1(VALU_DEP_1)
	v_subrev_nc_u32_e32 v22, 28, v24
	v_lshlrev_b64_e32 v[22:23], v22, v[2:3]
	v_dual_lshrrev_b32 v2, 3, v13 :: v_dual_sub_nc_u32 v23, 29, v24
	s_delay_alu instid0(VALU_DEP_2) | instskip(NEXT) | instid1(VALU_DEP_1)
	v_dual_lshlrev_b32 v9, 24, v9 :: v_dual_bitop2_b32 v13, 7, v22 bitop3:0x40
	v_dual_cndmask_b32 v2, v2, v23, s13 :: v_dual_cndmask_b32 v12, v12, v13, s13
	s_delay_alu instid0(VALU_DEP_2) | instskip(NEXT) | instid1(VALU_DEP_2)
	v_and_b32_e32 v9, 0x80000000, v9
	v_lshl_add_u32 v2, v2, 23, 0x3c000000
	s_delay_alu instid0(VALU_DEP_3) | instskip(NEXT) | instid1(VALU_DEP_1)
	v_lshlrev_b32_e32 v12, 20, v12
	v_or3_b32 v12, v12, v9, v2
.LBB4_6103:                             ;   in Loop: Header=BB4_5808 Depth=3
	s_or_b32 exec_lo, exec_lo, s15
.LBB4_6104:                             ;   in Loop: Header=BB4_5808 Depth=3
	s_delay_alu instid0(SALU_CYCLE_1) | instskip(NEXT) | instid1(VALU_DEP_1)
	s_or_b32 exec_lo, exec_lo, s14
	v_add_f32_e32 v8, v8, v12
                                        ; implicit-def: $vgpr104
	s_mov_b32 s14, exec_lo
	s_delay_alu instid0(VALU_DEP_1) | instskip(SKIP_1) | instid1(VALU_DEP_2)
	v_and_b32_e32 v2, 0x7f800000, v8
	v_lshrrev_b32_e32 v9, 24, v8
	v_cmpx_ne_u64_e32 0x7f800000, v[2:3]
	s_xor_b32 s15, exec_lo, s14
	s_cbranch_execz .LBB4_6118
; %bb.6105:                             ;   in Loop: Header=BB4_5808 Depth=3
	v_and_b32_e32 v2, 0x7fffffff, v8
	v_and_b32_e32 v22, 0x80, v9
                                        ; implicit-def: $vgpr104
	s_mov_b32 s14, exec_lo
	s_delay_alu instid0(VALU_DEP_2)
	v_cmpx_gt_u64_e32 0x43e00001, v[2:3]
	s_xor_b32 s75, exec_lo, s14
	s_cbranch_execz .LBB4_6115
; %bb.6106:                             ;   in Loop: Header=BB4_5808 Depth=3
	v_mov_b32_e32 v104, 0
	s_mov_b32 s76, exec_lo
	v_cmpx_ne_u32_e32 0, v8
	s_cbranch_execz .LBB4_6114
; %bb.6107:                             ;   in Loop: Header=BB4_5808 Depth=3
	v_bfe_u32 v23, v8, 23, 8
	s_delay_alu instid0(VALU_DEP_1) | instskip(SKIP_1) | instid1(VALU_DEP_1)
	v_sub_nc_u32_e32 v2, 0x79, v23
	v_cmp_gt_u32_e64 s13, 0x7a, v23
	v_cndmask_b32_e64 v2, 0, v2, s13
	v_cmp_eq_u32_e64 s13, 0, v23
	s_delay_alu instid0(VALU_DEP_1) | instskip(SKIP_1) | instid1(VALU_DEP_2)
	v_cndmask_b32_e64 v24, v2, 0x78, s13
	v_and_b32_e32 v2, 0x7fffff, v8
	v_add_nc_u32_e32 v8, 20, v24
	s_delay_alu instid0(VALU_DEP_2) | instskip(SKIP_1) | instid1(VALU_DEP_3)
	v_or_b32_e32 v12, 0x800000, v2
	v_add_nc_u32_e32 v13, 19, v24
	v_lshlrev_b64_e64 v[8:9], v8, -1
	s_delay_alu instid0(VALU_DEP_3) | instskip(NEXT) | instid1(VALU_DEP_3)
	v_cndmask_b32_e64 v2, v12, v2, s13
	v_lshlrev_b64_e64 v[12:13], v13, 1
	s_delay_alu instid0(VALU_DEP_3) | instskip(NEXT) | instid1(VALU_DEP_3)
	v_bfi_b32 v27, v9, 0, 0
	v_bfi_b32 v26, v8, 0, v2
	v_lshrrev_b64 v[8:9], v24, v[2:3]
	s_delay_alu instid0(VALU_DEP_2) | instskip(NEXT) | instid1(VALU_DEP_2)
	v_cmp_eq_u64_e64 s14, v[26:27], v[12:13]
	v_mov_b64_e32 v[12:13], v[8:9]
	s_and_saveexec_b32 s77, s14
; %bb.6108:                             ;   in Loop: Header=BB4_5808 Depth=3
	v_bfe_u32 v2, v8, 20, 1
	s_delay_alu instid0(VALU_DEP_1) | instskip(NEXT) | instid1(VALU_DEP_1)
	v_add_nc_u64_e32 v[12:13], v[8:9], v[2:3]
	v_add_nc_u64_e32 v[12:13], -1, v[12:13]
; %bb.6109:                             ;   in Loop: Header=BB4_5808 Depth=3
	s_or_b32 exec_lo, exec_lo, s77
	v_add_nc_u32_e32 v2, 0xffffff81, v23
	v_lshrrev_b32_e32 v9, 23, v8
	s_mov_b32 s14, exec_lo
	s_delay_alu instid0(VALU_DEP_2) | instskip(NEXT) | instid1(VALU_DEP_1)
	v_cndmask_b32_e64 v2, v2, 0xffffff82, s13
	v_add3_u32 v13, v24, v2, v9
	v_and_b32_e32 v2, 0xfffff, v12
                                        ; implicit-def: $vgpr12
	s_delay_alu instid0(VALU_DEP_1) | instskip(NEXT) | instid1(VALU_DEP_1)
	v_dual_add_nc_u32 v23, 6, v13 :: v_dual_add_nc_u32 v2, v2, v8
                                        ; implicit-def: $vgpr8_vgpr9
	v_cmpx_ne_u32_e32 0, v23
	s_xor_b32 s14, exec_lo, s14
; %bb.6110:                             ;   in Loop: Header=BB4_5808 Depth=3
	s_delay_alu instid0(VALU_DEP_2) | instskip(SKIP_1) | instid1(VALU_DEP_1)
	v_cmp_lt_u64_e64 s13, 0xffffff, v[2:3]
	v_add_nc_u32_e32 v8, 7, v13
	v_cndmask_b32_e64 v12, v23, v8, s13
	v_cndmask_b32_e64 v8, 0, 1, s13
	s_delay_alu instid0(VALU_DEP_1)
	v_lshrrev_b64 v[8:9], v8, v[2:3]
; %bb.6111:                             ;   in Loop: Header=BB4_5808 Depth=3
	s_and_not1_saveexec_b32 s13, s14
; %bb.6112:                             ;   in Loop: Header=BB4_5808 Depth=3
	v_mov_b64_e32 v[8:9], v[2:3]
	v_bfe_u32 v12, v2, 23, 1
; %bb.6113:                             ;   in Loop: Header=BB4_5808 Depth=3
	s_or_b32 exec_lo, exec_lo, s13
	s_delay_alu instid0(VALU_DEP_2) | instskip(NEXT) | instid1(VALU_DEP_2)
	v_lshrrev_b64 v[8:9], 20, v[8:9]
	v_cmp_gt_i32_e64 s13, 16, v12
	v_min_i32_e32 v2, 15, v12
	v_cmp_eq_u32_e64 s14, 0, v12
	s_delay_alu instid0(VALU_DEP_2) | instskip(SKIP_1) | instid1(VALU_DEP_2)
	v_dual_cndmask_b32 v9, 0, v9, s13 :: v_dual_lshlrev_b32 v2, 3, v2
	v_cndmask_b32_e64 v8, 7, v8, s13
	v_and_b32_e32 v2, 0xf8, v2
	s_delay_alu instid0(VALU_DEP_2) | instskip(NEXT) | instid1(VALU_DEP_2)
	v_cmp_eq_u64_e64 s13, 0, v[8:9]
	v_and_or_b32 v2, v8, 7, v2
	s_and_b32 s13, s14, s13
	s_delay_alu instid0(VALU_DEP_1) | instid1(SALU_CYCLE_1)
	v_cndmask_b32_e64 v2, v2, 0, s13
	s_delay_alu instid0(VALU_DEP_1)
	v_or_b32_e32 v104, v2, v22
.LBB4_6114:                             ;   in Loop: Header=BB4_5808 Depth=3
	s_or_b32 exec_lo, exec_lo, s76
                                        ; implicit-def: $vgpr22
.LBB4_6115:                             ;   in Loop: Header=BB4_5808 Depth=3
	s_and_not1_saveexec_b32 s13, s75
; %bb.6116:                             ;   in Loop: Header=BB4_5808 Depth=3
	v_or_b32_e32 v104, 0x7e, v22
; %bb.6117:                             ;   in Loop: Header=BB4_5808 Depth=3
	s_or_b32 exec_lo, exec_lo, s13
                                        ; implicit-def: $vgpr9
.LBB4_6118:                             ;   in Loop: Header=BB4_5808 Depth=3
	s_and_not1_saveexec_b32 s13, s15
; %bb.6119:                             ;   in Loop: Header=BB4_5808 Depth=3
	v_or_b32_e32 v104, 0x7f, v9
; %bb.6120:                             ;   in Loop: Header=BB4_5808 Depth=3
	s_or_b32 exec_lo, exec_lo, s13
	v_dual_lshrrev_b32 v12, 16, v14 :: v_dual_mov_b32 v8, 0
	s_mov_b32 s14, exec_lo
	s_delay_alu instid0(VALU_DEP_1) | instskip(NEXT) | instid1(VALU_DEP_1)
	v_and_b32_e32 v2, 0xff, v12
	v_cmpx_ne_u16_e32 0, v2
	s_cbranch_execz .LBB4_6128
; %bb.6121:                             ;   in Loop: Header=BB4_5808 Depth=3
	v_bfrev_b32_e32 v8, 1
	s_mov_b32 s15, exec_lo
	v_cmpx_ne_u16_e32 0x80, v2
	s_cbranch_execz .LBB4_6127
; %bb.6122:                             ;   in Loop: Header=BB4_5808 Depth=3
	v_bfe_u32 v9, v14, 16, 7
	v_mov_b32_e32 v8, 0x7f800001
	s_mov_b32 s75, exec_lo
	s_delay_alu instid0(VALU_DEP_2)
	v_cmpx_ne_u32_e32 0x7f, v9
	s_cbranch_execz .LBB4_6126
; %bb.6123:                             ;   in Loop: Header=BB4_5808 Depth=3
	v_dual_lshrrev_b32 v13, 3, v9 :: v_dual_bitop2_b32 v2, 7, v12 bitop3:0x40
	v_cmp_gt_u32_e64 s13, 8, v9
	s_delay_alu instid0(VALU_DEP_2)
	v_mov_b64_e32 v[8:9], v[2:3]
	s_and_saveexec_b32 s76, s13
; %bb.6124:                             ;   in Loop: Header=BB4_5808 Depth=3
	v_clz_i32_u32_e32 v8, v2
	s_delay_alu instid0(VALU_DEP_1) | instskip(NEXT) | instid1(VALU_DEP_1)
	v_min_u32_e32 v13, 32, v8
	v_subrev_nc_u32_e32 v8, 28, v13
	s_delay_alu instid0(VALU_DEP_1) | instskip(NEXT) | instid1(VALU_DEP_1)
	v_lshlrev_b64_e32 v[8:9], v8, v[2:3]
	v_dual_sub_nc_u32 v13, 29, v13 :: v_dual_bitop2_b32 v8, 7, v8 bitop3:0x40
; %bb.6125:                             ;   in Loop: Header=BB4_5808 Depth=3
	s_or_b32 exec_lo, exec_lo, s76
	v_lshlrev_b32_e32 v2, 24, v12
	s_delay_alu instid0(VALU_DEP_2) | instskip(NEXT) | instid1(VALU_DEP_3)
	v_lshlrev_b32_e32 v8, 20, v8
	v_lshl_add_u32 v9, v13, 23, 0x3c000000
	s_delay_alu instid0(VALU_DEP_3) | instskip(NEXT) | instid1(VALU_DEP_1)
	v_and_b32_e32 v2, 0x80000000, v2
	v_or3_b32 v8, v8, v2, v9
.LBB4_6126:                             ;   in Loop: Header=BB4_5808 Depth=3
	s_or_b32 exec_lo, exec_lo, s75
.LBB4_6127:                             ;   in Loop: Header=BB4_5808 Depth=3
	s_delay_alu instid0(SALU_CYCLE_1)
	s_or_b32 exec_lo, exec_lo, s15
.LBB4_6128:                             ;   in Loop: Header=BB4_5808 Depth=3
	s_delay_alu instid0(SALU_CYCLE_1) | instskip(SKIP_3) | instid1(VALU_DEP_1)
	s_or_b32 exec_lo, exec_lo, s14
	v_lshrrev_b32_e32 v2, 16, v10
	s_mov_b32 s15, 0
	s_mov_b32 s14, exec_lo
	v_and_b32_e32 v12, 0xff, v2
	s_delay_alu instid0(VALU_DEP_1)
	v_cmpx_lt_i16_e32 0x7f, v12
	s_xor_b32 s14, exec_lo, s14
	s_cbranch_execz .LBB4_6133
; %bb.6129:                             ;   in Loop: Header=BB4_5808 Depth=3
	s_mov_b32 s15, -1
	s_mov_b32 s75, exec_lo
	v_cmpx_eq_u16_e32 0x80, v12
; %bb.6130:                             ;   in Loop: Header=BB4_5808 Depth=3
	s_xor_b32 s15, exec_lo, -1
; %bb.6131:                             ;   in Loop: Header=BB4_5808 Depth=3
	s_or_b32 exec_lo, exec_lo, s75
	s_delay_alu instid0(SALU_CYCLE_1)
	s_and_b32 s15, s15, exec_lo
                                        ; implicit-def: $vgpr12
	s_or_saveexec_b32 s14, s14
	v_bfrev_b32_e32 v9, 1
	s_xor_b32 exec_lo, exec_lo, s14
	s_cbranch_execnz .LBB4_6134
.LBB4_6132:                             ;   in Loop: Header=BB4_5808 Depth=3
	s_or_b32 exec_lo, exec_lo, s14
	s_and_saveexec_b32 s14, s15
	s_cbranch_execnz .LBB4_6135
	s_branch .LBB4_6138
.LBB4_6133:                             ;   in Loop: Header=BB4_5808 Depth=3
	s_or_saveexec_b32 s14, s14
	v_bfrev_b32_e32 v9, 1
	s_xor_b32 exec_lo, exec_lo, s14
	s_cbranch_execz .LBB4_6132
.LBB4_6134:                             ;   in Loop: Header=BB4_5808 Depth=3
	v_cmp_ne_u16_e64 s13, 0, v12
	v_mov_b32_e32 v9, 0
	s_and_not1_b32 s15, s15, exec_lo
	s_and_b32 s13, s13, exec_lo
	s_delay_alu instid0(SALU_CYCLE_1)
	s_or_b32 s15, s15, s13
	s_or_b32 exec_lo, exec_lo, s14
	s_and_saveexec_b32 s14, s15
	s_cbranch_execz .LBB4_6138
.LBB4_6135:                             ;   in Loop: Header=BB4_5808 Depth=3
	v_and_b32_e32 v12, 0x7f, v2
	v_mov_b32_e32 v9, 0x7f800001
	s_mov_b32 s15, exec_lo
	s_delay_alu instid0(VALU_DEP_2)
	v_cmpx_ne_u32_e32 0x7f, v12
	s_cbranch_execz .LBB4_6137
; %bb.6136:                             ;   in Loop: Header=BB4_5808 Depth=3
	v_and_b32_e32 v9, 7, v2
	v_cmp_gt_u32_e64 s13, 8, v12
	s_delay_alu instid0(VALU_DEP_2) | instskip(NEXT) | instid1(VALU_DEP_1)
	v_clz_i32_u32_e32 v13, v9
	v_min_u32_e32 v13, 32, v13
	s_delay_alu instid0(VALU_DEP_1) | instskip(NEXT) | instid1(VALU_DEP_1)
	v_subrev_nc_u32_e32 v22, 28, v13
	v_lshlrev_b64_e32 v[22:23], v22, v[2:3]
	v_dual_lshrrev_b32 v23, 3, v12 :: v_dual_sub_nc_u32 v13, 29, v13
	s_delay_alu instid0(VALU_DEP_2) | instskip(NEXT) | instid1(VALU_DEP_2)
	v_and_b32_e32 v12, 7, v22
	v_dual_lshlrev_b32 v2, 24, v2 :: v_dual_cndmask_b32 v13, v23, v13, s13
	s_delay_alu instid0(VALU_DEP_2) | instskip(NEXT) | instid1(VALU_DEP_2)
	v_cndmask_b32_e64 v9, v9, v12, s13
	v_and_b32_e32 v2, 0x80000000, v2
	s_delay_alu instid0(VALU_DEP_3) | instskip(NEXT) | instid1(VALU_DEP_3)
	v_lshl_add_u32 v12, v13, 23, 0x3c000000
	v_lshlrev_b32_e32 v9, 20, v9
	s_delay_alu instid0(VALU_DEP_1)
	v_or3_b32 v9, v9, v2, v12
.LBB4_6137:                             ;   in Loop: Header=BB4_5808 Depth=3
	s_or_b32 exec_lo, exec_lo, s15
.LBB4_6138:                             ;   in Loop: Header=BB4_5808 Depth=3
	s_delay_alu instid0(SALU_CYCLE_1) | instskip(NEXT) | instid1(VALU_DEP_1)
	s_or_b32 exec_lo, exec_lo, s14
	v_add_f32_e32 v8, v8, v9
                                        ; implicit-def: $vgpr26
	s_mov_b32 s14, exec_lo
	s_delay_alu instid0(VALU_DEP_1) | instskip(SKIP_1) | instid1(VALU_DEP_2)
	v_and_b32_e32 v2, 0x7f800000, v8
	v_lshrrev_b32_e32 v9, 24, v8
	v_cmpx_ne_u64_e32 0x7f800000, v[2:3]
	s_xor_b32 s15, exec_lo, s14
	s_cbranch_execz .LBB4_6152
; %bb.6139:                             ;   in Loop: Header=BB4_5808 Depth=3
	v_and_b32_e32 v2, 0x7fffffff, v8
	v_and_b32_e32 v22, 0x80, v9
                                        ; implicit-def: $vgpr26
	s_mov_b32 s14, exec_lo
	s_delay_alu instid0(VALU_DEP_2)
	v_cmpx_gt_u64_e32 0x43e00001, v[2:3]
	s_xor_b32 s75, exec_lo, s14
	s_cbranch_execz .LBB4_6149
; %bb.6140:                             ;   in Loop: Header=BB4_5808 Depth=3
	v_mov_b32_e32 v26, 0
	s_mov_b32 s76, exec_lo
	v_cmpx_ne_u32_e32 0, v8
	s_cbranch_execz .LBB4_6148
; %bb.6141:                             ;   in Loop: Header=BB4_5808 Depth=3
	v_bfe_u32 v23, v8, 23, 8
	s_delay_alu instid0(VALU_DEP_1) | instskip(SKIP_1) | instid1(VALU_DEP_1)
	v_sub_nc_u32_e32 v2, 0x79, v23
	v_cmp_gt_u32_e64 s13, 0x7a, v23
	v_cndmask_b32_e64 v2, 0, v2, s13
	v_cmp_eq_u32_e64 s13, 0, v23
	s_delay_alu instid0(VALU_DEP_1) | instskip(SKIP_1) | instid1(VALU_DEP_2)
	v_cndmask_b32_e64 v24, v2, 0x78, s13
	v_and_b32_e32 v2, 0x7fffff, v8
	v_add_nc_u32_e32 v8, 20, v24
	s_delay_alu instid0(VALU_DEP_2) | instskip(SKIP_1) | instid1(VALU_DEP_3)
	v_or_b32_e32 v12, 0x800000, v2
	v_add_nc_u32_e32 v13, 19, v24
	v_lshlrev_b64_e64 v[8:9], v8, -1
	s_delay_alu instid0(VALU_DEP_3) | instskip(NEXT) | instid1(VALU_DEP_3)
	v_cndmask_b32_e64 v2, v12, v2, s13
	v_lshlrev_b64_e64 v[12:13], v13, 1
	s_delay_alu instid0(VALU_DEP_3) | instskip(NEXT) | instid1(VALU_DEP_3)
	v_bfi_b32 v27, v9, 0, 0
	v_bfi_b32 v26, v8, 0, v2
	v_lshrrev_b64 v[8:9], v24, v[2:3]
	s_delay_alu instid0(VALU_DEP_2) | instskip(NEXT) | instid1(VALU_DEP_2)
	v_cmp_eq_u64_e64 s14, v[26:27], v[12:13]
	v_mov_b64_e32 v[12:13], v[8:9]
	s_and_saveexec_b32 s77, s14
; %bb.6142:                             ;   in Loop: Header=BB4_5808 Depth=3
	v_bfe_u32 v2, v8, 20, 1
	s_delay_alu instid0(VALU_DEP_1) | instskip(NEXT) | instid1(VALU_DEP_1)
	v_add_nc_u64_e32 v[12:13], v[8:9], v[2:3]
	v_add_nc_u64_e32 v[12:13], -1, v[12:13]
; %bb.6143:                             ;   in Loop: Header=BB4_5808 Depth=3
	s_or_b32 exec_lo, exec_lo, s77
	v_add_nc_u32_e32 v2, 0xffffff81, v23
	v_lshrrev_b32_e32 v9, 23, v8
	s_mov_b32 s14, exec_lo
	s_delay_alu instid0(VALU_DEP_2) | instskip(NEXT) | instid1(VALU_DEP_1)
	v_cndmask_b32_e64 v2, v2, 0xffffff82, s13
	v_add3_u32 v13, v24, v2, v9
	v_and_b32_e32 v2, 0xfffff, v12
                                        ; implicit-def: $vgpr12
	s_delay_alu instid0(VALU_DEP_1) | instskip(NEXT) | instid1(VALU_DEP_1)
	v_dual_add_nc_u32 v23, 6, v13 :: v_dual_add_nc_u32 v2, v2, v8
                                        ; implicit-def: $vgpr8_vgpr9
	v_cmpx_ne_u32_e32 0, v23
	s_xor_b32 s14, exec_lo, s14
; %bb.6144:                             ;   in Loop: Header=BB4_5808 Depth=3
	s_delay_alu instid0(VALU_DEP_2) | instskip(SKIP_1) | instid1(VALU_DEP_1)
	v_cmp_lt_u64_e64 s13, 0xffffff, v[2:3]
	v_add_nc_u32_e32 v8, 7, v13
	v_cndmask_b32_e64 v12, v23, v8, s13
	v_cndmask_b32_e64 v8, 0, 1, s13
	s_delay_alu instid0(VALU_DEP_1)
	v_lshrrev_b64 v[8:9], v8, v[2:3]
; %bb.6145:                             ;   in Loop: Header=BB4_5808 Depth=3
	s_and_not1_saveexec_b32 s13, s14
; %bb.6146:                             ;   in Loop: Header=BB4_5808 Depth=3
	v_mov_b64_e32 v[8:9], v[2:3]
	v_bfe_u32 v12, v2, 23, 1
; %bb.6147:                             ;   in Loop: Header=BB4_5808 Depth=3
	s_or_b32 exec_lo, exec_lo, s13
	s_delay_alu instid0(VALU_DEP_2) | instskip(NEXT) | instid1(VALU_DEP_2)
	v_lshrrev_b64 v[8:9], 20, v[8:9]
	v_cmp_gt_i32_e64 s13, 16, v12
	v_min_i32_e32 v2, 15, v12
	v_cmp_eq_u32_e64 s14, 0, v12
	s_delay_alu instid0(VALU_DEP_2) | instskip(SKIP_1) | instid1(VALU_DEP_2)
	v_dual_cndmask_b32 v9, 0, v9, s13 :: v_dual_lshlrev_b32 v2, 3, v2
	v_cndmask_b32_e64 v8, 7, v8, s13
	v_and_b32_e32 v2, 0xf8, v2
	s_delay_alu instid0(VALU_DEP_2) | instskip(NEXT) | instid1(VALU_DEP_2)
	v_cmp_eq_u64_e64 s13, 0, v[8:9]
	v_and_or_b32 v2, v8, 7, v2
	s_and_b32 s13, s14, s13
	s_delay_alu instid0(VALU_DEP_1) | instid1(SALU_CYCLE_1)
	v_cndmask_b32_e64 v2, v2, 0, s13
	s_delay_alu instid0(VALU_DEP_1)
	v_or_b32_e32 v26, v2, v22
.LBB4_6148:                             ;   in Loop: Header=BB4_5808 Depth=3
	s_or_b32 exec_lo, exec_lo, s76
                                        ; implicit-def: $vgpr22
.LBB4_6149:                             ;   in Loop: Header=BB4_5808 Depth=3
	s_and_not1_saveexec_b32 s13, s75
; %bb.6150:                             ;   in Loop: Header=BB4_5808 Depth=3
	v_or_b32_e32 v26, 0x7e, v22
; %bb.6151:                             ;   in Loop: Header=BB4_5808 Depth=3
	s_or_b32 exec_lo, exec_lo, s13
                                        ; implicit-def: $vgpr9
.LBB4_6152:                             ;   in Loop: Header=BB4_5808 Depth=3
	s_and_not1_saveexec_b32 s13, s15
; %bb.6153:                             ;   in Loop: Header=BB4_5808 Depth=3
	v_or_b32_e32 v26, 0x7f, v9
; %bb.6154:                             ;   in Loop: Header=BB4_5808 Depth=3
	s_or_b32 exec_lo, exec_lo, s13
	v_mov_b32_e32 v8, 0
	s_mov_b32 s14, exec_lo
	v_cmpx_lt_u32_e32 0xffffff, v14
	s_cbranch_execz .LBB4_6162
; %bb.6155:                             ;   in Loop: Header=BB4_5808 Depth=3
	v_lshrrev_b32_e32 v12, 24, v14
	v_bfrev_b32_e32 v8, 1
	s_mov_b32 s15, exec_lo
	s_delay_alu instid0(VALU_DEP_2)
	v_cmpx_ne_u32_e32 0x80, v12
	s_cbranch_execz .LBB4_6161
; %bb.6156:                             ;   in Loop: Header=BB4_5808 Depth=3
	v_bfe_u32 v9, v14, 24, 7
	v_mov_b32_e32 v8, 0x7f800001
	s_mov_b32 s75, exec_lo
	s_delay_alu instid0(VALU_DEP_2)
	v_cmpx_ne_u32_e32 0x7f, v9
	s_cbranch_execz .LBB4_6160
; %bb.6157:                             ;   in Loop: Header=BB4_5808 Depth=3
	v_dual_lshrrev_b32 v13, 3, v9 :: v_dual_bitop2_b32 v2, 7, v12 bitop3:0x40
	v_cmp_gt_u32_e64 s13, 8, v9
	s_delay_alu instid0(VALU_DEP_2)
	v_mov_b64_e32 v[8:9], v[2:3]
	s_and_saveexec_b32 s76, s13
; %bb.6158:                             ;   in Loop: Header=BB4_5808 Depth=3
	v_clz_i32_u32_e32 v8, v2
	s_delay_alu instid0(VALU_DEP_1) | instskip(NEXT) | instid1(VALU_DEP_1)
	v_min_u32_e32 v13, 32, v8
	v_subrev_nc_u32_e32 v8, 28, v13
	s_delay_alu instid0(VALU_DEP_1) | instskip(NEXT) | instid1(VALU_DEP_1)
	v_lshlrev_b64_e32 v[8:9], v8, v[2:3]
	v_dual_sub_nc_u32 v13, 29, v13 :: v_dual_bitop2_b32 v8, 7, v8 bitop3:0x40
; %bb.6159:                             ;   in Loop: Header=BB4_5808 Depth=3
	s_or_b32 exec_lo, exec_lo, s76
	v_lshlrev_b32_e32 v2, 24, v12
	s_delay_alu instid0(VALU_DEP_2) | instskip(NEXT) | instid1(VALU_DEP_3)
	v_lshlrev_b32_e32 v8, 20, v8
	v_lshl_add_u32 v9, v13, 23, 0x3c000000
	s_delay_alu instid0(VALU_DEP_3) | instskip(NEXT) | instid1(VALU_DEP_1)
	v_and_b32_e32 v2, 0x80000000, v2
	v_or3_b32 v8, v8, v2, v9
.LBB4_6160:                             ;   in Loop: Header=BB4_5808 Depth=3
	s_or_b32 exec_lo, exec_lo, s75
.LBB4_6161:                             ;   in Loop: Header=BB4_5808 Depth=3
	s_delay_alu instid0(SALU_CYCLE_1)
	s_or_b32 exec_lo, exec_lo, s15
.LBB4_6162:                             ;   in Loop: Header=BB4_5808 Depth=3
	s_delay_alu instid0(SALU_CYCLE_1) | instskip(SKIP_3) | instid1(VALU_DEP_3)
	s_or_b32 exec_lo, exec_lo, s14
	v_lshrrev_b32_e32 v2, 24, v10
	v_bfe_u32 v9, v10, 24, 7
	v_cmp_gt_u32_e64 s15, 0x1000000, v10
	v_cmp_eq_u32_e64 s13, 0x80, v2
	s_delay_alu instid0(VALU_DEP_3) | instskip(NEXT) | instid1(VALU_DEP_2)
	v_cmp_eq_u32_e64 s14, 0x7f, v9
	v_cndmask_b32_e64 v12, 0x7f800001, v91, s13
	s_or_b32 s13, s13, s14
	s_delay_alu instid0(SALU_CYCLE_1) | instskip(NEXT) | instid1(VALU_DEP_1)
	s_nor_b32 s13, s15, s13
	v_cndmask_b32_e64 v12, v12, 0, s15
	s_and_saveexec_b32 s14, s13
	s_cbranch_execz .LBB4_6164
; %bb.6163:                             ;   in Loop: Header=BB4_5808 Depth=3
	v_and_b32_e32 v22, 7, v2
	v_cmp_gt_u32_e64 s13, 8, v9
	s_delay_alu instid0(VALU_DEP_2) | instskip(NEXT) | instid1(VALU_DEP_1)
	v_clz_i32_u32_e32 v12, v22
	v_min_u32_e32 v23, 32, v12
	s_delay_alu instid0(VALU_DEP_1) | instskip(NEXT) | instid1(VALU_DEP_1)
	v_subrev_nc_u32_e32 v12, 28, v23
	v_lshlrev_b64_e32 v[12:13], v12, v[2:3]
	v_dual_lshrrev_b32 v13, 3, v9 :: v_dual_sub_nc_u32 v23, 29, v23
	s_delay_alu instid0(VALU_DEP_2) | instskip(NEXT) | instid1(VALU_DEP_2)
	v_dual_lshlrev_b32 v2, 24, v2 :: v_dual_bitop2_b32 v9, 7, v12 bitop3:0x40
	v_cndmask_b32_e64 v12, v13, v23, s13
	s_delay_alu instid0(VALU_DEP_2) | instskip(NEXT) | instid1(VALU_DEP_3)
	v_and_b32_e32 v2, 0x80000000, v2
	v_cndmask_b32_e64 v9, v22, v9, s13
	s_delay_alu instid0(VALU_DEP_3) | instskip(NEXT) | instid1(VALU_DEP_2)
	v_lshl_add_u32 v12, v12, 23, 0x3c000000
	v_lshlrev_b32_e32 v9, 20, v9
	s_delay_alu instid0(VALU_DEP_1)
	v_or3_b32 v12, v9, v2, v12
.LBB4_6164:                             ;   in Loop: Header=BB4_5808 Depth=3
	s_or_b32 exec_lo, exec_lo, s14
	s_delay_alu instid0(VALU_DEP_1) | instskip(SKIP_1) | instid1(VALU_DEP_1)
	v_add_f32_e32 v8, v8, v12
                                        ; implicit-def: $vgpr27
	s_mov_b32 s14, exec_lo
	v_and_b32_e32 v2, 0x7f800000, v8
	v_lshrrev_b32_e32 v9, 24, v8
	s_delay_alu instid0(VALU_DEP_2)
	v_cmpx_ne_u64_e32 0x7f800000, v[2:3]
	s_xor_b32 s15, exec_lo, s14
	s_cbranch_execz .LBB4_6178
; %bb.6165:                             ;   in Loop: Header=BB4_5808 Depth=3
	v_and_b32_e32 v2, 0x7fffffff, v8
	v_and_b32_e32 v22, 0x80, v9
                                        ; implicit-def: $vgpr27
	s_mov_b32 s14, exec_lo
	s_delay_alu instid0(VALU_DEP_2)
	v_cmpx_gt_u64_e32 0x43e00001, v[2:3]
	s_xor_b32 s75, exec_lo, s14
	s_cbranch_execz .LBB4_6175
; %bb.6166:                             ;   in Loop: Header=BB4_5808 Depth=3
	v_mov_b32_e32 v27, 0
	s_mov_b32 s76, exec_lo
	v_cmpx_ne_u32_e32 0, v8
	s_cbranch_execz .LBB4_6174
; %bb.6167:                             ;   in Loop: Header=BB4_5808 Depth=3
	v_bfe_u32 v23, v8, 23, 8
	s_delay_alu instid0(VALU_DEP_1) | instskip(SKIP_1) | instid1(VALU_DEP_1)
	v_sub_nc_u32_e32 v2, 0x79, v23
	v_cmp_gt_u32_e64 s13, 0x7a, v23
	v_cndmask_b32_e64 v2, 0, v2, s13
	v_cmp_eq_u32_e64 s13, 0, v23
	s_delay_alu instid0(VALU_DEP_1) | instskip(SKIP_1) | instid1(VALU_DEP_2)
	v_cndmask_b32_e64 v24, v2, 0x78, s13
	v_and_b32_e32 v2, 0x7fffff, v8
	v_add_nc_u32_e32 v8, 20, v24
	s_delay_alu instid0(VALU_DEP_2) | instskip(SKIP_1) | instid1(VALU_DEP_3)
	v_or_b32_e32 v12, 0x800000, v2
	v_add_nc_u32_e32 v13, 19, v24
	v_lshlrev_b64_e64 v[8:9], v8, -1
	s_delay_alu instid0(VALU_DEP_3) | instskip(NEXT) | instid1(VALU_DEP_3)
	v_cndmask_b32_e64 v2, v12, v2, s13
	v_lshlrev_b64_e64 v[12:13], v13, 1
	s_delay_alu instid0(VALU_DEP_3) | instskip(NEXT) | instid1(VALU_DEP_3)
	v_bfi_b32 v29, v9, 0, 0
	v_bfi_b32 v28, v8, 0, v2
	v_lshrrev_b64 v[8:9], v24, v[2:3]
	s_delay_alu instid0(VALU_DEP_2) | instskip(NEXT) | instid1(VALU_DEP_2)
	v_cmp_eq_u64_e64 s14, v[28:29], v[12:13]
	v_mov_b64_e32 v[12:13], v[8:9]
	s_and_saveexec_b32 s77, s14
; %bb.6168:                             ;   in Loop: Header=BB4_5808 Depth=3
	v_bfe_u32 v2, v8, 20, 1
	s_delay_alu instid0(VALU_DEP_1) | instskip(NEXT) | instid1(VALU_DEP_1)
	v_add_nc_u64_e32 v[12:13], v[8:9], v[2:3]
	v_add_nc_u64_e32 v[12:13], -1, v[12:13]
; %bb.6169:                             ;   in Loop: Header=BB4_5808 Depth=3
	s_or_b32 exec_lo, exec_lo, s77
	v_add_nc_u32_e32 v2, 0xffffff81, v23
	v_lshrrev_b32_e32 v9, 23, v8
	s_mov_b32 s14, exec_lo
	s_delay_alu instid0(VALU_DEP_2) | instskip(NEXT) | instid1(VALU_DEP_1)
	v_cndmask_b32_e64 v2, v2, 0xffffff82, s13
	v_add3_u32 v13, v24, v2, v9
	v_and_b32_e32 v2, 0xfffff, v12
                                        ; implicit-def: $vgpr12
	s_delay_alu instid0(VALU_DEP_1) | instskip(NEXT) | instid1(VALU_DEP_1)
	v_dual_add_nc_u32 v23, 6, v13 :: v_dual_add_nc_u32 v2, v2, v8
                                        ; implicit-def: $vgpr8_vgpr9
	v_cmpx_ne_u32_e32 0, v23
	s_xor_b32 s14, exec_lo, s14
; %bb.6170:                             ;   in Loop: Header=BB4_5808 Depth=3
	s_delay_alu instid0(VALU_DEP_2) | instskip(SKIP_1) | instid1(VALU_DEP_1)
	v_cmp_lt_u64_e64 s13, 0xffffff, v[2:3]
	v_add_nc_u32_e32 v8, 7, v13
	v_cndmask_b32_e64 v12, v23, v8, s13
	v_cndmask_b32_e64 v8, 0, 1, s13
	s_delay_alu instid0(VALU_DEP_1)
	v_lshrrev_b64 v[8:9], v8, v[2:3]
; %bb.6171:                             ;   in Loop: Header=BB4_5808 Depth=3
	s_and_not1_saveexec_b32 s13, s14
; %bb.6172:                             ;   in Loop: Header=BB4_5808 Depth=3
	v_mov_b64_e32 v[8:9], v[2:3]
	v_bfe_u32 v12, v2, 23, 1
; %bb.6173:                             ;   in Loop: Header=BB4_5808 Depth=3
	s_or_b32 exec_lo, exec_lo, s13
	s_delay_alu instid0(VALU_DEP_2) | instskip(NEXT) | instid1(VALU_DEP_2)
	v_lshrrev_b64 v[8:9], 20, v[8:9]
	v_cmp_gt_i32_e64 s13, 16, v12
	v_min_i32_e32 v2, 15, v12
	v_cmp_eq_u32_e64 s14, 0, v12
	s_delay_alu instid0(VALU_DEP_2) | instskip(SKIP_1) | instid1(VALU_DEP_2)
	v_dual_cndmask_b32 v9, 0, v9, s13 :: v_dual_lshlrev_b32 v2, 3, v2
	v_cndmask_b32_e64 v8, 7, v8, s13
	v_and_b32_e32 v2, 0xf8, v2
	s_delay_alu instid0(VALU_DEP_2) | instskip(NEXT) | instid1(VALU_DEP_2)
	v_cmp_eq_u64_e64 s13, 0, v[8:9]
	v_and_or_b32 v2, v8, 7, v2
	s_and_b32 s13, s14, s13
	s_delay_alu instid0(VALU_DEP_1) | instid1(SALU_CYCLE_1)
	v_cndmask_b32_e64 v2, v2, 0, s13
	s_delay_alu instid0(VALU_DEP_1)
	v_or_b32_e32 v27, v2, v22
.LBB4_6174:                             ;   in Loop: Header=BB4_5808 Depth=3
	s_or_b32 exec_lo, exec_lo, s76
                                        ; implicit-def: $vgpr22
.LBB4_6175:                             ;   in Loop: Header=BB4_5808 Depth=3
	s_and_not1_saveexec_b32 s13, s75
; %bb.6176:                             ;   in Loop: Header=BB4_5808 Depth=3
	v_or_b32_e32 v27, 0x7e, v22
; %bb.6177:                             ;   in Loop: Header=BB4_5808 Depth=3
	s_or_b32 exec_lo, exec_lo, s13
                                        ; implicit-def: $vgpr9
.LBB4_6178:                             ;   in Loop: Header=BB4_5808 Depth=3
	s_and_not1_saveexec_b32 s13, s15
; %bb.6179:                             ;   in Loop: Header=BB4_5808 Depth=3
	v_or_b32_e32 v27, 0x7f, v9
; %bb.6180:                             ;   in Loop: Header=BB4_5808 Depth=3
	s_or_b32 exec_lo, exec_lo, s13
	v_and_b32_e32 v8, 0xff, v15
	v_dual_mov_b32 v2, v15 :: v_dual_mov_b32 v12, 0
	s_mov_b32 s14, exec_lo
	s_delay_alu instid0(VALU_DEP_2)
	v_cmpx_ne_u16_e32 0, v8
	s_cbranch_execz .LBB4_6186
; %bb.6181:                             ;   in Loop: Header=BB4_5808 Depth=3
	v_bfrev_b32_e32 v12, 1
	s_mov_b32 s15, exec_lo
	v_cmpx_ne_u16_e32 0x80, v8
	s_cbranch_execz .LBB4_6185
; %bb.6182:                             ;   in Loop: Header=BB4_5808 Depth=3
	v_and_b32_e32 v8, 0x7f, v15
	v_mov_b32_e32 v12, 0x7f800001
	s_mov_b32 s75, exec_lo
	s_delay_alu instid0(VALU_DEP_2)
	v_cmpx_ne_u32_e32 0x7f, v8
	s_cbranch_execz .LBB4_6184
; %bb.6183:                             ;   in Loop: Header=BB4_5808 Depth=3
	v_dual_lshrrev_b32 v12, 3, v8 :: v_dual_bitop2_b32 v9, 7, v15 bitop3:0x40
	v_cmp_gt_u32_e64 s13, 8, v8
	s_delay_alu instid0(VALU_DEP_2) | instskip(NEXT) | instid1(VALU_DEP_1)
	v_clz_i32_u32_e32 v9, v9
	v_min_u32_e32 v9, 32, v9
	s_delay_alu instid0(VALU_DEP_1) | instskip(SKIP_1) | instid1(VALU_DEP_2)
	v_subrev_nc_u32_e32 v13, 28, v9
	v_sub_nc_u32_e32 v9, 29, v9
	v_cndmask_b32_e64 v8, 0, v13, s13
	s_delay_alu instid0(VALU_DEP_2) | instskip(NEXT) | instid1(VALU_DEP_2)
	v_cndmask_b32_e64 v12, v12, v9, s13
	v_lshlrev_b64_e32 v[8:9], v8, v[2:3]
	v_lshlrev_b32_e32 v9, 24, v2
	s_delay_alu instid0(VALU_DEP_3) | instskip(NEXT) | instid1(VALU_DEP_2)
	v_lshl_add_u32 v12, v12, 23, 0x3c000000
	v_and_b32_e32 v9, 0x80000000, v9
	s_delay_alu instid0(VALU_DEP_4) | instskip(NEXT) | instid1(VALU_DEP_1)
	v_lshlrev_b32_e32 v8, 20, v8
	v_and_b32_e32 v8, 0x700000, v8
	s_delay_alu instid0(VALU_DEP_1)
	v_or3_b32 v12, v8, v9, v12
.LBB4_6184:                             ;   in Loop: Header=BB4_5808 Depth=3
	s_or_b32 exec_lo, exec_lo, s75
.LBB4_6185:                             ;   in Loop: Header=BB4_5808 Depth=3
	s_delay_alu instid0(SALU_CYCLE_1)
	s_or_b32 exec_lo, exec_lo, s15
.LBB4_6186:                             ;   in Loop: Header=BB4_5808 Depth=3
	s_delay_alu instid0(SALU_CYCLE_1) | instskip(SKIP_4) | instid1(VALU_DEP_2)
	s_or_b32 exec_lo, exec_lo, s14
	v_and_b32_e32 v9, 0xff, v11
	v_mov_b32_e32 v8, v11
	s_mov_b32 s14, 0
	s_mov_b32 s15, exec_lo
	v_cmpx_lt_i16_e32 0x7f, v9
	s_xor_b32 s15, exec_lo, s15
	s_cbranch_execz .LBB4_6221
; %bb.6187:                             ;   in Loop: Header=BB4_5808 Depth=3
	s_mov_b32 s14, -1
	s_mov_b32 s75, exec_lo
	v_cmpx_eq_u16_e32 0x80, v9
; %bb.6188:                             ;   in Loop: Header=BB4_5808 Depth=3
	s_xor_b32 s14, exec_lo, -1
; %bb.6189:                             ;   in Loop: Header=BB4_5808 Depth=3
	s_or_b32 exec_lo, exec_lo, s75
	s_delay_alu instid0(SALU_CYCLE_1)
	s_and_b32 s14, s14, exec_lo
                                        ; implicit-def: $vgpr9
	s_or_saveexec_b32 s15, s15
	v_bfrev_b32_e32 v13, 1
	s_xor_b32 exec_lo, exec_lo, s15
	s_cbranch_execnz .LBB4_6222
.LBB4_6190:                             ;   in Loop: Header=BB4_5808 Depth=3
	s_or_b32 exec_lo, exec_lo, s15
	v_mov_b32_e32 v9, v3
	s_and_saveexec_b32 s15, s14
	s_cbranch_execz .LBB4_6192
.LBB4_6191:                             ;   in Loop: Header=BB4_5808 Depth=3
	v_and_b32_e32 v13, 7, v11
	v_and_b32_e32 v24, 0x7f, v11
	v_bfe_u32 v22, v11, 3, 4
	s_delay_alu instid0(VALU_DEP_3) | instskip(NEXT) | instid1(VALU_DEP_3)
	v_clz_i32_u32_e32 v13, v13
	v_cmp_gt_u32_e64 s13, 8, v24
	s_delay_alu instid0(VALU_DEP_2) | instskip(NEXT) | instid1(VALU_DEP_1)
	v_min_u32_e32 v13, 32, v13
	v_subrev_nc_u32_e32 v23, 28, v13
	v_sub_nc_u32_e32 v13, 29, v13
	s_delay_alu instid0(VALU_DEP_1) | instskip(SKIP_1) | instid1(VALU_DEP_2)
	v_dual_cndmask_b32 v13, v22, v13, s13 :: v_dual_cndmask_b32 v22, 0, v23, s13
	v_cmp_ne_u32_e64 s13, 0x7f, v24
	v_lshlrev_b64_e32 v[22:23], v22, v[8:9]
	v_lshlrev_b32_e32 v9, 24, v8
	s_delay_alu instid0(VALU_DEP_1) | instskip(NEXT) | instid1(VALU_DEP_3)
	v_and_b32_e32 v9, 0x80000000, v9
	v_lshlrev_b32_e32 v22, 20, v22
	v_lshl_add_u32 v13, v13, 23, 0x3c000000
	s_delay_alu instid0(VALU_DEP_2) | instskip(NEXT) | instid1(VALU_DEP_1)
	v_and_b32_e32 v22, 0x700000, v22
	v_or3_b32 v9, v22, v9, v13
	s_delay_alu instid0(VALU_DEP_1)
	v_cndmask_b32_e64 v13, 0x7f800001, v9, s13
.LBB4_6192:                             ;   in Loop: Header=BB4_5808 Depth=3
	s_or_b32 exec_lo, exec_lo, s15
	s_delay_alu instid0(VALU_DEP_1) | instskip(NEXT) | instid1(VALU_DEP_1)
	v_dual_add_f32 v12, v12, v13 :: v_dual_mov_b32 v23, v3
	v_and_b32_e32 v22, 0x7f800000, v12
	v_lshrrev_b32_e32 v9, 24, v12
	s_delay_alu instid0(VALU_DEP_2) | instskip(SKIP_1) | instid1(SALU_CYCLE_1)
	v_cmp_ne_u64_e64 s13, 0x7f800000, v[22:23]
                                        ; implicit-def: $vgpr22
	s_and_saveexec_b32 s14, s13
	s_xor_b32 s15, exec_lo, s14
	s_cbranch_execz .LBB4_6206
; %bb.6193:                             ;   in Loop: Header=BB4_5808 Depth=3
	v_and_b32_e32 v22, 0x7fffffff, v12
	v_mov_b32_e32 v23, v3
	v_and_b32_e32 v9, 0x80, v9
	s_delay_alu instid0(VALU_DEP_2) | instskip(SKIP_1) | instid1(SALU_CYCLE_1)
	v_cmp_gt_u64_e64 s13, 0x43e00001, v[22:23]
                                        ; implicit-def: $vgpr22
	s_and_saveexec_b32 s14, s13
	s_xor_b32 s75, exec_lo, s14
	s_cbranch_execz .LBB4_6203
; %bb.6194:                             ;   in Loop: Header=BB4_5808 Depth=3
	v_mov_b32_e32 v22, 0
	s_mov_b32 s76, exec_lo
	v_cmpx_ne_u32_e32 0, v12
	s_cbranch_execz .LBB4_6202
; %bb.6195:                             ;   in Loop: Header=BB4_5808 Depth=3
	v_bfe_u32 v24, v12, 23, 8
	v_and_b32_e32 v22, 0x7fffff, v12
	s_mov_b32 s77, exec_lo
	s_delay_alu instid0(VALU_DEP_2) | instskip(SKIP_1) | instid1(VALU_DEP_3)
	v_sub_nc_u32_e32 v13, 0x79, v24
	v_cmp_gt_u32_e64 s13, 0x7a, v24
	v_or_b32_e32 v23, 0x800000, v22
	s_delay_alu instid0(VALU_DEP_2) | instskip(SKIP_1) | instid1(VALU_DEP_1)
	v_cndmask_b32_e64 v13, 0, v13, s13
	v_cmp_eq_u32_e64 s13, 0, v24
	v_cndmask_b32_e64 v22, v23, v22, s13
	s_delay_alu instid0(VALU_DEP_3) | instskip(NEXT) | instid1(VALU_DEP_1)
	v_cndmask_b32_e64 v25, v13, 0x78, s13
	v_dual_mov_b32 v23, v3 :: v_dual_add_nc_u32 v12, 20, v25
	v_add_nc_u32_e32 v28, 19, v25
	s_delay_alu instid0(VALU_DEP_2) | instskip(NEXT) | instid1(VALU_DEP_2)
	v_lshlrev_b64_e64 v[12:13], v12, -1
	v_lshlrev_b64_e64 v[28:29], v28, 1
	s_delay_alu instid0(VALU_DEP_2) | instskip(NEXT) | instid1(VALU_DEP_3)
	v_bfi_b32 v107, v13, 0, 0
	v_bfi_b32 v106, v12, 0, v22
	v_lshrrev_b64 v[12:13], v25, v[22:23]
	s_delay_alu instid0(VALU_DEP_1) | instskip(NEXT) | instid1(VALU_DEP_3)
	v_mov_b64_e32 v[22:23], v[12:13]
	v_cmpx_eq_u64_e64 v[106:107], v[28:29]
; %bb.6196:                             ;   in Loop: Header=BB4_5808 Depth=3
	v_bfe_u32 v22, v12, 20, 1
	v_mov_b32_e32 v23, v3
	s_delay_alu instid0(VALU_DEP_1) | instskip(NEXT) | instid1(VALU_DEP_1)
	v_add_nc_u64_e32 v[22:23], v[12:13], v[22:23]
	v_add_nc_u64_e32 v[22:23], -1, v[22:23]
; %bb.6197:                             ;   in Loop: Header=BB4_5808 Depth=3
	s_or_b32 exec_lo, exec_lo, s77
	v_add_nc_u32_e32 v13, 0xffffff81, v24
	v_lshrrev_b32_e32 v23, 23, v12
	s_mov_b32 s14, exec_lo
	s_delay_alu instid0(VALU_DEP_2) | instskip(NEXT) | instid1(VALU_DEP_1)
	v_cndmask_b32_e64 v13, v13, 0xffffff82, s13
	v_add3_u32 v23, v25, v13, v23
	v_and_b32_e32 v13, 0xfffff, v22
                                        ; implicit-def: $vgpr22
	s_delay_alu instid0(VALU_DEP_1) | instskip(SKIP_1) | instid1(VALU_DEP_2)
	v_dual_add_nc_u32 v24, 6, v23 :: v_dual_add_nc_u32 v12, v13, v12
	v_mov_b32_e32 v13, v3
	v_cmpx_ne_u32_e32 0, v24
	s_xor_b32 s14, exec_lo, s14
; %bb.6198:                             ;   in Loop: Header=BB4_5808 Depth=3
	s_delay_alu instid0(VALU_DEP_2) | instskip(SKIP_1) | instid1(VALU_DEP_2)
	v_cmp_lt_u64_e64 s13, 0xffffff, v[12:13]
	v_add_nc_u32_e32 v22, 7, v23
	v_cndmask_b32_e64 v23, 0, 1, s13
	s_delay_alu instid0(VALU_DEP_2) | instskip(NEXT) | instid1(VALU_DEP_2)
	v_cndmask_b32_e64 v22, v24, v22, s13
	v_lshrrev_b64 v[12:13], v23, v[12:13]
; %bb.6199:                             ;   in Loop: Header=BB4_5808 Depth=3
	s_and_not1_saveexec_b32 s13, s14
; %bb.6200:                             ;   in Loop: Header=BB4_5808 Depth=3
	s_delay_alu instid0(VALU_DEP_1)
	v_bfe_u32 v22, v12, 23, 1
; %bb.6201:                             ;   in Loop: Header=BB4_5808 Depth=3
	s_or_b32 exec_lo, exec_lo, s13
	s_delay_alu instid0(VALU_DEP_2) | instskip(NEXT) | instid1(VALU_DEP_2)
	v_lshrrev_b64 v[12:13], 20, v[12:13]
	v_cmp_gt_i32_e64 s13, 16, v22
	v_min_i32_e32 v23, 15, v22
	v_cmp_eq_u32_e64 s14, 0, v22
	s_delay_alu instid0(VALU_DEP_2) | instskip(SKIP_1) | instid1(VALU_DEP_2)
	v_dual_cndmask_b32 v13, 0, v13, s13 :: v_dual_lshlrev_b32 v23, 3, v23
	v_cndmask_b32_e64 v12, 7, v12, s13
	v_and_b32_e32 v23, 0xf8, v23
	s_delay_alu instid0(VALU_DEP_2) | instskip(NEXT) | instid1(VALU_DEP_2)
	v_cmp_eq_u64_e64 s13, 0, v[12:13]
	v_and_or_b32 v12, v12, 7, v23
	s_and_b32 s13, s14, s13
	s_delay_alu instid0(VALU_DEP_1) | instid1(SALU_CYCLE_1)
	v_cndmask_b32_e64 v12, v12, 0, s13
	s_delay_alu instid0(VALU_DEP_1)
	v_or_b32_e32 v22, v12, v9
.LBB4_6202:                             ;   in Loop: Header=BB4_5808 Depth=3
	s_or_b32 exec_lo, exec_lo, s76
                                        ; implicit-def: $vgpr9
.LBB4_6203:                             ;   in Loop: Header=BB4_5808 Depth=3
	s_and_not1_saveexec_b32 s13, s75
; %bb.6204:                             ;   in Loop: Header=BB4_5808 Depth=3
	v_or_b32_e32 v22, 0x7e, v9
; %bb.6205:                             ;   in Loop: Header=BB4_5808 Depth=3
	s_or_b32 exec_lo, exec_lo, s13
                                        ; implicit-def: $vgpr9
.LBB4_6206:                             ;   in Loop: Header=BB4_5808 Depth=3
	s_and_not1_saveexec_b32 s13, s15
; %bb.6207:                             ;   in Loop: Header=BB4_5808 Depth=3
	v_or_b32_e32 v22, 0x7f, v9
; %bb.6208:                             ;   in Loop: Header=BB4_5808 Depth=3
	s_or_b32 exec_lo, exec_lo, s13
	v_lshrrev_b16 v12, 8, v2
	v_mov_b32_e32 v9, 0
	s_mov_b32 s14, exec_lo
	s_delay_alu instid0(VALU_DEP_2)
	v_cmpx_ne_u16_e32 0, v12
	s_cbranch_execz .LBB4_6216
; %bb.6209:                             ;   in Loop: Header=BB4_5808 Depth=3
	v_bfrev_b32_e32 v9, 1
	s_mov_b32 s15, exec_lo
	v_cmpx_ne_u16_e32 0x80, v12
	s_cbranch_execz .LBB4_6215
; %bb.6210:                             ;   in Loop: Header=BB4_5808 Depth=3
	v_and_b32_e32 v12, 0xffff, v12
	v_mov_b32_e32 v9, 0x7f800001
	s_mov_b32 s75, exec_lo
	s_delay_alu instid0(VALU_DEP_2) | instskip(NEXT) | instid1(VALU_DEP_1)
	v_and_b32_e32 v23, 0x7f, v12
	v_cmpx_ne_u32_e32 0x7f, v23
	s_cbranch_execz .LBB4_6214
; %bb.6211:                             ;   in Loop: Header=BB4_5808 Depth=3
	v_dual_mov_b32 v13, v3 :: v_dual_bitop2_b32 v12, 7, v12 bitop3:0x40
	v_lshrrev_b32_e32 v9, 3, v23
	s_mov_b32 s76, exec_lo
	v_cmpx_gt_u32_e32 8, v23
; %bb.6212:                             ;   in Loop: Header=BB4_5808 Depth=3
	s_delay_alu instid0(VALU_DEP_3) | instskip(NEXT) | instid1(VALU_DEP_1)
	v_clz_i32_u32_e32 v9, v12
	v_min_u32_e32 v9, 32, v9
	s_delay_alu instid0(VALU_DEP_1) | instskip(NEXT) | instid1(VALU_DEP_1)
	v_subrev_nc_u32_e32 v23, 28, v9
	v_lshlrev_b64_e32 v[12:13], v23, v[12:13]
	s_delay_alu instid0(VALU_DEP_1)
	v_dual_sub_nc_u32 v9, 29, v9 :: v_dual_bitop2_b32 v12, 7, v12 bitop3:0x40
; %bb.6213:                             ;   in Loop: Header=BB4_5808 Depth=3
	s_or_b32 exec_lo, exec_lo, s76
	s_delay_alu instid0(VALU_DEP_1) | instskip(NEXT) | instid1(VALU_DEP_2)
	v_dual_lshlrev_b32 v2, 16, v2 :: v_dual_lshlrev_b32 v12, 20, v12
	v_lshl_add_u32 v9, v9, 23, 0x3c000000
	s_delay_alu instid0(VALU_DEP_2) | instskip(NEXT) | instid1(VALU_DEP_1)
	v_and_b32_e32 v2, 0x80000000, v2
	v_or3_b32 v9, v12, v2, v9
.LBB4_6214:                             ;   in Loop: Header=BB4_5808 Depth=3
	s_or_b32 exec_lo, exec_lo, s75
.LBB4_6215:                             ;   in Loop: Header=BB4_5808 Depth=3
	s_delay_alu instid0(SALU_CYCLE_1)
	s_or_b32 exec_lo, exec_lo, s15
.LBB4_6216:                             ;   in Loop: Header=BB4_5808 Depth=3
	s_delay_alu instid0(SALU_CYCLE_1) | instskip(SKIP_3) | instid1(VALU_DEP_1)
	s_or_b32 exec_lo, exec_lo, s14
	v_lshrrev_b16 v8, 8, v8
	s_mov_b32 s15, 0
	s_mov_b32 s14, exec_lo
	v_cmpx_lt_i16_e32 0x7f, v8
	s_xor_b32 s14, exec_lo, s14
	s_cbranch_execz .LBB4_6223
; %bb.6217:                             ;   in Loop: Header=BB4_5808 Depth=3
	s_mov_b32 s15, -1
	s_mov_b32 s75, exec_lo
	v_cmpx_eq_u16_e32 0x80, v8
; %bb.6218:                             ;   in Loop: Header=BB4_5808 Depth=3
	s_xor_b32 s15, exec_lo, -1
; %bb.6219:                             ;   in Loop: Header=BB4_5808 Depth=3
	s_or_b32 exec_lo, exec_lo, s75
	s_delay_alu instid0(SALU_CYCLE_1)
	s_and_b32 s15, s15, exec_lo
	s_or_saveexec_b32 s14, s14
	v_bfrev_b32_e32 v12, 1
	s_xor_b32 exec_lo, exec_lo, s14
	s_cbranch_execnz .LBB4_6224
.LBB4_6220:                             ;   in Loop: Header=BB4_5808 Depth=3
	s_or_b32 exec_lo, exec_lo, s14
	s_and_saveexec_b32 s14, s15
	s_cbranch_execnz .LBB4_6225
	s_branch .LBB4_6228
.LBB4_6221:                             ;   in Loop: Header=BB4_5808 Depth=3
	s_or_saveexec_b32 s15, s15
	v_bfrev_b32_e32 v13, 1
	s_xor_b32 exec_lo, exec_lo, s15
	s_cbranch_execz .LBB4_6190
.LBB4_6222:                             ;   in Loop: Header=BB4_5808 Depth=3
	v_cmp_ne_u16_e64 s13, 0, v9
	v_mov_b32_e32 v13, 0
	s_and_not1_b32 s14, s14, exec_lo
	s_and_b32 s13, s13, exec_lo
	s_delay_alu instid0(SALU_CYCLE_1)
	s_or_b32 s14, s14, s13
	s_or_b32 exec_lo, exec_lo, s15
	v_mov_b32_e32 v9, v3
	s_and_saveexec_b32 s15, s14
	s_cbranch_execnz .LBB4_6191
	s_branch .LBB4_6192
.LBB4_6223:                             ;   in Loop: Header=BB4_5808 Depth=3
	s_or_saveexec_b32 s14, s14
	v_bfrev_b32_e32 v12, 1
	s_xor_b32 exec_lo, exec_lo, s14
	s_cbranch_execz .LBB4_6220
.LBB4_6224:                             ;   in Loop: Header=BB4_5808 Depth=3
	v_cmp_ne_u16_e64 s13, 0, v8
	v_mov_b32_e32 v12, 0
	s_and_not1_b32 s15, s15, exec_lo
	s_and_b32 s13, s13, exec_lo
	s_delay_alu instid0(SALU_CYCLE_1)
	s_or_b32 s15, s15, s13
	s_or_b32 exec_lo, exec_lo, s14
	s_and_saveexec_b32 s14, s15
	s_cbranch_execz .LBB4_6228
.LBB4_6225:                             ;   in Loop: Header=BB4_5808 Depth=3
	v_and_b32_e32 v2, 0xffff, v8
	v_mov_b32_e32 v12, 0x7f800001
	s_mov_b32 s15, exec_lo
	s_delay_alu instid0(VALU_DEP_2) | instskip(NEXT) | instid1(VALU_DEP_1)
	v_and_b32_e32 v13, 0x7f, v2
	v_cmpx_ne_u32_e32 0x7f, v13
	s_cbranch_execz .LBB4_6227
; %bb.6226:                             ;   in Loop: Header=BB4_5808 Depth=3
	v_and_b32_e32 v12, 7, v2
	v_cmp_gt_u32_e64 s13, 8, v13
	s_delay_alu instid0(VALU_DEP_2) | instskip(NEXT) | instid1(VALU_DEP_1)
	v_clz_i32_u32_e32 v23, v12
	v_min_u32_e32 v23, 32, v23
	s_delay_alu instid0(VALU_DEP_1) | instskip(NEXT) | instid1(VALU_DEP_1)
	v_subrev_nc_u32_e32 v24, 28, v23
	v_lshlrev_b64_e32 v[24:25], v24, v[2:3]
	v_dual_lshrrev_b32 v2, 3, v13 :: v_dual_sub_nc_u32 v23, 29, v23
	s_delay_alu instid0(VALU_DEP_2) | instskip(NEXT) | instid1(VALU_DEP_2)
	v_and_b32_e32 v13, 7, v24
	v_dual_lshlrev_b32 v8, 24, v8 :: v_dual_cndmask_b32 v2, v2, v23, s13
	s_delay_alu instid0(VALU_DEP_2) | instskip(NEXT) | instid1(VALU_DEP_2)
	v_cndmask_b32_e64 v12, v12, v13, s13
	v_and_b32_e32 v8, 0x80000000, v8
	s_delay_alu instid0(VALU_DEP_3) | instskip(NEXT) | instid1(VALU_DEP_3)
	v_lshl_add_u32 v2, v2, 23, 0x3c000000
	v_lshlrev_b32_e32 v12, 20, v12
	s_delay_alu instid0(VALU_DEP_1)
	v_or3_b32 v12, v12, v8, v2
.LBB4_6227:                             ;   in Loop: Header=BB4_5808 Depth=3
	s_or_b32 exec_lo, exec_lo, s15
.LBB4_6228:                             ;   in Loop: Header=BB4_5808 Depth=3
	s_delay_alu instid0(SALU_CYCLE_1) | instskip(NEXT) | instid1(VALU_DEP_1)
	s_or_b32 exec_lo, exec_lo, s14
	v_add_f32_e32 v8, v9, v12
                                        ; implicit-def: $vgpr23
	s_mov_b32 s14, exec_lo
	s_delay_alu instid0(VALU_DEP_1) | instskip(SKIP_1) | instid1(VALU_DEP_2)
	v_and_b32_e32 v2, 0x7f800000, v8
	v_lshrrev_b32_e32 v9, 24, v8
	v_cmpx_ne_u64_e32 0x7f800000, v[2:3]
	s_xor_b32 s15, exec_lo, s14
	s_cbranch_execz .LBB4_6242
; %bb.6229:                             ;   in Loop: Header=BB4_5808 Depth=3
	v_and_b32_e32 v2, 0x7fffffff, v8
	v_and_b32_e32 v28, 0x80, v9
                                        ; implicit-def: $vgpr23
	s_mov_b32 s14, exec_lo
	s_delay_alu instid0(VALU_DEP_2)
	v_cmpx_gt_u64_e32 0x43e00001, v[2:3]
	s_xor_b32 s75, exec_lo, s14
	s_cbranch_execz .LBB4_6239
; %bb.6230:                             ;   in Loop: Header=BB4_5808 Depth=3
	v_mov_b32_e32 v23, 0
	s_mov_b32 s76, exec_lo
	v_cmpx_ne_u32_e32 0, v8
	s_cbranch_execz .LBB4_6238
; %bb.6231:                             ;   in Loop: Header=BB4_5808 Depth=3
	v_bfe_u32 v23, v8, 23, 8
	s_delay_alu instid0(VALU_DEP_1) | instskip(SKIP_1) | instid1(VALU_DEP_1)
	v_sub_nc_u32_e32 v2, 0x79, v23
	v_cmp_gt_u32_e64 s13, 0x7a, v23
	v_cndmask_b32_e64 v2, 0, v2, s13
	v_cmp_eq_u32_e64 s13, 0, v23
	s_delay_alu instid0(VALU_DEP_1) | instskip(SKIP_1) | instid1(VALU_DEP_2)
	v_cndmask_b32_e64 v24, v2, 0x78, s13
	v_and_b32_e32 v2, 0x7fffff, v8
	v_add_nc_u32_e32 v8, 20, v24
	s_delay_alu instid0(VALU_DEP_2) | instskip(SKIP_1) | instid1(VALU_DEP_3)
	v_or_b32_e32 v12, 0x800000, v2
	v_add_nc_u32_e32 v13, 19, v24
	v_lshlrev_b64_e64 v[8:9], v8, -1
	s_delay_alu instid0(VALU_DEP_3) | instskip(NEXT) | instid1(VALU_DEP_3)
	v_cndmask_b32_e64 v2, v12, v2, s13
	v_lshlrev_b64_e64 v[12:13], v13, 1
	s_delay_alu instid0(VALU_DEP_3) | instskip(NEXT) | instid1(VALU_DEP_3)
	v_bfi_b32 v107, v9, 0, 0
	v_bfi_b32 v106, v8, 0, v2
	v_lshrrev_b64 v[8:9], v24, v[2:3]
	s_delay_alu instid0(VALU_DEP_2) | instskip(NEXT) | instid1(VALU_DEP_2)
	v_cmp_eq_u64_e64 s14, v[106:107], v[12:13]
	v_mov_b64_e32 v[12:13], v[8:9]
	s_and_saveexec_b32 s77, s14
; %bb.6232:                             ;   in Loop: Header=BB4_5808 Depth=3
	v_bfe_u32 v2, v8, 20, 1
	s_delay_alu instid0(VALU_DEP_1) | instskip(NEXT) | instid1(VALU_DEP_1)
	v_add_nc_u64_e32 v[12:13], v[8:9], v[2:3]
	v_add_nc_u64_e32 v[12:13], -1, v[12:13]
; %bb.6233:                             ;   in Loop: Header=BB4_5808 Depth=3
	s_or_b32 exec_lo, exec_lo, s77
	v_add_nc_u32_e32 v2, 0xffffff81, v23
	v_lshrrev_b32_e32 v9, 23, v8
	s_mov_b32 s14, exec_lo
	s_delay_alu instid0(VALU_DEP_2) | instskip(NEXT) | instid1(VALU_DEP_1)
	v_cndmask_b32_e64 v2, v2, 0xffffff82, s13
	v_add3_u32 v13, v24, v2, v9
	v_and_b32_e32 v2, 0xfffff, v12
                                        ; implicit-def: $vgpr12
	s_delay_alu instid0(VALU_DEP_1) | instskip(NEXT) | instid1(VALU_DEP_1)
	v_dual_add_nc_u32 v23, 6, v13 :: v_dual_add_nc_u32 v2, v2, v8
                                        ; implicit-def: $vgpr8_vgpr9
	v_cmpx_ne_u32_e32 0, v23
	s_xor_b32 s14, exec_lo, s14
; %bb.6234:                             ;   in Loop: Header=BB4_5808 Depth=3
	s_delay_alu instid0(VALU_DEP_2) | instskip(SKIP_1) | instid1(VALU_DEP_1)
	v_cmp_lt_u64_e64 s13, 0xffffff, v[2:3]
	v_add_nc_u32_e32 v8, 7, v13
	v_cndmask_b32_e64 v12, v23, v8, s13
	v_cndmask_b32_e64 v8, 0, 1, s13
	s_delay_alu instid0(VALU_DEP_1)
	v_lshrrev_b64 v[8:9], v8, v[2:3]
; %bb.6235:                             ;   in Loop: Header=BB4_5808 Depth=3
	s_and_not1_saveexec_b32 s13, s14
; %bb.6236:                             ;   in Loop: Header=BB4_5808 Depth=3
	v_mov_b64_e32 v[8:9], v[2:3]
	v_bfe_u32 v12, v2, 23, 1
; %bb.6237:                             ;   in Loop: Header=BB4_5808 Depth=3
	s_or_b32 exec_lo, exec_lo, s13
	s_delay_alu instid0(VALU_DEP_2) | instskip(NEXT) | instid1(VALU_DEP_2)
	v_lshrrev_b64 v[8:9], 20, v[8:9]
	v_cmp_gt_i32_e64 s13, 16, v12
	v_min_i32_e32 v2, 15, v12
	v_cmp_eq_u32_e64 s14, 0, v12
	s_delay_alu instid0(VALU_DEP_2) | instskip(SKIP_1) | instid1(VALU_DEP_2)
	v_dual_cndmask_b32 v9, 0, v9, s13 :: v_dual_lshlrev_b32 v2, 3, v2
	v_cndmask_b32_e64 v8, 7, v8, s13
	v_and_b32_e32 v2, 0xf8, v2
	s_delay_alu instid0(VALU_DEP_2) | instskip(NEXT) | instid1(VALU_DEP_2)
	v_cmp_eq_u64_e64 s13, 0, v[8:9]
	v_and_or_b32 v2, v8, 7, v2
	s_and_b32 s13, s14, s13
	s_delay_alu instid0(VALU_DEP_1) | instid1(SALU_CYCLE_1)
	v_cndmask_b32_e64 v2, v2, 0, s13
	s_delay_alu instid0(VALU_DEP_1)
	v_or_b32_e32 v23, v2, v28
.LBB4_6238:                             ;   in Loop: Header=BB4_5808 Depth=3
	s_or_b32 exec_lo, exec_lo, s76
                                        ; implicit-def: $vgpr28
.LBB4_6239:                             ;   in Loop: Header=BB4_5808 Depth=3
	s_and_not1_saveexec_b32 s13, s75
; %bb.6240:                             ;   in Loop: Header=BB4_5808 Depth=3
	v_or_b32_e32 v23, 0x7e, v28
; %bb.6241:                             ;   in Loop: Header=BB4_5808 Depth=3
	s_or_b32 exec_lo, exec_lo, s13
                                        ; implicit-def: $vgpr9
.LBB4_6242:                             ;   in Loop: Header=BB4_5808 Depth=3
	s_and_not1_saveexec_b32 s13, s15
; %bb.6243:                             ;   in Loop: Header=BB4_5808 Depth=3
	v_or_b32_e32 v23, 0x7f, v9
; %bb.6244:                             ;   in Loop: Header=BB4_5808 Depth=3
	s_or_b32 exec_lo, exec_lo, s13
	v_dual_lshrrev_b32 v12, 16, v15 :: v_dual_mov_b32 v8, 0
	s_mov_b32 s14, exec_lo
	s_delay_alu instid0(VALU_DEP_1) | instskip(NEXT) | instid1(VALU_DEP_1)
	v_and_b32_e32 v2, 0xff, v12
	v_cmpx_ne_u16_e32 0, v2
	s_cbranch_execz .LBB4_6252
; %bb.6245:                             ;   in Loop: Header=BB4_5808 Depth=3
	v_bfrev_b32_e32 v8, 1
	s_mov_b32 s15, exec_lo
	v_cmpx_ne_u16_e32 0x80, v2
	s_cbranch_execz .LBB4_6251
; %bb.6246:                             ;   in Loop: Header=BB4_5808 Depth=3
	v_bfe_u32 v9, v15, 16, 7
	v_mov_b32_e32 v8, 0x7f800001
	s_mov_b32 s75, exec_lo
	s_delay_alu instid0(VALU_DEP_2)
	v_cmpx_ne_u32_e32 0x7f, v9
	s_cbranch_execz .LBB4_6250
; %bb.6247:                             ;   in Loop: Header=BB4_5808 Depth=3
	v_dual_lshrrev_b32 v13, 3, v9 :: v_dual_bitop2_b32 v2, 7, v12 bitop3:0x40
	v_cmp_gt_u32_e64 s13, 8, v9
	s_delay_alu instid0(VALU_DEP_2)
	v_mov_b64_e32 v[8:9], v[2:3]
	s_and_saveexec_b32 s76, s13
; %bb.6248:                             ;   in Loop: Header=BB4_5808 Depth=3
	v_clz_i32_u32_e32 v8, v2
	s_delay_alu instid0(VALU_DEP_1) | instskip(NEXT) | instid1(VALU_DEP_1)
	v_min_u32_e32 v13, 32, v8
	v_subrev_nc_u32_e32 v8, 28, v13
	s_delay_alu instid0(VALU_DEP_1) | instskip(NEXT) | instid1(VALU_DEP_1)
	v_lshlrev_b64_e32 v[8:9], v8, v[2:3]
	v_dual_sub_nc_u32 v13, 29, v13 :: v_dual_bitop2_b32 v8, 7, v8 bitop3:0x40
; %bb.6249:                             ;   in Loop: Header=BB4_5808 Depth=3
	s_or_b32 exec_lo, exec_lo, s76
	v_lshlrev_b32_e32 v2, 24, v12
	s_delay_alu instid0(VALU_DEP_2) | instskip(NEXT) | instid1(VALU_DEP_3)
	v_lshlrev_b32_e32 v8, 20, v8
	v_lshl_add_u32 v9, v13, 23, 0x3c000000
	s_delay_alu instid0(VALU_DEP_3) | instskip(NEXT) | instid1(VALU_DEP_1)
	v_and_b32_e32 v2, 0x80000000, v2
	v_or3_b32 v8, v8, v2, v9
.LBB4_6250:                             ;   in Loop: Header=BB4_5808 Depth=3
	s_or_b32 exec_lo, exec_lo, s75
.LBB4_6251:                             ;   in Loop: Header=BB4_5808 Depth=3
	s_delay_alu instid0(SALU_CYCLE_1)
	s_or_b32 exec_lo, exec_lo, s15
.LBB4_6252:                             ;   in Loop: Header=BB4_5808 Depth=3
	s_delay_alu instid0(SALU_CYCLE_1) | instskip(SKIP_3) | instid1(VALU_DEP_1)
	s_or_b32 exec_lo, exec_lo, s14
	v_lshrrev_b32_e32 v2, 16, v11
	s_mov_b32 s15, 0
	s_mov_b32 s14, exec_lo
	v_and_b32_e32 v12, 0xff, v2
	s_delay_alu instid0(VALU_DEP_1)
	v_cmpx_lt_i16_e32 0x7f, v12
	s_xor_b32 s14, exec_lo, s14
	s_cbranch_execz .LBB4_6257
; %bb.6253:                             ;   in Loop: Header=BB4_5808 Depth=3
	s_mov_b32 s15, -1
	s_mov_b32 s75, exec_lo
	v_cmpx_eq_u16_e32 0x80, v12
; %bb.6254:                             ;   in Loop: Header=BB4_5808 Depth=3
	s_xor_b32 s15, exec_lo, -1
; %bb.6255:                             ;   in Loop: Header=BB4_5808 Depth=3
	s_or_b32 exec_lo, exec_lo, s75
	s_delay_alu instid0(SALU_CYCLE_1)
	s_and_b32 s15, s15, exec_lo
                                        ; implicit-def: $vgpr12
	s_or_saveexec_b32 s14, s14
	v_bfrev_b32_e32 v9, 1
	s_xor_b32 exec_lo, exec_lo, s14
	s_cbranch_execnz .LBB4_6258
.LBB4_6256:                             ;   in Loop: Header=BB4_5808 Depth=3
	s_or_b32 exec_lo, exec_lo, s14
	s_and_saveexec_b32 s14, s15
	s_cbranch_execnz .LBB4_6259
	s_branch .LBB4_6262
.LBB4_6257:                             ;   in Loop: Header=BB4_5808 Depth=3
	s_or_saveexec_b32 s14, s14
	v_bfrev_b32_e32 v9, 1
	s_xor_b32 exec_lo, exec_lo, s14
	s_cbranch_execz .LBB4_6256
.LBB4_6258:                             ;   in Loop: Header=BB4_5808 Depth=3
	v_cmp_ne_u16_e64 s13, 0, v12
	v_mov_b32_e32 v9, 0
	s_and_not1_b32 s15, s15, exec_lo
	s_and_b32 s13, s13, exec_lo
	s_delay_alu instid0(SALU_CYCLE_1)
	s_or_b32 s15, s15, s13
	s_or_b32 exec_lo, exec_lo, s14
	s_and_saveexec_b32 s14, s15
	s_cbranch_execz .LBB4_6262
.LBB4_6259:                             ;   in Loop: Header=BB4_5808 Depth=3
	v_and_b32_e32 v12, 0x7f, v2
	v_mov_b32_e32 v9, 0x7f800001
	s_mov_b32 s15, exec_lo
	s_delay_alu instid0(VALU_DEP_2)
	v_cmpx_ne_u32_e32 0x7f, v12
	s_cbranch_execz .LBB4_6261
; %bb.6260:                             ;   in Loop: Header=BB4_5808 Depth=3
	v_and_b32_e32 v9, 7, v2
	v_cmp_gt_u32_e64 s13, 8, v12
	s_delay_alu instid0(VALU_DEP_2) | instskip(NEXT) | instid1(VALU_DEP_1)
	v_clz_i32_u32_e32 v13, v9
	v_min_u32_e32 v13, 32, v13
	s_delay_alu instid0(VALU_DEP_1) | instskip(NEXT) | instid1(VALU_DEP_1)
	v_subrev_nc_u32_e32 v24, 28, v13
	v_lshlrev_b64_e32 v[24:25], v24, v[2:3]
	v_dual_lshrrev_b32 v25, 3, v12 :: v_dual_sub_nc_u32 v13, 29, v13
	s_delay_alu instid0(VALU_DEP_2) | instskip(NEXT) | instid1(VALU_DEP_2)
	v_dual_lshlrev_b32 v2, 24, v2 :: v_dual_bitop2_b32 v12, 7, v24 bitop3:0x40
	v_cndmask_b32_e64 v13, v25, v13, s13
	s_delay_alu instid0(VALU_DEP_2) | instskip(NEXT) | instid1(VALU_DEP_3)
	v_cndmask_b32_e64 v9, v9, v12, s13
	v_and_b32_e32 v2, 0x80000000, v2
	s_delay_alu instid0(VALU_DEP_3) | instskip(NEXT) | instid1(VALU_DEP_3)
	v_lshl_add_u32 v12, v13, 23, 0x3c000000
	v_lshlrev_b32_e32 v9, 20, v9
	s_delay_alu instid0(VALU_DEP_1)
	v_or3_b32 v9, v9, v2, v12
.LBB4_6261:                             ;   in Loop: Header=BB4_5808 Depth=3
	s_or_b32 exec_lo, exec_lo, s15
.LBB4_6262:                             ;   in Loop: Header=BB4_5808 Depth=3
	s_delay_alu instid0(SALU_CYCLE_1) | instskip(NEXT) | instid1(VALU_DEP_1)
	s_or_b32 exec_lo, exec_lo, s14
	v_add_f32_e32 v8, v8, v9
                                        ; implicit-def: $vgpr12
	s_mov_b32 s14, exec_lo
	s_delay_alu instid0(VALU_DEP_1) | instskip(SKIP_1) | instid1(VALU_DEP_2)
	v_and_b32_e32 v2, 0x7f800000, v8
	v_lshrrev_b32_e32 v9, 24, v8
	v_cmpx_ne_u64_e32 0x7f800000, v[2:3]
	s_xor_b32 s15, exec_lo, s14
	s_cbranch_execz .LBB4_6276
; %bb.6263:                             ;   in Loop: Header=BB4_5808 Depth=3
	v_and_b32_e32 v2, 0x7fffffff, v8
	v_and_b32_e32 v28, 0x80, v9
                                        ; implicit-def: $vgpr12
	s_mov_b32 s14, exec_lo
	s_delay_alu instid0(VALU_DEP_2)
	v_cmpx_gt_u64_e32 0x43e00001, v[2:3]
	s_xor_b32 s75, exec_lo, s14
	s_cbranch_execz .LBB4_6273
; %bb.6264:                             ;   in Loop: Header=BB4_5808 Depth=3
	v_mov_b32_e32 v12, 0
	s_mov_b32 s76, exec_lo
	v_cmpx_ne_u32_e32 0, v8
	s_cbranch_execz .LBB4_6272
; %bb.6265:                             ;   in Loop: Header=BB4_5808 Depth=3
	v_bfe_u32 v24, v8, 23, 8
	s_delay_alu instid0(VALU_DEP_1) | instskip(SKIP_1) | instid1(VALU_DEP_1)
	v_sub_nc_u32_e32 v2, 0x79, v24
	v_cmp_gt_u32_e64 s13, 0x7a, v24
	v_cndmask_b32_e64 v2, 0, v2, s13
	v_cmp_eq_u32_e64 s13, 0, v24
	s_delay_alu instid0(VALU_DEP_1) | instskip(SKIP_1) | instid1(VALU_DEP_2)
	v_cndmask_b32_e64 v25, v2, 0x78, s13
	v_and_b32_e32 v2, 0x7fffff, v8
	v_add_nc_u32_e32 v8, 20, v25
	s_delay_alu instid0(VALU_DEP_2) | instskip(SKIP_1) | instid1(VALU_DEP_3)
	v_or_b32_e32 v12, 0x800000, v2
	v_add_nc_u32_e32 v13, 19, v25
	v_lshlrev_b64_e64 v[8:9], v8, -1
	s_delay_alu instid0(VALU_DEP_3) | instskip(NEXT) | instid1(VALU_DEP_3)
	v_cndmask_b32_e64 v2, v12, v2, s13
	v_lshlrev_b64_e64 v[12:13], v13, 1
	s_delay_alu instid0(VALU_DEP_3) | instskip(NEXT) | instid1(VALU_DEP_3)
	v_bfi_b32 v107, v9, 0, 0
	v_bfi_b32 v106, v8, 0, v2
	v_lshrrev_b64 v[8:9], v25, v[2:3]
	s_delay_alu instid0(VALU_DEP_2) | instskip(NEXT) | instid1(VALU_DEP_2)
	v_cmp_eq_u64_e64 s14, v[106:107], v[12:13]
	v_mov_b64_e32 v[12:13], v[8:9]
	s_and_saveexec_b32 s77, s14
; %bb.6266:                             ;   in Loop: Header=BB4_5808 Depth=3
	v_bfe_u32 v2, v8, 20, 1
	s_delay_alu instid0(VALU_DEP_1) | instskip(NEXT) | instid1(VALU_DEP_1)
	v_add_nc_u64_e32 v[12:13], v[8:9], v[2:3]
	v_add_nc_u64_e32 v[12:13], -1, v[12:13]
; %bb.6267:                             ;   in Loop: Header=BB4_5808 Depth=3
	s_or_b32 exec_lo, exec_lo, s77
	v_add_nc_u32_e32 v2, 0xffffff81, v24
	v_lshrrev_b32_e32 v9, 23, v8
	s_mov_b32 s14, exec_lo
	s_delay_alu instid0(VALU_DEP_2) | instskip(NEXT) | instid1(VALU_DEP_1)
	v_cndmask_b32_e64 v2, v2, 0xffffff82, s13
	v_add3_u32 v13, v25, v2, v9
	v_and_b32_e32 v2, 0xfffff, v12
                                        ; implicit-def: $vgpr12
	s_delay_alu instid0(VALU_DEP_1) | instskip(NEXT) | instid1(VALU_DEP_1)
	v_dual_add_nc_u32 v24, 6, v13 :: v_dual_add_nc_u32 v2, v2, v8
                                        ; implicit-def: $vgpr8_vgpr9
	v_cmpx_ne_u32_e32 0, v24
	s_xor_b32 s14, exec_lo, s14
; %bb.6268:                             ;   in Loop: Header=BB4_5808 Depth=3
	s_delay_alu instid0(VALU_DEP_2) | instskip(SKIP_1) | instid1(VALU_DEP_1)
	v_cmp_lt_u64_e64 s13, 0xffffff, v[2:3]
	v_add_nc_u32_e32 v8, 7, v13
	v_cndmask_b32_e64 v12, v24, v8, s13
	v_cndmask_b32_e64 v8, 0, 1, s13
	s_delay_alu instid0(VALU_DEP_1)
	v_lshrrev_b64 v[8:9], v8, v[2:3]
; %bb.6269:                             ;   in Loop: Header=BB4_5808 Depth=3
	s_and_not1_saveexec_b32 s13, s14
; %bb.6270:                             ;   in Loop: Header=BB4_5808 Depth=3
	v_mov_b64_e32 v[8:9], v[2:3]
	v_bfe_u32 v12, v2, 23, 1
; %bb.6271:                             ;   in Loop: Header=BB4_5808 Depth=3
	s_or_b32 exec_lo, exec_lo, s13
	s_delay_alu instid0(VALU_DEP_2) | instskip(NEXT) | instid1(VALU_DEP_2)
	v_lshrrev_b64 v[8:9], 20, v[8:9]
	v_cmp_gt_i32_e64 s13, 16, v12
	v_min_i32_e32 v2, 15, v12
	v_cmp_eq_u32_e64 s14, 0, v12
	s_delay_alu instid0(VALU_DEP_2) | instskip(SKIP_1) | instid1(VALU_DEP_2)
	v_dual_cndmask_b32 v9, 0, v9, s13 :: v_dual_lshlrev_b32 v2, 3, v2
	v_cndmask_b32_e64 v8, 7, v8, s13
	v_and_b32_e32 v2, 0xf8, v2
	s_delay_alu instid0(VALU_DEP_2) | instskip(NEXT) | instid1(VALU_DEP_2)
	v_cmp_eq_u64_e64 s13, 0, v[8:9]
	v_and_or_b32 v2, v8, 7, v2
	s_and_b32 s13, s14, s13
	s_delay_alu instid0(VALU_DEP_1) | instid1(SALU_CYCLE_1)
	v_cndmask_b32_e64 v2, v2, 0, s13
	s_delay_alu instid0(VALU_DEP_1)
	v_or_b32_e32 v12, v2, v28
.LBB4_6272:                             ;   in Loop: Header=BB4_5808 Depth=3
	s_or_b32 exec_lo, exec_lo, s76
                                        ; implicit-def: $vgpr28
.LBB4_6273:                             ;   in Loop: Header=BB4_5808 Depth=3
	s_and_not1_saveexec_b32 s13, s75
; %bb.6274:                             ;   in Loop: Header=BB4_5808 Depth=3
	v_or_b32_e32 v12, 0x7e, v28
; %bb.6275:                             ;   in Loop: Header=BB4_5808 Depth=3
	s_or_b32 exec_lo, exec_lo, s13
                                        ; implicit-def: $vgpr9
.LBB4_6276:                             ;   in Loop: Header=BB4_5808 Depth=3
	s_and_not1_saveexec_b32 s13, s15
; %bb.6277:                             ;   in Loop: Header=BB4_5808 Depth=3
	v_or_b32_e32 v12, 0x7f, v9
; %bb.6278:                             ;   in Loop: Header=BB4_5808 Depth=3
	s_or_b32 exec_lo, exec_lo, s13
	v_mov_b32_e32 v8, 0
	s_mov_b32 s14, exec_lo
	v_cmpx_lt_u64_e64 s[22:23], v[14:15]
	s_cbranch_execz .LBB4_6286
; %bb.6279:                             ;   in Loop: Header=BB4_5808 Depth=3
	v_lshrrev_b32_e32 v13, 24, v15
	v_bfrev_b32_e32 v8, 1
	s_mov_b32 s15, exec_lo
	s_delay_alu instid0(VALU_DEP_2)
	v_cmpx_ne_u32_e32 0x80, v13
	s_cbranch_execz .LBB4_6285
; %bb.6280:                             ;   in Loop: Header=BB4_5808 Depth=3
	v_bfe_u32 v9, v15, 24, 7
	v_mov_b32_e32 v8, 0x7f800001
	s_mov_b32 s75, exec_lo
	s_delay_alu instid0(VALU_DEP_2)
	v_cmpx_ne_u32_e32 0x7f, v9
	s_cbranch_execz .LBB4_6284
; %bb.6281:                             ;   in Loop: Header=BB4_5808 Depth=3
	v_and_b32_e32 v2, 7, v13
	v_lshrrev_b32_e32 v14, 3, v9
	v_cmp_gt_u32_e64 s13, 8, v9
	s_delay_alu instid0(VALU_DEP_3)
	v_mov_b64_e32 v[8:9], v[2:3]
	s_and_saveexec_b32 s76, s13
; %bb.6282:                             ;   in Loop: Header=BB4_5808 Depth=3
	v_clz_i32_u32_e32 v8, v2
	s_delay_alu instid0(VALU_DEP_1) | instskip(NEXT) | instid1(VALU_DEP_1)
	v_min_u32_e32 v14, 32, v8
	v_subrev_nc_u32_e32 v8, 28, v14
	s_delay_alu instid0(VALU_DEP_1) | instskip(NEXT) | instid1(VALU_DEP_1)
	v_lshlrev_b64_e32 v[8:9], v8, v[2:3]
	v_dual_sub_nc_u32 v14, 29, v14 :: v_dual_bitop2_b32 v8, 7, v8 bitop3:0x40
; %bb.6283:                             ;   in Loop: Header=BB4_5808 Depth=3
	s_or_b32 exec_lo, exec_lo, s76
	s_delay_alu instid0(VALU_DEP_1) | instskip(NEXT) | instid1(VALU_DEP_2)
	v_dual_lshlrev_b32 v2, 24, v13 :: v_dual_lshlrev_b32 v8, 20, v8
	v_lshl_add_u32 v9, v14, 23, 0x3c000000
	s_delay_alu instid0(VALU_DEP_2) | instskip(NEXT) | instid1(VALU_DEP_1)
	v_and_b32_e32 v2, 0x80000000, v2
	v_or3_b32 v8, v8, v2, v9
.LBB4_6284:                             ;   in Loop: Header=BB4_5808 Depth=3
	s_or_b32 exec_lo, exec_lo, s75
.LBB4_6285:                             ;   in Loop: Header=BB4_5808 Depth=3
	s_delay_alu instid0(SALU_CYCLE_1)
	s_or_b32 exec_lo, exec_lo, s15
.LBB4_6286:                             ;   in Loop: Header=BB4_5808 Depth=3
	s_delay_alu instid0(SALU_CYCLE_1) | instskip(SKIP_3) | instid1(VALU_DEP_3)
	s_or_b32 exec_lo, exec_lo, s14
	v_lshrrev_b32_e32 v2, 24, v11
	v_bfe_u32 v9, v11, 24, 7
	v_cmp_gt_u64_e64 s15, s[24:25], v[10:11]
	v_cmp_eq_u32_e64 s14, 0x80, v2
	s_delay_alu instid0(VALU_DEP_3) | instskip(NEXT) | instid1(VALU_DEP_2)
	v_cmp_eq_u32_e64 s13, 0x7f, v9
	v_cndmask_b32_e64 v13, 0x7f800001, v91, s14
	s_or_b32 s13, s14, s13
	s_delay_alu instid0(SALU_CYCLE_1) | instskip(NEXT) | instid1(VALU_DEP_1)
	s_nor_b32 s13, s15, s13
	v_cndmask_b32_e64 v10, v13, 0, s15
	s_and_saveexec_b32 s14, s13
	s_cbranch_execz .LBB4_6288
; %bb.6287:                             ;   in Loop: Header=BB4_5808 Depth=3
	v_and_b32_e32 v13, 7, v2
	v_cmp_gt_u32_e64 s13, 8, v9
	s_delay_alu instid0(VALU_DEP_2) | instskip(NEXT) | instid1(VALU_DEP_1)
	v_clz_i32_u32_e32 v10, v13
	v_min_u32_e32 v14, 32, v10
	s_delay_alu instid0(VALU_DEP_1) | instskip(NEXT) | instid1(VALU_DEP_1)
	v_subrev_nc_u32_e32 v10, 28, v14
	v_lshlrev_b64_e32 v[10:11], v10, v[2:3]
	s_delay_alu instid0(VALU_DEP_1) | instskip(NEXT) | instid1(VALU_DEP_1)
	v_dual_lshrrev_b32 v11, 3, v9 :: v_dual_bitop2_b32 v9, 7, v10 bitop3:0x40
	v_dual_sub_nc_u32 v14, 29, v14 :: v_dual_cndmask_b32 v9, v13, v9, s13
	v_lshlrev_b32_e32 v2, 24, v2
	s_delay_alu instid0(VALU_DEP_2) | instskip(NEXT) | instid1(VALU_DEP_2)
	v_dual_cndmask_b32 v10, v11, v14, s13 :: v_dual_lshlrev_b32 v9, 20, v9
	v_and_b32_e32 v2, 0x80000000, v2
	s_delay_alu instid0(VALU_DEP_2) | instskip(NEXT) | instid1(VALU_DEP_1)
	v_lshl_add_u32 v10, v10, 23, 0x3c000000
	v_or3_b32 v10, v9, v2, v10
.LBB4_6288:                             ;   in Loop: Header=BB4_5808 Depth=3
	s_or_b32 exec_lo, exec_lo, s14
	s_delay_alu instid0(VALU_DEP_1) | instskip(NEXT) | instid1(VALU_DEP_1)
	v_add_f32_e32 v8, v8, v10
	v_and_b32_e32 v2, 0x7f800000, v8
	v_lshrrev_b32_e32 v9, 24, v8
	s_delay_alu instid0(VALU_DEP_2) | instskip(SKIP_1) | instid1(SALU_CYCLE_1)
	v_cmp_ne_u64_e64 s13, 0x7f800000, v[2:3]
                                        ; implicit-def: $vgpr2
	s_and_saveexec_b32 s14, s13
	s_xor_b32 s15, exec_lo, s14
	s_cbranch_execz .LBB4_6302
; %bb.6289:                             ;   in Loop: Header=BB4_5808 Depth=3
	v_and_b32_e32 v2, 0x7fffffff, v8
	v_and_b32_e32 v13, 0x80, v9
	s_delay_alu instid0(VALU_DEP_2) | instskip(SKIP_1) | instid1(SALU_CYCLE_1)
	v_cmp_gt_u64_e64 s13, 0x43e00001, v[2:3]
                                        ; implicit-def: $vgpr2
	s_and_saveexec_b32 s14, s13
	s_xor_b32 s75, exec_lo, s14
	s_cbranch_execz .LBB4_6299
; %bb.6290:                             ;   in Loop: Header=BB4_5808 Depth=3
	v_mov_b32_e32 v2, 0
	s_mov_b32 s76, exec_lo
	v_cmpx_ne_u32_e32 0, v8
	s_cbranch_execz .LBB4_6298
; %bb.6291:                             ;   in Loop: Header=BB4_5808 Depth=3
	v_bfe_u32 v14, v8, 23, 8
	s_delay_alu instid0(VALU_DEP_1) | instskip(SKIP_1) | instid1(VALU_DEP_1)
	v_sub_nc_u32_e32 v2, 0x79, v14
	v_cmp_gt_u32_e64 s13, 0x7a, v14
	v_cndmask_b32_e64 v2, 0, v2, s13
	v_cmp_eq_u32_e64 s13, 0, v14
	s_delay_alu instid0(VALU_DEP_1) | instskip(SKIP_1) | instid1(VALU_DEP_2)
	v_cndmask_b32_e64 v15, v2, 0x78, s13
	v_and_b32_e32 v2, 0x7fffff, v8
	v_add_nc_u32_e32 v8, 20, v15
	s_delay_alu instid0(VALU_DEP_2) | instskip(SKIP_1) | instid1(VALU_DEP_3)
	v_or_b32_e32 v10, 0x800000, v2
	v_add_nc_u32_e32 v11, 19, v15
	v_lshlrev_b64_e64 v[8:9], v8, -1
	s_delay_alu instid0(VALU_DEP_3) | instskip(NEXT) | instid1(VALU_DEP_3)
	v_cndmask_b32_e64 v2, v10, v2, s13
	v_lshlrev_b64_e64 v[10:11], v11, 1
	s_delay_alu instid0(VALU_DEP_3) | instskip(NEXT) | instid1(VALU_DEP_3)
	v_bfi_b32 v25, v9, 0, 0
	v_bfi_b32 v24, v8, 0, v2
	v_lshrrev_b64 v[8:9], v15, v[2:3]
	s_delay_alu instid0(VALU_DEP_2) | instskip(NEXT) | instid1(VALU_DEP_2)
	v_cmp_eq_u64_e64 s14, v[24:25], v[10:11]
	v_mov_b64_e32 v[10:11], v[8:9]
	s_and_saveexec_b32 s77, s14
; %bb.6292:                             ;   in Loop: Header=BB4_5808 Depth=3
	v_bfe_u32 v2, v8, 20, 1
	s_delay_alu instid0(VALU_DEP_1) | instskip(NEXT) | instid1(VALU_DEP_1)
	v_add_nc_u64_e32 v[10:11], v[8:9], v[2:3]
	v_add_nc_u64_e32 v[10:11], -1, v[10:11]
; %bb.6293:                             ;   in Loop: Header=BB4_5808 Depth=3
	s_or_b32 exec_lo, exec_lo, s77
	v_add_nc_u32_e32 v2, 0xffffff81, v14
	v_lshrrev_b32_e32 v9, 23, v8
	s_mov_b32 s14, exec_lo
	s_delay_alu instid0(VALU_DEP_2) | instskip(NEXT) | instid1(VALU_DEP_1)
	v_cndmask_b32_e64 v2, v2, 0xffffff82, s13
	v_add3_u32 v11, v15, v2, v9
	v_and_b32_e32 v2, 0xfffff, v10
                                        ; implicit-def: $vgpr10
	s_delay_alu instid0(VALU_DEP_1) | instskip(NEXT) | instid1(VALU_DEP_1)
	v_dual_add_nc_u32 v14, 6, v11 :: v_dual_add_nc_u32 v2, v2, v8
                                        ; implicit-def: $vgpr8_vgpr9
	v_cmpx_ne_u32_e32 0, v14
	s_xor_b32 s14, exec_lo, s14
; %bb.6294:                             ;   in Loop: Header=BB4_5808 Depth=3
	s_delay_alu instid0(VALU_DEP_2) | instskip(SKIP_1) | instid1(VALU_DEP_1)
	v_cmp_lt_u64_e64 s13, 0xffffff, v[2:3]
	v_add_nc_u32_e32 v8, 7, v11
	v_cndmask_b32_e64 v10, v14, v8, s13
	v_cndmask_b32_e64 v8, 0, 1, s13
	s_delay_alu instid0(VALU_DEP_1)
	v_lshrrev_b64 v[8:9], v8, v[2:3]
; %bb.6295:                             ;   in Loop: Header=BB4_5808 Depth=3
	s_and_not1_saveexec_b32 s13, s14
; %bb.6296:                             ;   in Loop: Header=BB4_5808 Depth=3
	v_mov_b64_e32 v[8:9], v[2:3]
	v_bfe_u32 v10, v2, 23, 1
; %bb.6297:                             ;   in Loop: Header=BB4_5808 Depth=3
	s_or_b32 exec_lo, exec_lo, s13
	s_delay_alu instid0(VALU_DEP_2) | instskip(NEXT) | instid1(VALU_DEP_2)
	v_lshrrev_b64 v[8:9], 20, v[8:9]
	v_cmp_gt_i32_e64 s13, 16, v10
	v_min_i32_e32 v2, 15, v10
	v_cmp_eq_u32_e64 s14, 0, v10
	s_delay_alu instid0(VALU_DEP_2) | instskip(SKIP_1) | instid1(VALU_DEP_2)
	v_dual_cndmask_b32 v9, 0, v9, s13 :: v_dual_lshlrev_b32 v2, 3, v2
	v_cndmask_b32_e64 v8, 7, v8, s13
	v_and_b32_e32 v2, 0xf8, v2
	s_delay_alu instid0(VALU_DEP_2) | instskip(NEXT) | instid1(VALU_DEP_2)
	v_cmp_eq_u64_e64 s13, 0, v[8:9]
	v_and_or_b32 v2, v8, 7, v2
	s_and_b32 s13, s14, s13
	s_delay_alu instid0(VALU_DEP_1) | instid1(SALU_CYCLE_1)
	v_cndmask_b32_e64 v2, v2, 0, s13
	s_delay_alu instid0(VALU_DEP_1)
	v_or_b32_e32 v2, v2, v13
.LBB4_6298:                             ;   in Loop: Header=BB4_5808 Depth=3
	s_or_b32 exec_lo, exec_lo, s76
                                        ; implicit-def: $vgpr13
.LBB4_6299:                             ;   in Loop: Header=BB4_5808 Depth=3
	s_and_not1_saveexec_b32 s13, s75
; %bb.6300:                             ;   in Loop: Header=BB4_5808 Depth=3
	v_or_b32_e32 v2, 0x7e, v13
; %bb.6301:                             ;   in Loop: Header=BB4_5808 Depth=3
	s_or_b32 exec_lo, exec_lo, s13
                                        ; implicit-def: $vgpr9
.LBB4_6302:                             ;   in Loop: Header=BB4_5808 Depth=3
	s_and_not1_saveexec_b32 s13, s15
	s_cbranch_execz .LBB4_5807
; %bb.6303:                             ;   in Loop: Header=BB4_5808 Depth=3
	v_or_b32_e32 v2, 0x7f, v9
	s_branch .LBB4_5807
.LBB4_6304:                             ;   in Loop: Header=BB4_2595 Depth=2
	s_or_b32 exec_lo, exec_lo, s74
.LBB4_6305:                             ;   in Loop: Header=BB4_2595 Depth=2
	s_delay_alu instid0(SALU_CYCLE_1) | instskip(SKIP_3) | instid1(VALU_DEP_1)
	s_or_b32 exec_lo, exec_lo, s45
	v_dual_mov_b32 v18, 0 :: v_dual_bitop2_b32 v8, 15, v41 bitop3:0x40
	s_mov_b32 s14, 0
	s_mov_b32 s15, exec_lo
                                        ; implicit-def: $vgpr20
                                        ; implicit-def: $vgpr2
	v_cndmask_b32_e32 v19, v72, v8, vcc_lo
	s_delay_alu instid0(VALU_DEP_1)
	v_cmpx_ne_u32_e32 0, v19
	s_cbranch_execz .LBB4_6307
; %bb.6306:                             ;   in Loop: Header=BB4_2595 Depth=2
	v_cmp_lt_i32_e64 s13, 0, v73
	s_mov_b32 s14, exec_lo
	v_sub_nc_u32_e32 v8, v72, v8
	v_cndmask_b32_e64 v2, 0, v52, s13
	s_delay_alu instid0(VALU_DEP_1) | instskip(NEXT) | instid1(VALU_DEP_1)
	v_dual_cndmask_b32 v8, 0, v8, vcc_lo :: v_dual_sub_nc_u32 v2, v2, v73
	v_add3_u32 v18, v43, v62, v8
	s_delay_alu instid0(VALU_DEP_2) | instskip(NEXT) | instid1(VALU_DEP_1)
	v_lshl_add_u32 v20, v2, 5, v63
	v_ashrrev_i32_e32 v2, 31, v20
	s_delay_alu instid0(VALU_DEP_1) | instskip(NEXT) | instid1(VALU_DEP_1)
	v_lshrrev_b32_e32 v2, 27, v2
	v_add_nc_u32_e32 v2, v20, v2
	s_delay_alu instid0(VALU_DEP_1)
	v_ashrrev_i32_e32 v2, 5, v2
.LBB4_6307:                             ;   in Loop: Header=BB4_2595 Depth=2
	s_or_b32 exec_lo, exec_lo, s15
	s_delay_alu instid0(SALU_CYCLE_1)
	s_and_b32 s13, s14, exec_lo
.LBB4_6308:                             ;   in Loop: Header=BB4_2595 Depth=2
	s_or_b32 exec_lo, exec_lo, s44
	s_and_saveexec_b32 s14, s13
	s_cbranch_execz .LBB4_6929
.LBB4_6309:                             ;   in Loop: Header=BB4_2595 Depth=2
	v_ashrrev_i32_e32 v8, 31, v19
	s_mov_b32 s15, exec_lo
	s_delay_alu instid0(VALU_DEP_1) | instskip(NEXT) | instid1(VALU_DEP_1)
	v_lshrrev_b32_e32 v8, 23, v8
	v_add_nc_u32_e32 v8, v19, v8
	s_delay_alu instid0(VALU_DEP_1) | instskip(NEXT) | instid1(VALU_DEP_1)
	v_ashrrev_i32_e32 v22, 9, v8
	v_sub_nc_u32_e32 v21, v22, v2
	s_delay_alu instid0(VALU_DEP_1)
	v_cmpx_lt_i32_e32 0, v21
	s_cbranch_execz .LBB4_6889
; %bb.6310:                             ;   in Loop: Header=BB4_2595 Depth=2
	v_dual_ashrrev_i32 v8, 31, v20 :: v_dual_lshlrev_b32 v2, 9, v2
	s_trap 2
	ds_load_b64 v[10:11], v0
	v_add_nc_u64_e32 v[14:15], 0x1e0, v[56:57]
	v_lshrrev_b32_e32 v8, 27, v8
	s_mov_b32 s44, 0
	s_delay_alu instid0(VALU_DEP_1) | instskip(NEXT) | instid1(VALU_DEP_1)
	v_add_nc_u32_e32 v8, v20, v8
	v_and_b32_e32 v8, 0xffffffe0, v8
	s_delay_alu instid0(VALU_DEP_1) | instskip(NEXT) | instid1(VALU_DEP_1)
	v_sub_nc_u32_e32 v8, v20, v8
	v_add3_u32 v12, v18, v8, v2
	s_delay_alu instid0(VALU_DEP_1) | instskip(NEXT) | instid1(VALU_DEP_1)
	v_ashrrev_i32_e32 v13, 31, v12
	v_add_nc_u64_e32 v[8:9], v[12:13], v[46:47]
	s_wait_dscnt 0x0
	v_add_nc_u64_e32 v[10:11], v[10:11], v[12:13]
	v_add_nc_u64_e32 v[12:13], v[14:15], v[12:13]
	s_branch .LBB4_6312
.LBB4_6311:                             ;   in Loop: Header=BB4_6312 Depth=3
	s_or_b32 exec_lo, exec_lo, s13
	v_sub_nc_u32_e32 v21, v21, v52
	s_clause 0xf
	flat_store_b8 v[12:13], v43 offset:-480 th:TH_STORE_NT
	flat_store_b8 v[12:13], v56 offset:-448 th:TH_STORE_NT
	;; [unrolled: 1-line block ×15, first 2 shown]
	flat_store_b8 v[12:13], v2 th:TH_STORE_NT
	v_add_nc_u64_e32 v[8:9], v[8:9], v[80:81]
	v_add_nc_u64_e32 v[10:11], v[10:11], v[80:81]
	v_cmp_gt_i32_e32 vcc_lo, 1, v21
	s_wait_xcnt 0x0
	v_add_nc_u64_e32 v[12:13], v[12:13], v[80:81]
	s_or_b32 s44, vcc_lo, s44
	s_delay_alu instid0(SALU_CYCLE_1)
	s_and_not1_b32 exec_lo, exec_lo, s44
	s_cbranch_execz .LBB4_6888
.LBB4_6312:                             ;   Parent Loop BB4_47 Depth=1
                                        ;     Parent Loop BB4_2595 Depth=2
                                        ; =>    This Inner Loop Header: Depth=3
	s_clause 0xf
	flat_load_u8 v110, v[8:9] th:TH_LOAD_NT
	flat_load_u8 v56, v[8:9] offset:32 th:TH_LOAD_NT
	flat_load_u8 v28, v[8:9] offset:64 th:TH_LOAD_NT
	;; [unrolled: 1-line block ×15, first 2 shown]
	s_clause 0xf
	flat_load_u8 v16, v[10:11] th:TH_LOAD_NT
	flat_load_u8 v29, v[10:11] offset:32 th:TH_LOAD_NT
	flat_load_u8 v59, v[10:11] offset:64 th:TH_LOAD_NT
	;; [unrolled: 1-line block ×15, first 2 shown]
	v_dual_mov_b32 v17, 0 :: v_dual_mov_b32 v43, 0
	s_mov_b32 s13, exec_lo
	s_wait_loadcnt_dscnt 0x1f1f
	s_wait_xcnt 0x0
	v_cmpx_ne_u16_e32 0, v110
	s_cbranch_execz .LBB4_6320
; %bb.6313:                             ;   in Loop: Header=BB4_6312 Depth=3
	v_bfrev_b32_e32 v43, 1
	s_mov_b32 s45, exec_lo
	v_cmpx_ne_u16_e32 0x80, v110
	s_cbranch_execz .LBB4_6319
; %bb.6314:                             ;   in Loop: Header=BB4_6312 Depth=3
	v_and_b32_e32 v2, 0xffff, v110
	v_mov_b32_e32 v43, 0x7f800001
	s_mov_b32 s74, exec_lo
	s_delay_alu instid0(VALU_DEP_2) | instskip(NEXT) | instid1(VALU_DEP_1)
	v_and_b32_e32 v14, 0x7f, v2
	v_cmpx_ne_u32_e32 0x7f, v14
	s_cbranch_execz .LBB4_6318
; %bb.6315:                             ;   in Loop: Header=BB4_6312 Depth=3
	v_and_b32_e32 v2, 7, v2
	v_lshrrev_b32_e32 v24, 3, v14
	v_cmp_gt_u32_e32 vcc_lo, 8, v14
	s_delay_alu instid0(VALU_DEP_3)
	v_mov_b64_e32 v[14:15], v[2:3]
	s_and_saveexec_b32 s75, vcc_lo
; %bb.6316:                             ;   in Loop: Header=BB4_6312 Depth=3
	v_clz_i32_u32_e32 v14, v2
	s_delay_alu instid0(VALU_DEP_1) | instskip(NEXT) | instid1(VALU_DEP_1)
	v_min_u32_e32 v24, 32, v14
	v_subrev_nc_u32_e32 v14, 28, v24
	s_delay_alu instid0(VALU_DEP_1) | instskip(NEXT) | instid1(VALU_DEP_1)
	v_lshlrev_b64_e32 v[14:15], v14, v[2:3]
	v_dual_sub_nc_u32 v24, 29, v24 :: v_dual_bitop2_b32 v14, 7, v14 bitop3:0x40
; %bb.6317:                             ;   in Loop: Header=BB4_6312 Depth=3
	s_or_b32 exec_lo, exec_lo, s75
	v_lshlrev_b32_e32 v2, 24, v110
	s_delay_alu instid0(VALU_DEP_2) | instskip(NEXT) | instid1(VALU_DEP_3)
	v_lshlrev_b32_e32 v14, 20, v14
	v_lshl_add_u32 v15, v24, 23, 0x3c000000
	s_delay_alu instid0(VALU_DEP_3) | instskip(NEXT) | instid1(VALU_DEP_1)
	v_and_b32_e32 v2, 0x80000000, v2
	v_or3_b32 v43, v14, v2, v15
.LBB4_6318:                             ;   in Loop: Header=BB4_6312 Depth=3
	s_or_b32 exec_lo, exec_lo, s74
.LBB4_6319:                             ;   in Loop: Header=BB4_6312 Depth=3
	s_delay_alu instid0(SALU_CYCLE_1)
	s_or_b32 exec_lo, exec_lo, s45
.LBB4_6320:                             ;   in Loop: Header=BB4_6312 Depth=3
	s_delay_alu instid0(SALU_CYCLE_1) | instskip(SKIP_3) | instid1(VALU_DEP_1)
	s_or_b32 exec_lo, exec_lo, s13
	s_wait_loadcnt_dscnt 0xf0f
	v_and_b32_e32 v2, 0xff, v16
	s_mov_b32 s13, exec_lo
	v_cmpx_ne_u16_e32 0, v2
	s_cbranch_execz .LBB4_6328
; %bb.6321:                             ;   in Loop: Header=BB4_6312 Depth=3
	v_bfrev_b32_e32 v17, 1
	s_mov_b32 s45, exec_lo
	v_cmpx_ne_u16_e32 0x80, v2
	s_cbranch_execz .LBB4_6327
; %bb.6322:                             ;   in Loop: Header=BB4_6312 Depth=3
	v_and_b32_e32 v14, 0x7f, v16
	v_mov_b32_e32 v17, 0x7f800001
	s_mov_b32 s74, exec_lo
	s_delay_alu instid0(VALU_DEP_2)
	v_cmpx_ne_u32_e32 0x7f, v14
	s_cbranch_execz .LBB4_6326
; %bb.6323:                             ;   in Loop: Header=BB4_6312 Depth=3
	v_and_b32_e32 v2, 7, v2
	v_lshrrev_b32_e32 v17, 3, v14
	v_cmp_gt_u32_e32 vcc_lo, 8, v14
	s_delay_alu instid0(VALU_DEP_3)
	v_mov_b64_e32 v[14:15], v[2:3]
	s_and_saveexec_b32 s75, vcc_lo
; %bb.6324:                             ;   in Loop: Header=BB4_6312 Depth=3
	v_clz_i32_u32_e32 v14, v2
	s_delay_alu instid0(VALU_DEP_1) | instskip(NEXT) | instid1(VALU_DEP_1)
	v_min_u32_e32 v17, 32, v14
	v_subrev_nc_u32_e32 v14, 28, v17
	s_delay_alu instid0(VALU_DEP_1) | instskip(NEXT) | instid1(VALU_DEP_1)
	v_lshlrev_b64_e32 v[14:15], v14, v[2:3]
	v_dual_sub_nc_u32 v17, 29, v17 :: v_dual_bitop2_b32 v14, 7, v14 bitop3:0x40
; %bb.6325:                             ;   in Loop: Header=BB4_6312 Depth=3
	s_or_b32 exec_lo, exec_lo, s75
	s_delay_alu instid0(VALU_DEP_1) | instskip(NEXT) | instid1(VALU_DEP_2)
	v_dual_lshlrev_b32 v2, 24, v16 :: v_dual_lshlrev_b32 v14, 20, v14
	v_lshl_add_u32 v15, v17, 23, 0x3c000000
	s_delay_alu instid0(VALU_DEP_2) | instskip(NEXT) | instid1(VALU_DEP_1)
	v_and_b32_e32 v2, 0x80000000, v2
	v_or3_b32 v17, v14, v2, v15
.LBB4_6326:                             ;   in Loop: Header=BB4_6312 Depth=3
	s_or_b32 exec_lo, exec_lo, s74
.LBB4_6327:                             ;   in Loop: Header=BB4_6312 Depth=3
	s_delay_alu instid0(SALU_CYCLE_1)
	s_or_b32 exec_lo, exec_lo, s45
.LBB4_6328:                             ;   in Loop: Header=BB4_6312 Depth=3
	s_delay_alu instid0(SALU_CYCLE_1) | instskip(NEXT) | instid1(VALU_DEP_1)
	s_or_b32 exec_lo, exec_lo, s13
	v_add_f32_e32 v14, v43, v17
                                        ; implicit-def: $vgpr43
	s_mov_b32 s13, exec_lo
	s_delay_alu instid0(VALU_DEP_1) | instskip(NEXT) | instid1(VALU_DEP_1)
	v_and_b32_e32 v2, 0x7f800000, v14
	v_cmpx_ne_u64_e32 0x7f800000, v[2:3]
	s_xor_b32 s45, exec_lo, s13
	s_cbranch_execz .LBB4_6346
; %bb.6329:                             ;   in Loop: Header=BB4_6312 Depth=3
	v_lshrrev_b32_e32 v15, 24, v14
	v_and_b32_e32 v2, 0x7fffffff, v14
                                        ; implicit-def: $vgpr43
	s_mov_b32 s13, exec_lo
	s_delay_alu instid0(VALU_DEP_2) | instskip(NEXT) | instid1(VALU_DEP_2)
	v_and_b32_e32 v110, 0x80, v15
	v_cmpx_gt_u64_e32 0x43e00001, v[2:3]
	s_xor_b32 s74, exec_lo, s13
	s_cbranch_execz .LBB4_6343
; %bb.6330:                             ;   in Loop: Header=BB4_6312 Depth=3
	v_mov_b32_e32 v43, 0
	s_mov_b32 s75, exec_lo
	v_cmpx_ne_u32_e32 0, v14
	s_cbranch_execz .LBB4_6342
; %bb.6331:                             ;   in Loop: Header=BB4_6312 Depth=3
	v_bfe_u32 v24, v14, 23, 8
	s_delay_alu instid0(VALU_DEP_1) | instskip(SKIP_1) | instid1(VALU_DEP_2)
	v_sub_nc_u32_e32 v2, 0x79, v24
	v_cmp_gt_u32_e32 vcc_lo, 0x7a, v24
	v_cndmask_b32_e32 v2, 0, v2, vcc_lo
	v_cmp_eq_u32_e32 vcc_lo, 0, v24
	s_delay_alu instid0(VALU_DEP_2) | instskip(SKIP_1) | instid1(VALU_DEP_2)
	v_cndmask_b32_e64 v25, v2, 0x78, vcc_lo
	v_and_b32_e32 v2, 0x7fffff, v14
	v_add_nc_u32_e32 v14, 20, v25
	s_delay_alu instid0(VALU_DEP_2) | instskip(SKIP_1) | instid1(VALU_DEP_3)
	v_or_b32_e32 v16, 0x800000, v2
	v_add_nc_u32_e32 v17, 19, v25
	v_lshlrev_b64_e64 v[14:15], v14, -1
	s_delay_alu instid0(VALU_DEP_3) | instskip(NEXT) | instid1(VALU_DEP_3)
	v_cndmask_b32_e32 v2, v16, v2, vcc_lo
	v_lshlrev_b64_e64 v[16:17], v17, 1
	s_delay_alu instid0(VALU_DEP_3) | instskip(NEXT) | instid1(VALU_DEP_3)
	v_bfi_b32 v121, v15, 0, 0
	v_bfi_b32 v120, v14, 0, v2
	v_lshrrev_b64 v[14:15], v25, v[2:3]
	s_delay_alu instid0(VALU_DEP_2) | instskip(NEXT) | instid1(VALU_DEP_2)
	v_cmp_eq_u64_e64 s13, v[120:121], v[16:17]
	v_mov_b64_e32 v[16:17], v[14:15]
	s_and_saveexec_b32 s76, s13
; %bb.6332:                             ;   in Loop: Header=BB4_6312 Depth=3
	v_bfe_u32 v2, v14, 20, 1
	s_delay_alu instid0(VALU_DEP_1) | instskip(NEXT) | instid1(VALU_DEP_1)
	v_add_nc_u64_e32 v[16:17], v[14:15], v[2:3]
	v_add_nc_u64_e32 v[16:17], -1, v[16:17]
; %bb.6333:                             ;   in Loop: Header=BB4_6312 Depth=3
	s_or_b32 exec_lo, exec_lo, s76
	v_add_nc_u32_e32 v2, 0xffffff81, v24
	v_lshrrev_b32_e32 v15, 23, v14
	s_mov_b32 s13, exec_lo
	s_delay_alu instid0(VALU_DEP_2) | instskip(NEXT) | instid1(VALU_DEP_1)
	v_cndmask_b32_e64 v2, v2, 0xffffff82, vcc_lo
	v_add3_u32 v17, v25, v2, v15
	v_and_b32_e32 v2, 0xfffff, v16
                                        ; implicit-def: $vgpr16
	s_delay_alu instid0(VALU_DEP_1) | instskip(NEXT) | instid1(VALU_DEP_1)
	v_dual_add_nc_u32 v24, 6, v17 :: v_dual_add_nc_u32 v2, v2, v14
                                        ; implicit-def: $vgpr14_vgpr15
	v_cmpx_ne_u32_e32 0, v24
	s_xor_b32 s13, exec_lo, s13
; %bb.6334:                             ;   in Loop: Header=BB4_6312 Depth=3
	s_delay_alu instid0(VALU_DEP_2) | instskip(SKIP_1) | instid1(VALU_DEP_1)
	v_cmp_lt_u64_e32 vcc_lo, 0xffffff, v[2:3]
	v_add_nc_u32_e32 v14, 7, v17
	v_cndmask_b32_e32 v16, v24, v14, vcc_lo
	v_cndmask_b32_e64 v14, 0, 1, vcc_lo
	s_delay_alu instid0(VALU_DEP_1)
	v_lshrrev_b64 v[14:15], v14, v[2:3]
; %bb.6335:                             ;   in Loop: Header=BB4_6312 Depth=3
	s_and_not1_saveexec_b32 s13, s13
; %bb.6336:                             ;   in Loop: Header=BB4_6312 Depth=3
	v_mov_b64_e32 v[14:15], v[2:3]
	v_bfe_u32 v16, v2, 23, 1
; %bb.6337:                             ;   in Loop: Header=BB4_6312 Depth=3
	s_or_b32 exec_lo, exec_lo, s13
	s_delay_alu instid0(VALU_DEP_2) | instskip(NEXT) | instid1(VALU_DEP_2)
	v_lshrrev_b64 v[14:15], 20, v[14:15]
	v_cmp_gt_i32_e32 vcc_lo, 16, v16
	v_cmp_ne_u32_e64 s13, 0, v16
                                        ; implicit-def: $vgpr43
	s_delay_alu instid0(VALU_DEP_3) | instskip(NEXT) | instid1(VALU_DEP_1)
	v_dual_cndmask_b32 v15, 0, v15 :: v_dual_cndmask_b32 v14, 7, v14
	v_cmp_ne_u64_e32 vcc_lo, 0, v[14:15]
	s_or_b32 s13, s13, vcc_lo
	s_delay_alu instid0(SALU_CYCLE_1) | instskip(NEXT) | instid1(SALU_CYCLE_1)
	s_and_saveexec_b32 s76, s13
	s_xor_b32 s13, exec_lo, s76
; %bb.6338:                             ;   in Loop: Header=BB4_6312 Depth=3
	v_min_i32_e32 v2, 15, v16
	s_delay_alu instid0(VALU_DEP_1) | instskip(NEXT) | instid1(VALU_DEP_1)
	v_lshl_or_b32 v2, v2, 3, v110
                                        ; implicit-def: $vgpr110
	v_and_or_b32 v43, v14, 7, v2
; %bb.6339:                             ;   in Loop: Header=BB4_6312 Depth=3
	s_and_not1_saveexec_b32 s13, s13
; %bb.6340:                             ;   in Loop: Header=BB4_6312 Depth=3
	v_mov_b32_e32 v43, v110
; %bb.6341:                             ;   in Loop: Header=BB4_6312 Depth=3
	s_or_b32 exec_lo, exec_lo, s13
.LBB4_6342:                             ;   in Loop: Header=BB4_6312 Depth=3
	s_delay_alu instid0(SALU_CYCLE_1)
	s_or_b32 exec_lo, exec_lo, s75
                                        ; implicit-def: $vgpr110
.LBB4_6343:                             ;   in Loop: Header=BB4_6312 Depth=3
	s_and_not1_saveexec_b32 s13, s74
; %bb.6344:                             ;   in Loop: Header=BB4_6312 Depth=3
	v_or_b32_e32 v43, 0x7e, v110
; %bb.6345:                             ;   in Loop: Header=BB4_6312 Depth=3
	s_or_b32 exec_lo, exec_lo, s13
                                        ; implicit-def: $vgpr14
.LBB4_6346:                             ;   in Loop: Header=BB4_6312 Depth=3
	s_and_not1_saveexec_b32 s13, s45
; %bb.6347:                             ;   in Loop: Header=BB4_6312 Depth=3
	v_lshrrev_b32_e32 v2, 24, v14
	s_delay_alu instid0(VALU_DEP_1)
	v_or_b32_e32 v43, 0x7f, v2
; %bb.6348:                             ;   in Loop: Header=BB4_6312 Depth=3
	s_or_b32 exec_lo, exec_lo, s13
	v_and_b32_e32 v2, 0xff, v56
	v_dual_mov_b32 v16, 0 :: v_dual_mov_b32 v17, 0
	s_mov_b32 s13, exec_lo
	s_delay_alu instid0(VALU_DEP_2)
	v_cmpx_ne_u16_e32 0, v2
	s_cbranch_execz .LBB4_6356
; %bb.6349:                             ;   in Loop: Header=BB4_6312 Depth=3
	v_bfrev_b32_e32 v17, 1
	s_mov_b32 s45, exec_lo
	v_cmpx_ne_u16_e32 0x80, v2
	s_cbranch_execz .LBB4_6355
; %bb.6350:                             ;   in Loop: Header=BB4_6312 Depth=3
	v_and_b32_e32 v14, 0x7f, v56
	v_mov_b32_e32 v17, 0x7f800001
	s_mov_b32 s74, exec_lo
	s_delay_alu instid0(VALU_DEP_2)
	v_cmpx_ne_u32_e32 0x7f, v14
	s_cbranch_execz .LBB4_6354
; %bb.6351:                             ;   in Loop: Header=BB4_6312 Depth=3
	v_and_b32_e32 v2, 7, v2
	v_lshrrev_b32_e32 v17, 3, v14
	v_cmp_gt_u32_e32 vcc_lo, 8, v14
	s_delay_alu instid0(VALU_DEP_3)
	v_mov_b64_e32 v[14:15], v[2:3]
	s_and_saveexec_b32 s75, vcc_lo
; %bb.6352:                             ;   in Loop: Header=BB4_6312 Depth=3
	v_clz_i32_u32_e32 v14, v2
	s_delay_alu instid0(VALU_DEP_1) | instskip(NEXT) | instid1(VALU_DEP_1)
	v_min_u32_e32 v17, 32, v14
	v_subrev_nc_u32_e32 v14, 28, v17
	s_delay_alu instid0(VALU_DEP_1) | instskip(NEXT) | instid1(VALU_DEP_1)
	v_lshlrev_b64_e32 v[14:15], v14, v[2:3]
	v_dual_sub_nc_u32 v17, 29, v17 :: v_dual_bitop2_b32 v14, 7, v14 bitop3:0x40
; %bb.6353:                             ;   in Loop: Header=BB4_6312 Depth=3
	s_or_b32 exec_lo, exec_lo, s75
	s_delay_alu instid0(VALU_DEP_1) | instskip(NEXT) | instid1(VALU_DEP_2)
	v_dual_lshlrev_b32 v2, 24, v56 :: v_dual_lshlrev_b32 v14, 20, v14
	v_lshl_add_u32 v15, v17, 23, 0x3c000000
	s_delay_alu instid0(VALU_DEP_2) | instskip(NEXT) | instid1(VALU_DEP_1)
	v_and_b32_e32 v2, 0x80000000, v2
	v_or3_b32 v17, v14, v2, v15
.LBB4_6354:                             ;   in Loop: Header=BB4_6312 Depth=3
	s_or_b32 exec_lo, exec_lo, s74
.LBB4_6355:                             ;   in Loop: Header=BB4_6312 Depth=3
	s_delay_alu instid0(SALU_CYCLE_1)
	s_or_b32 exec_lo, exec_lo, s45
.LBB4_6356:                             ;   in Loop: Header=BB4_6312 Depth=3
	s_delay_alu instid0(SALU_CYCLE_1) | instskip(SKIP_3) | instid1(VALU_DEP_1)
	s_or_b32 exec_lo, exec_lo, s13
	s_wait_loadcnt_dscnt 0xe0e
	v_and_b32_e32 v2, 0xff, v29
	s_mov_b32 s13, exec_lo
	v_cmpx_ne_u16_e32 0, v2
	s_cbranch_execz .LBB4_6364
; %bb.6357:                             ;   in Loop: Header=BB4_6312 Depth=3
	v_bfrev_b32_e32 v16, 1
	s_mov_b32 s45, exec_lo
	v_cmpx_ne_u16_e32 0x80, v2
	s_cbranch_execz .LBB4_6363
; %bb.6358:                             ;   in Loop: Header=BB4_6312 Depth=3
	v_and_b32_e32 v14, 0x7f, v29
	v_mov_b32_e32 v16, 0x7f800001
	s_mov_b32 s74, exec_lo
	s_delay_alu instid0(VALU_DEP_2)
	v_cmpx_ne_u32_e32 0x7f, v14
	s_cbranch_execz .LBB4_6362
; %bb.6359:                             ;   in Loop: Header=BB4_6312 Depth=3
	v_and_b32_e32 v2, 7, v2
	v_lshrrev_b32_e32 v16, 3, v14
	v_cmp_gt_u32_e32 vcc_lo, 8, v14
	s_delay_alu instid0(VALU_DEP_3)
	v_mov_b64_e32 v[14:15], v[2:3]
	s_and_saveexec_b32 s75, vcc_lo
; %bb.6360:                             ;   in Loop: Header=BB4_6312 Depth=3
	v_clz_i32_u32_e32 v14, v2
	s_delay_alu instid0(VALU_DEP_1) | instskip(NEXT) | instid1(VALU_DEP_1)
	v_min_u32_e32 v16, 32, v14
	v_subrev_nc_u32_e32 v14, 28, v16
	s_delay_alu instid0(VALU_DEP_1) | instskip(NEXT) | instid1(VALU_DEP_1)
	v_lshlrev_b64_e32 v[14:15], v14, v[2:3]
	v_dual_sub_nc_u32 v16, 29, v16 :: v_dual_bitop2_b32 v14, 7, v14 bitop3:0x40
; %bb.6361:                             ;   in Loop: Header=BB4_6312 Depth=3
	s_or_b32 exec_lo, exec_lo, s75
	s_delay_alu instid0(VALU_DEP_1) | instskip(NEXT) | instid1(VALU_DEP_2)
	v_dual_lshlrev_b32 v2, 24, v29 :: v_dual_lshlrev_b32 v14, 20, v14
	v_lshl_add_u32 v15, v16, 23, 0x3c000000
	s_delay_alu instid0(VALU_DEP_2) | instskip(NEXT) | instid1(VALU_DEP_1)
	v_and_b32_e32 v2, 0x80000000, v2
	v_or3_b32 v16, v14, v2, v15
.LBB4_6362:                             ;   in Loop: Header=BB4_6312 Depth=3
	s_or_b32 exec_lo, exec_lo, s74
.LBB4_6363:                             ;   in Loop: Header=BB4_6312 Depth=3
	s_delay_alu instid0(SALU_CYCLE_1)
	s_or_b32 exec_lo, exec_lo, s45
.LBB4_6364:                             ;   in Loop: Header=BB4_6312 Depth=3
	s_delay_alu instid0(SALU_CYCLE_1) | instskip(NEXT) | instid1(VALU_DEP_1)
	s_or_b32 exec_lo, exec_lo, s13
	v_add_f32_e32 v14, v17, v16
                                        ; implicit-def: $vgpr56
	s_mov_b32 s13, exec_lo
	s_delay_alu instid0(VALU_DEP_1) | instskip(NEXT) | instid1(VALU_DEP_1)
	v_and_b32_e32 v2, 0x7f800000, v14
	v_cmpx_ne_u64_e32 0x7f800000, v[2:3]
	s_xor_b32 s45, exec_lo, s13
	s_cbranch_execz .LBB4_6382
; %bb.6365:                             ;   in Loop: Header=BB4_6312 Depth=3
	v_lshrrev_b32_e32 v15, 24, v14
	v_and_b32_e32 v2, 0x7fffffff, v14
                                        ; implicit-def: $vgpr56
	s_mov_b32 s13, exec_lo
	s_delay_alu instid0(VALU_DEP_2) | instskip(NEXT) | instid1(VALU_DEP_2)
	v_and_b32_e32 v29, 0x80, v15
	v_cmpx_gt_u64_e32 0x43e00001, v[2:3]
	s_xor_b32 s74, exec_lo, s13
	s_cbranch_execz .LBB4_6379
; %bb.6366:                             ;   in Loop: Header=BB4_6312 Depth=3
	v_mov_b32_e32 v56, 0
	s_mov_b32 s75, exec_lo
	v_cmpx_ne_u32_e32 0, v14
	s_cbranch_execz .LBB4_6378
; %bb.6367:                             ;   in Loop: Header=BB4_6312 Depth=3
	v_bfe_u32 v24, v14, 23, 8
	s_delay_alu instid0(VALU_DEP_1) | instskip(SKIP_1) | instid1(VALU_DEP_2)
	v_sub_nc_u32_e32 v2, 0x79, v24
	v_cmp_gt_u32_e32 vcc_lo, 0x7a, v24
	v_cndmask_b32_e32 v2, 0, v2, vcc_lo
	v_cmp_eq_u32_e32 vcc_lo, 0, v24
	s_delay_alu instid0(VALU_DEP_2) | instskip(SKIP_1) | instid1(VALU_DEP_2)
	v_cndmask_b32_e64 v25, v2, 0x78, vcc_lo
	v_and_b32_e32 v2, 0x7fffff, v14
	v_add_nc_u32_e32 v14, 20, v25
	s_delay_alu instid0(VALU_DEP_2) | instskip(SKIP_1) | instid1(VALU_DEP_3)
	v_or_b32_e32 v16, 0x800000, v2
	v_add_nc_u32_e32 v17, 19, v25
	v_lshlrev_b64_e64 v[14:15], v14, -1
	s_delay_alu instid0(VALU_DEP_3) | instskip(NEXT) | instid1(VALU_DEP_3)
	v_cndmask_b32_e32 v2, v16, v2, vcc_lo
	v_lshlrev_b64_e64 v[16:17], v17, 1
	s_delay_alu instid0(VALU_DEP_3) | instskip(NEXT) | instid1(VALU_DEP_3)
	v_bfi_b32 v111, v15, 0, 0
	v_bfi_b32 v110, v14, 0, v2
	v_lshrrev_b64 v[14:15], v25, v[2:3]
	s_delay_alu instid0(VALU_DEP_2) | instskip(NEXT) | instid1(VALU_DEP_2)
	v_cmp_eq_u64_e64 s13, v[110:111], v[16:17]
	v_mov_b64_e32 v[16:17], v[14:15]
	s_and_saveexec_b32 s76, s13
; %bb.6368:                             ;   in Loop: Header=BB4_6312 Depth=3
	v_bfe_u32 v2, v14, 20, 1
	s_delay_alu instid0(VALU_DEP_1) | instskip(NEXT) | instid1(VALU_DEP_1)
	v_add_nc_u64_e32 v[16:17], v[14:15], v[2:3]
	v_add_nc_u64_e32 v[16:17], -1, v[16:17]
; %bb.6369:                             ;   in Loop: Header=BB4_6312 Depth=3
	s_or_b32 exec_lo, exec_lo, s76
	v_add_nc_u32_e32 v2, 0xffffff81, v24
	v_lshrrev_b32_e32 v15, 23, v14
	s_mov_b32 s13, exec_lo
	s_delay_alu instid0(VALU_DEP_2) | instskip(NEXT) | instid1(VALU_DEP_1)
	v_cndmask_b32_e64 v2, v2, 0xffffff82, vcc_lo
	v_add3_u32 v17, v25, v2, v15
	v_and_b32_e32 v2, 0xfffff, v16
                                        ; implicit-def: $vgpr16
	s_delay_alu instid0(VALU_DEP_1) | instskip(NEXT) | instid1(VALU_DEP_1)
	v_dual_add_nc_u32 v24, 6, v17 :: v_dual_add_nc_u32 v2, v2, v14
                                        ; implicit-def: $vgpr14_vgpr15
	v_cmpx_ne_u32_e32 0, v24
	s_xor_b32 s13, exec_lo, s13
; %bb.6370:                             ;   in Loop: Header=BB4_6312 Depth=3
	s_delay_alu instid0(VALU_DEP_2) | instskip(SKIP_1) | instid1(VALU_DEP_1)
	v_cmp_lt_u64_e32 vcc_lo, 0xffffff, v[2:3]
	v_add_nc_u32_e32 v14, 7, v17
	v_cndmask_b32_e32 v16, v24, v14, vcc_lo
	v_cndmask_b32_e64 v14, 0, 1, vcc_lo
	s_delay_alu instid0(VALU_DEP_1)
	v_lshrrev_b64 v[14:15], v14, v[2:3]
; %bb.6371:                             ;   in Loop: Header=BB4_6312 Depth=3
	s_and_not1_saveexec_b32 s13, s13
; %bb.6372:                             ;   in Loop: Header=BB4_6312 Depth=3
	v_mov_b64_e32 v[14:15], v[2:3]
	v_bfe_u32 v16, v2, 23, 1
; %bb.6373:                             ;   in Loop: Header=BB4_6312 Depth=3
	s_or_b32 exec_lo, exec_lo, s13
	s_delay_alu instid0(VALU_DEP_2) | instskip(NEXT) | instid1(VALU_DEP_2)
	v_lshrrev_b64 v[14:15], 20, v[14:15]
	v_cmp_gt_i32_e32 vcc_lo, 16, v16
	v_cmp_ne_u32_e64 s13, 0, v16
                                        ; implicit-def: $vgpr56
	s_delay_alu instid0(VALU_DEP_3) | instskip(NEXT) | instid1(VALU_DEP_1)
	v_dual_cndmask_b32 v15, 0, v15 :: v_dual_cndmask_b32 v14, 7, v14
	v_cmp_ne_u64_e32 vcc_lo, 0, v[14:15]
	s_or_b32 s13, s13, vcc_lo
	s_delay_alu instid0(SALU_CYCLE_1) | instskip(NEXT) | instid1(SALU_CYCLE_1)
	s_and_saveexec_b32 s76, s13
	s_xor_b32 s13, exec_lo, s76
; %bb.6374:                             ;   in Loop: Header=BB4_6312 Depth=3
	v_min_i32_e32 v2, 15, v16
	s_delay_alu instid0(VALU_DEP_1) | instskip(NEXT) | instid1(VALU_DEP_1)
	v_lshl_or_b32 v2, v2, 3, v29
                                        ; implicit-def: $vgpr29
	v_and_or_b32 v56, v14, 7, v2
; %bb.6375:                             ;   in Loop: Header=BB4_6312 Depth=3
	s_and_not1_saveexec_b32 s13, s13
; %bb.6376:                             ;   in Loop: Header=BB4_6312 Depth=3
	v_mov_b32_e32 v56, v29
; %bb.6377:                             ;   in Loop: Header=BB4_6312 Depth=3
	s_or_b32 exec_lo, exec_lo, s13
.LBB4_6378:                             ;   in Loop: Header=BB4_6312 Depth=3
	s_delay_alu instid0(SALU_CYCLE_1)
	s_or_b32 exec_lo, exec_lo, s75
                                        ; implicit-def: $vgpr29
.LBB4_6379:                             ;   in Loop: Header=BB4_6312 Depth=3
	s_and_not1_saveexec_b32 s13, s74
; %bb.6380:                             ;   in Loop: Header=BB4_6312 Depth=3
	v_or_b32_e32 v56, 0x7e, v29
; %bb.6381:                             ;   in Loop: Header=BB4_6312 Depth=3
	s_or_b32 exec_lo, exec_lo, s13
                                        ; implicit-def: $vgpr14
.LBB4_6382:                             ;   in Loop: Header=BB4_6312 Depth=3
	s_and_not1_saveexec_b32 s13, s45
; %bb.6383:                             ;   in Loop: Header=BB4_6312 Depth=3
	v_lshrrev_b32_e32 v2, 24, v14
	s_delay_alu instid0(VALU_DEP_1)
	v_or_b32_e32 v56, 0x7f, v2
; %bb.6384:                             ;   in Loop: Header=BB4_6312 Depth=3
	s_or_b32 exec_lo, exec_lo, s13
	v_and_b32_e32 v2, 0xff, v28
	v_dual_mov_b32 v16, 0 :: v_dual_mov_b32 v17, 0
	s_mov_b32 s13, exec_lo
	s_delay_alu instid0(VALU_DEP_2)
	v_cmpx_ne_u16_e32 0, v2
	s_cbranch_execz .LBB4_6392
; %bb.6385:                             ;   in Loop: Header=BB4_6312 Depth=3
	v_bfrev_b32_e32 v17, 1
	s_mov_b32 s45, exec_lo
	v_cmpx_ne_u16_e32 0x80, v2
	s_cbranch_execz .LBB4_6391
; %bb.6386:                             ;   in Loop: Header=BB4_6312 Depth=3
	v_and_b32_e32 v14, 0x7f, v28
	v_mov_b32_e32 v17, 0x7f800001
	s_mov_b32 s74, exec_lo
	s_delay_alu instid0(VALU_DEP_2)
	v_cmpx_ne_u32_e32 0x7f, v14
	s_cbranch_execz .LBB4_6390
; %bb.6387:                             ;   in Loop: Header=BB4_6312 Depth=3
	v_and_b32_e32 v2, 7, v2
	v_lshrrev_b32_e32 v17, 3, v14
	v_cmp_gt_u32_e32 vcc_lo, 8, v14
	s_delay_alu instid0(VALU_DEP_3)
	v_mov_b64_e32 v[14:15], v[2:3]
	s_and_saveexec_b32 s75, vcc_lo
; %bb.6388:                             ;   in Loop: Header=BB4_6312 Depth=3
	v_clz_i32_u32_e32 v14, v2
	s_delay_alu instid0(VALU_DEP_1) | instskip(NEXT) | instid1(VALU_DEP_1)
	v_min_u32_e32 v17, 32, v14
	v_subrev_nc_u32_e32 v14, 28, v17
	s_delay_alu instid0(VALU_DEP_1) | instskip(NEXT) | instid1(VALU_DEP_1)
	v_lshlrev_b64_e32 v[14:15], v14, v[2:3]
	v_dual_sub_nc_u32 v17, 29, v17 :: v_dual_bitop2_b32 v14, 7, v14 bitop3:0x40
; %bb.6389:                             ;   in Loop: Header=BB4_6312 Depth=3
	s_or_b32 exec_lo, exec_lo, s75
	s_delay_alu instid0(VALU_DEP_1) | instskip(NEXT) | instid1(VALU_DEP_2)
	v_dual_lshlrev_b32 v2, 24, v28 :: v_dual_lshlrev_b32 v14, 20, v14
	v_lshl_add_u32 v15, v17, 23, 0x3c000000
	s_delay_alu instid0(VALU_DEP_2) | instskip(NEXT) | instid1(VALU_DEP_1)
	v_and_b32_e32 v2, 0x80000000, v2
	v_or3_b32 v17, v14, v2, v15
.LBB4_6390:                             ;   in Loop: Header=BB4_6312 Depth=3
	s_or_b32 exec_lo, exec_lo, s74
.LBB4_6391:                             ;   in Loop: Header=BB4_6312 Depth=3
	s_delay_alu instid0(SALU_CYCLE_1)
	s_or_b32 exec_lo, exec_lo, s45
.LBB4_6392:                             ;   in Loop: Header=BB4_6312 Depth=3
	s_delay_alu instid0(SALU_CYCLE_1) | instskip(SKIP_3) | instid1(VALU_DEP_1)
	s_or_b32 exec_lo, exec_lo, s13
	s_wait_loadcnt_dscnt 0xd0d
	v_and_b32_e32 v2, 0xff, v59
	s_mov_b32 s13, exec_lo
	v_cmpx_ne_u16_e32 0, v2
	s_cbranch_execz .LBB4_6400
; %bb.6393:                             ;   in Loop: Header=BB4_6312 Depth=3
	v_bfrev_b32_e32 v16, 1
	s_mov_b32 s45, exec_lo
	v_cmpx_ne_u16_e32 0x80, v2
	s_cbranch_execz .LBB4_6399
; %bb.6394:                             ;   in Loop: Header=BB4_6312 Depth=3
	v_and_b32_e32 v14, 0x7f, v59
	v_mov_b32_e32 v16, 0x7f800001
	s_mov_b32 s74, exec_lo
	s_delay_alu instid0(VALU_DEP_2)
	v_cmpx_ne_u32_e32 0x7f, v14
	s_cbranch_execz .LBB4_6398
; %bb.6395:                             ;   in Loop: Header=BB4_6312 Depth=3
	v_and_b32_e32 v2, 7, v2
	v_lshrrev_b32_e32 v16, 3, v14
	v_cmp_gt_u32_e32 vcc_lo, 8, v14
	s_delay_alu instid0(VALU_DEP_3)
	v_mov_b64_e32 v[14:15], v[2:3]
	s_and_saveexec_b32 s75, vcc_lo
; %bb.6396:                             ;   in Loop: Header=BB4_6312 Depth=3
	v_clz_i32_u32_e32 v14, v2
	s_delay_alu instid0(VALU_DEP_1) | instskip(NEXT) | instid1(VALU_DEP_1)
	v_min_u32_e32 v16, 32, v14
	v_subrev_nc_u32_e32 v14, 28, v16
	s_delay_alu instid0(VALU_DEP_1) | instskip(NEXT) | instid1(VALU_DEP_1)
	v_lshlrev_b64_e32 v[14:15], v14, v[2:3]
	v_dual_sub_nc_u32 v16, 29, v16 :: v_dual_bitop2_b32 v14, 7, v14 bitop3:0x40
; %bb.6397:                             ;   in Loop: Header=BB4_6312 Depth=3
	s_or_b32 exec_lo, exec_lo, s75
	s_delay_alu instid0(VALU_DEP_1) | instskip(NEXT) | instid1(VALU_DEP_2)
	v_dual_lshlrev_b32 v2, 24, v59 :: v_dual_lshlrev_b32 v14, 20, v14
	v_lshl_add_u32 v15, v16, 23, 0x3c000000
	s_delay_alu instid0(VALU_DEP_2) | instskip(NEXT) | instid1(VALU_DEP_1)
	v_and_b32_e32 v2, 0x80000000, v2
	v_or3_b32 v16, v14, v2, v15
.LBB4_6398:                             ;   in Loop: Header=BB4_6312 Depth=3
	s_or_b32 exec_lo, exec_lo, s74
.LBB4_6399:                             ;   in Loop: Header=BB4_6312 Depth=3
	s_delay_alu instid0(SALU_CYCLE_1)
	s_or_b32 exec_lo, exec_lo, s45
.LBB4_6400:                             ;   in Loop: Header=BB4_6312 Depth=3
	s_delay_alu instid0(SALU_CYCLE_1) | instskip(NEXT) | instid1(VALU_DEP_1)
	s_or_b32 exec_lo, exec_lo, s13
	v_add_f32_e32 v14, v17, v16
                                        ; implicit-def: $vgpr59
	s_mov_b32 s13, exec_lo
	s_delay_alu instid0(VALU_DEP_1) | instskip(NEXT) | instid1(VALU_DEP_1)
	v_and_b32_e32 v2, 0x7f800000, v14
	v_cmpx_ne_u64_e32 0x7f800000, v[2:3]
	s_xor_b32 s45, exec_lo, s13
	s_cbranch_execz .LBB4_6418
; %bb.6401:                             ;   in Loop: Header=BB4_6312 Depth=3
	v_lshrrev_b32_e32 v15, 24, v14
	v_and_b32_e32 v2, 0x7fffffff, v14
                                        ; implicit-def: $vgpr59
	s_mov_b32 s13, exec_lo
	s_delay_alu instid0(VALU_DEP_2) | instskip(NEXT) | instid1(VALU_DEP_2)
	v_and_b32_e32 v28, 0x80, v15
	v_cmpx_gt_u64_e32 0x43e00001, v[2:3]
	s_xor_b32 s74, exec_lo, s13
	s_cbranch_execz .LBB4_6415
; %bb.6402:                             ;   in Loop: Header=BB4_6312 Depth=3
	v_mov_b32_e32 v59, 0
	s_mov_b32 s75, exec_lo
	v_cmpx_ne_u32_e32 0, v14
	s_cbranch_execz .LBB4_6414
; %bb.6403:                             ;   in Loop: Header=BB4_6312 Depth=3
	v_bfe_u32 v24, v14, 23, 8
	s_delay_alu instid0(VALU_DEP_1) | instskip(SKIP_1) | instid1(VALU_DEP_2)
	v_sub_nc_u32_e32 v2, 0x79, v24
	v_cmp_gt_u32_e32 vcc_lo, 0x7a, v24
	v_cndmask_b32_e32 v2, 0, v2, vcc_lo
	v_cmp_eq_u32_e32 vcc_lo, 0, v24
	s_delay_alu instid0(VALU_DEP_2) | instskip(SKIP_1) | instid1(VALU_DEP_2)
	v_cndmask_b32_e64 v25, v2, 0x78, vcc_lo
	v_and_b32_e32 v2, 0x7fffff, v14
	v_add_nc_u32_e32 v14, 20, v25
	s_delay_alu instid0(VALU_DEP_2) | instskip(SKIP_1) | instid1(VALU_DEP_3)
	v_or_b32_e32 v16, 0x800000, v2
	v_add_nc_u32_e32 v17, 19, v25
	v_lshlrev_b64_e64 v[14:15], v14, -1
	s_delay_alu instid0(VALU_DEP_3) | instskip(NEXT) | instid1(VALU_DEP_3)
	v_cndmask_b32_e32 v2, v16, v2, vcc_lo
	v_lshlrev_b64_e64 v[16:17], v17, 1
	s_delay_alu instid0(VALU_DEP_3) | instskip(NEXT) | instid1(VALU_DEP_3)
	v_bfi_b32 v111, v15, 0, 0
	v_bfi_b32 v110, v14, 0, v2
	v_lshrrev_b64 v[14:15], v25, v[2:3]
	s_delay_alu instid0(VALU_DEP_2) | instskip(NEXT) | instid1(VALU_DEP_2)
	v_cmp_eq_u64_e64 s13, v[110:111], v[16:17]
	v_mov_b64_e32 v[16:17], v[14:15]
	s_and_saveexec_b32 s76, s13
; %bb.6404:                             ;   in Loop: Header=BB4_6312 Depth=3
	v_bfe_u32 v2, v14, 20, 1
	s_delay_alu instid0(VALU_DEP_1) | instskip(NEXT) | instid1(VALU_DEP_1)
	v_add_nc_u64_e32 v[16:17], v[14:15], v[2:3]
	v_add_nc_u64_e32 v[16:17], -1, v[16:17]
; %bb.6405:                             ;   in Loop: Header=BB4_6312 Depth=3
	s_or_b32 exec_lo, exec_lo, s76
	v_add_nc_u32_e32 v2, 0xffffff81, v24
	v_lshrrev_b32_e32 v15, 23, v14
	s_mov_b32 s13, exec_lo
	s_delay_alu instid0(VALU_DEP_2) | instskip(NEXT) | instid1(VALU_DEP_1)
	v_cndmask_b32_e64 v2, v2, 0xffffff82, vcc_lo
	v_add3_u32 v17, v25, v2, v15
	v_and_b32_e32 v2, 0xfffff, v16
                                        ; implicit-def: $vgpr16
	s_delay_alu instid0(VALU_DEP_1) | instskip(NEXT) | instid1(VALU_DEP_1)
	v_dual_add_nc_u32 v24, 6, v17 :: v_dual_add_nc_u32 v2, v2, v14
                                        ; implicit-def: $vgpr14_vgpr15
	v_cmpx_ne_u32_e32 0, v24
	s_xor_b32 s13, exec_lo, s13
; %bb.6406:                             ;   in Loop: Header=BB4_6312 Depth=3
	s_delay_alu instid0(VALU_DEP_2) | instskip(SKIP_1) | instid1(VALU_DEP_1)
	v_cmp_lt_u64_e32 vcc_lo, 0xffffff, v[2:3]
	v_add_nc_u32_e32 v14, 7, v17
	v_cndmask_b32_e32 v16, v24, v14, vcc_lo
	v_cndmask_b32_e64 v14, 0, 1, vcc_lo
	s_delay_alu instid0(VALU_DEP_1)
	v_lshrrev_b64 v[14:15], v14, v[2:3]
; %bb.6407:                             ;   in Loop: Header=BB4_6312 Depth=3
	s_and_not1_saveexec_b32 s13, s13
; %bb.6408:                             ;   in Loop: Header=BB4_6312 Depth=3
	v_mov_b64_e32 v[14:15], v[2:3]
	v_bfe_u32 v16, v2, 23, 1
; %bb.6409:                             ;   in Loop: Header=BB4_6312 Depth=3
	s_or_b32 exec_lo, exec_lo, s13
	s_delay_alu instid0(VALU_DEP_2) | instskip(NEXT) | instid1(VALU_DEP_2)
	v_lshrrev_b64 v[14:15], 20, v[14:15]
	v_cmp_gt_i32_e32 vcc_lo, 16, v16
	v_cmp_ne_u32_e64 s13, 0, v16
                                        ; implicit-def: $vgpr59
	s_delay_alu instid0(VALU_DEP_3) | instskip(NEXT) | instid1(VALU_DEP_1)
	v_dual_cndmask_b32 v15, 0, v15 :: v_dual_cndmask_b32 v14, 7, v14
	v_cmp_ne_u64_e32 vcc_lo, 0, v[14:15]
	s_or_b32 s13, s13, vcc_lo
	s_delay_alu instid0(SALU_CYCLE_1) | instskip(NEXT) | instid1(SALU_CYCLE_1)
	s_and_saveexec_b32 s76, s13
	s_xor_b32 s13, exec_lo, s76
; %bb.6410:                             ;   in Loop: Header=BB4_6312 Depth=3
	v_min_i32_e32 v2, 15, v16
	s_delay_alu instid0(VALU_DEP_1) | instskip(NEXT) | instid1(VALU_DEP_1)
	v_lshl_or_b32 v2, v2, 3, v28
                                        ; implicit-def: $vgpr28
	v_and_or_b32 v59, v14, 7, v2
; %bb.6411:                             ;   in Loop: Header=BB4_6312 Depth=3
	s_and_not1_saveexec_b32 s13, s13
; %bb.6412:                             ;   in Loop: Header=BB4_6312 Depth=3
	v_mov_b32_e32 v59, v28
; %bb.6413:                             ;   in Loop: Header=BB4_6312 Depth=3
	s_or_b32 exec_lo, exec_lo, s13
.LBB4_6414:                             ;   in Loop: Header=BB4_6312 Depth=3
	s_delay_alu instid0(SALU_CYCLE_1)
	s_or_b32 exec_lo, exec_lo, s75
                                        ; implicit-def: $vgpr28
.LBB4_6415:                             ;   in Loop: Header=BB4_6312 Depth=3
	s_and_not1_saveexec_b32 s13, s74
; %bb.6416:                             ;   in Loop: Header=BB4_6312 Depth=3
	v_or_b32_e32 v59, 0x7e, v28
; %bb.6417:                             ;   in Loop: Header=BB4_6312 Depth=3
	s_or_b32 exec_lo, exec_lo, s13
                                        ; implicit-def: $vgpr14
.LBB4_6418:                             ;   in Loop: Header=BB4_6312 Depth=3
	s_and_not1_saveexec_b32 s13, s45
; %bb.6419:                             ;   in Loop: Header=BB4_6312 Depth=3
	v_lshrrev_b32_e32 v2, 24, v14
	s_delay_alu instid0(VALU_DEP_1)
	v_or_b32_e32 v59, 0x7f, v2
; %bb.6420:                             ;   in Loop: Header=BB4_6312 Depth=3
	s_or_b32 exec_lo, exec_lo, s13
	v_and_b32_e32 v2, 0xff, v88
	v_dual_mov_b32 v16, 0 :: v_dual_mov_b32 v17, 0
	s_mov_b32 s13, exec_lo
	s_delay_alu instid0(VALU_DEP_2)
	v_cmpx_ne_u16_e32 0, v2
	s_cbranch_execz .LBB4_6428
; %bb.6421:                             ;   in Loop: Header=BB4_6312 Depth=3
	v_bfrev_b32_e32 v17, 1
	s_mov_b32 s45, exec_lo
	v_cmpx_ne_u16_e32 0x80, v2
	s_cbranch_execz .LBB4_6427
; %bb.6422:                             ;   in Loop: Header=BB4_6312 Depth=3
	v_and_b32_e32 v14, 0x7f, v88
	v_mov_b32_e32 v17, 0x7f800001
	s_mov_b32 s74, exec_lo
	s_delay_alu instid0(VALU_DEP_2)
	v_cmpx_ne_u32_e32 0x7f, v14
	s_cbranch_execz .LBB4_6426
; %bb.6423:                             ;   in Loop: Header=BB4_6312 Depth=3
	v_and_b32_e32 v2, 7, v2
	v_lshrrev_b32_e32 v17, 3, v14
	v_cmp_gt_u32_e32 vcc_lo, 8, v14
	s_delay_alu instid0(VALU_DEP_3)
	v_mov_b64_e32 v[14:15], v[2:3]
	s_and_saveexec_b32 s75, vcc_lo
; %bb.6424:                             ;   in Loop: Header=BB4_6312 Depth=3
	v_clz_i32_u32_e32 v14, v2
	s_delay_alu instid0(VALU_DEP_1) | instskip(NEXT) | instid1(VALU_DEP_1)
	v_min_u32_e32 v17, 32, v14
	v_subrev_nc_u32_e32 v14, 28, v17
	s_delay_alu instid0(VALU_DEP_1) | instskip(NEXT) | instid1(VALU_DEP_1)
	v_lshlrev_b64_e32 v[14:15], v14, v[2:3]
	v_dual_sub_nc_u32 v17, 29, v17 :: v_dual_bitop2_b32 v14, 7, v14 bitop3:0x40
; %bb.6425:                             ;   in Loop: Header=BB4_6312 Depth=3
	s_or_b32 exec_lo, exec_lo, s75
	s_delay_alu instid0(VALU_DEP_1) | instskip(NEXT) | instid1(VALU_DEP_2)
	v_dual_lshlrev_b32 v2, 24, v88 :: v_dual_lshlrev_b32 v14, 20, v14
	v_lshl_add_u32 v15, v17, 23, 0x3c000000
	s_delay_alu instid0(VALU_DEP_2) | instskip(NEXT) | instid1(VALU_DEP_1)
	v_and_b32_e32 v2, 0x80000000, v2
	v_or3_b32 v17, v14, v2, v15
.LBB4_6426:                             ;   in Loop: Header=BB4_6312 Depth=3
	s_or_b32 exec_lo, exec_lo, s74
.LBB4_6427:                             ;   in Loop: Header=BB4_6312 Depth=3
	s_delay_alu instid0(SALU_CYCLE_1)
	s_or_b32 exec_lo, exec_lo, s45
.LBB4_6428:                             ;   in Loop: Header=BB4_6312 Depth=3
	s_delay_alu instid0(SALU_CYCLE_1) | instskip(SKIP_3) | instid1(VALU_DEP_1)
	s_or_b32 exec_lo, exec_lo, s13
	s_wait_loadcnt_dscnt 0xc0c
	v_and_b32_e32 v2, 0xff, v62
	s_mov_b32 s13, exec_lo
	v_cmpx_ne_u16_e32 0, v2
	s_cbranch_execz .LBB4_6436
; %bb.6429:                             ;   in Loop: Header=BB4_6312 Depth=3
	v_bfrev_b32_e32 v16, 1
	s_mov_b32 s45, exec_lo
	v_cmpx_ne_u16_e32 0x80, v2
	s_cbranch_execz .LBB4_6435
; %bb.6430:                             ;   in Loop: Header=BB4_6312 Depth=3
	v_and_b32_e32 v14, 0x7f, v62
	v_mov_b32_e32 v16, 0x7f800001
	s_mov_b32 s74, exec_lo
	s_delay_alu instid0(VALU_DEP_2)
	v_cmpx_ne_u32_e32 0x7f, v14
	s_cbranch_execz .LBB4_6434
; %bb.6431:                             ;   in Loop: Header=BB4_6312 Depth=3
	v_and_b32_e32 v2, 7, v2
	v_lshrrev_b32_e32 v16, 3, v14
	v_cmp_gt_u32_e32 vcc_lo, 8, v14
	s_delay_alu instid0(VALU_DEP_3)
	v_mov_b64_e32 v[14:15], v[2:3]
	s_and_saveexec_b32 s75, vcc_lo
; %bb.6432:                             ;   in Loop: Header=BB4_6312 Depth=3
	v_clz_i32_u32_e32 v14, v2
	s_delay_alu instid0(VALU_DEP_1) | instskip(NEXT) | instid1(VALU_DEP_1)
	v_min_u32_e32 v16, 32, v14
	v_subrev_nc_u32_e32 v14, 28, v16
	s_delay_alu instid0(VALU_DEP_1) | instskip(NEXT) | instid1(VALU_DEP_1)
	v_lshlrev_b64_e32 v[14:15], v14, v[2:3]
	v_dual_sub_nc_u32 v16, 29, v16 :: v_dual_bitop2_b32 v14, 7, v14 bitop3:0x40
; %bb.6433:                             ;   in Loop: Header=BB4_6312 Depth=3
	s_or_b32 exec_lo, exec_lo, s75
	v_lshlrev_b32_e32 v2, 24, v62
	s_delay_alu instid0(VALU_DEP_2) | instskip(NEXT) | instid1(VALU_DEP_3)
	v_lshlrev_b32_e32 v14, 20, v14
	v_lshl_add_u32 v15, v16, 23, 0x3c000000
	s_delay_alu instid0(VALU_DEP_3) | instskip(NEXT) | instid1(VALU_DEP_1)
	v_and_b32_e32 v2, 0x80000000, v2
	v_or3_b32 v16, v14, v2, v15
.LBB4_6434:                             ;   in Loop: Header=BB4_6312 Depth=3
	s_or_b32 exec_lo, exec_lo, s74
.LBB4_6435:                             ;   in Loop: Header=BB4_6312 Depth=3
	s_delay_alu instid0(SALU_CYCLE_1)
	s_or_b32 exec_lo, exec_lo, s45
.LBB4_6436:                             ;   in Loop: Header=BB4_6312 Depth=3
	s_delay_alu instid0(SALU_CYCLE_1) | instskip(NEXT) | instid1(VALU_DEP_1)
	s_or_b32 exec_lo, exec_lo, s13
	v_add_f32_e32 v14, v17, v16
                                        ; implicit-def: $vgpr62
	s_mov_b32 s13, exec_lo
	s_delay_alu instid0(VALU_DEP_1) | instskip(NEXT) | instid1(VALU_DEP_1)
	v_and_b32_e32 v2, 0x7f800000, v14
	v_cmpx_ne_u64_e32 0x7f800000, v[2:3]
	s_xor_b32 s45, exec_lo, s13
	s_cbranch_execz .LBB4_6454
; %bb.6437:                             ;   in Loop: Header=BB4_6312 Depth=3
	v_lshrrev_b32_e32 v15, 24, v14
	v_and_b32_e32 v2, 0x7fffffff, v14
                                        ; implicit-def: $vgpr62
	s_mov_b32 s13, exec_lo
	s_delay_alu instid0(VALU_DEP_2) | instskip(NEXT) | instid1(VALU_DEP_2)
	v_and_b32_e32 v28, 0x80, v15
	v_cmpx_gt_u64_e32 0x43e00001, v[2:3]
	s_xor_b32 s74, exec_lo, s13
	s_cbranch_execz .LBB4_6451
; %bb.6438:                             ;   in Loop: Header=BB4_6312 Depth=3
	v_mov_b32_e32 v62, 0
	s_mov_b32 s75, exec_lo
	v_cmpx_ne_u32_e32 0, v14
	s_cbranch_execz .LBB4_6450
; %bb.6439:                             ;   in Loop: Header=BB4_6312 Depth=3
	v_bfe_u32 v24, v14, 23, 8
	s_delay_alu instid0(VALU_DEP_1) | instskip(SKIP_1) | instid1(VALU_DEP_2)
	v_sub_nc_u32_e32 v2, 0x79, v24
	v_cmp_gt_u32_e32 vcc_lo, 0x7a, v24
	v_cndmask_b32_e32 v2, 0, v2, vcc_lo
	v_cmp_eq_u32_e32 vcc_lo, 0, v24
	s_delay_alu instid0(VALU_DEP_2) | instskip(SKIP_1) | instid1(VALU_DEP_2)
	v_cndmask_b32_e64 v25, v2, 0x78, vcc_lo
	v_and_b32_e32 v2, 0x7fffff, v14
	v_add_nc_u32_e32 v14, 20, v25
	s_delay_alu instid0(VALU_DEP_2) | instskip(SKIP_1) | instid1(VALU_DEP_3)
	v_or_b32_e32 v16, 0x800000, v2
	v_add_nc_u32_e32 v17, 19, v25
	v_lshlrev_b64_e64 v[14:15], v14, -1
	s_delay_alu instid0(VALU_DEP_3) | instskip(NEXT) | instid1(VALU_DEP_3)
	v_cndmask_b32_e32 v2, v16, v2, vcc_lo
	v_lshlrev_b64_e64 v[16:17], v17, 1
	s_delay_alu instid0(VALU_DEP_3) | instskip(NEXT) | instid1(VALU_DEP_3)
	v_bfi_b32 v111, v15, 0, 0
	v_bfi_b32 v110, v14, 0, v2
	v_lshrrev_b64 v[14:15], v25, v[2:3]
	s_delay_alu instid0(VALU_DEP_2) | instskip(NEXT) | instid1(VALU_DEP_2)
	v_cmp_eq_u64_e64 s13, v[110:111], v[16:17]
	v_mov_b64_e32 v[16:17], v[14:15]
	s_and_saveexec_b32 s76, s13
; %bb.6440:                             ;   in Loop: Header=BB4_6312 Depth=3
	v_bfe_u32 v2, v14, 20, 1
	s_delay_alu instid0(VALU_DEP_1) | instskip(NEXT) | instid1(VALU_DEP_1)
	v_add_nc_u64_e32 v[16:17], v[14:15], v[2:3]
	v_add_nc_u64_e32 v[16:17], -1, v[16:17]
; %bb.6441:                             ;   in Loop: Header=BB4_6312 Depth=3
	s_or_b32 exec_lo, exec_lo, s76
	v_add_nc_u32_e32 v2, 0xffffff81, v24
	v_lshrrev_b32_e32 v15, 23, v14
	s_mov_b32 s13, exec_lo
	s_delay_alu instid0(VALU_DEP_2) | instskip(NEXT) | instid1(VALU_DEP_1)
	v_cndmask_b32_e64 v2, v2, 0xffffff82, vcc_lo
	v_add3_u32 v17, v25, v2, v15
	v_and_b32_e32 v2, 0xfffff, v16
                                        ; implicit-def: $vgpr16
	s_delay_alu instid0(VALU_DEP_1) | instskip(NEXT) | instid1(VALU_DEP_1)
	v_dual_add_nc_u32 v24, 6, v17 :: v_dual_add_nc_u32 v2, v2, v14
                                        ; implicit-def: $vgpr14_vgpr15
	v_cmpx_ne_u32_e32 0, v24
	s_xor_b32 s13, exec_lo, s13
; %bb.6442:                             ;   in Loop: Header=BB4_6312 Depth=3
	s_delay_alu instid0(VALU_DEP_2) | instskip(SKIP_1) | instid1(VALU_DEP_1)
	v_cmp_lt_u64_e32 vcc_lo, 0xffffff, v[2:3]
	v_add_nc_u32_e32 v14, 7, v17
	v_cndmask_b32_e32 v16, v24, v14, vcc_lo
	v_cndmask_b32_e64 v14, 0, 1, vcc_lo
	s_delay_alu instid0(VALU_DEP_1)
	v_lshrrev_b64 v[14:15], v14, v[2:3]
; %bb.6443:                             ;   in Loop: Header=BB4_6312 Depth=3
	s_and_not1_saveexec_b32 s13, s13
; %bb.6444:                             ;   in Loop: Header=BB4_6312 Depth=3
	v_mov_b64_e32 v[14:15], v[2:3]
	v_bfe_u32 v16, v2, 23, 1
; %bb.6445:                             ;   in Loop: Header=BB4_6312 Depth=3
	s_or_b32 exec_lo, exec_lo, s13
	s_delay_alu instid0(VALU_DEP_2) | instskip(NEXT) | instid1(VALU_DEP_2)
	v_lshrrev_b64 v[14:15], 20, v[14:15]
	v_cmp_gt_i32_e32 vcc_lo, 16, v16
	v_cmp_ne_u32_e64 s13, 0, v16
                                        ; implicit-def: $vgpr62
	s_delay_alu instid0(VALU_DEP_3) | instskip(NEXT) | instid1(VALU_DEP_1)
	v_dual_cndmask_b32 v15, 0, v15 :: v_dual_cndmask_b32 v14, 7, v14
	v_cmp_ne_u64_e32 vcc_lo, 0, v[14:15]
	s_or_b32 s13, s13, vcc_lo
	s_delay_alu instid0(SALU_CYCLE_1) | instskip(NEXT) | instid1(SALU_CYCLE_1)
	s_and_saveexec_b32 s76, s13
	s_xor_b32 s13, exec_lo, s76
; %bb.6446:                             ;   in Loop: Header=BB4_6312 Depth=3
	v_min_i32_e32 v2, 15, v16
	s_delay_alu instid0(VALU_DEP_1) | instskip(NEXT) | instid1(VALU_DEP_1)
	v_lshl_or_b32 v2, v2, 3, v28
                                        ; implicit-def: $vgpr28
	v_and_or_b32 v62, v14, 7, v2
; %bb.6447:                             ;   in Loop: Header=BB4_6312 Depth=3
	s_and_not1_saveexec_b32 s13, s13
; %bb.6448:                             ;   in Loop: Header=BB4_6312 Depth=3
	v_mov_b32_e32 v62, v28
; %bb.6449:                             ;   in Loop: Header=BB4_6312 Depth=3
	s_or_b32 exec_lo, exec_lo, s13
.LBB4_6450:                             ;   in Loop: Header=BB4_6312 Depth=3
	s_delay_alu instid0(SALU_CYCLE_1)
	s_or_b32 exec_lo, exec_lo, s75
                                        ; implicit-def: $vgpr28
.LBB4_6451:                             ;   in Loop: Header=BB4_6312 Depth=3
	s_and_not1_saveexec_b32 s13, s74
; %bb.6452:                             ;   in Loop: Header=BB4_6312 Depth=3
	v_or_b32_e32 v62, 0x7e, v28
; %bb.6453:                             ;   in Loop: Header=BB4_6312 Depth=3
	s_or_b32 exec_lo, exec_lo, s13
                                        ; implicit-def: $vgpr14
.LBB4_6454:                             ;   in Loop: Header=BB4_6312 Depth=3
	s_and_not1_saveexec_b32 s13, s45
; %bb.6455:                             ;   in Loop: Header=BB4_6312 Depth=3
	v_lshrrev_b32_e32 v2, 24, v14
	s_delay_alu instid0(VALU_DEP_1)
	v_or_b32_e32 v62, 0x7f, v2
; %bb.6456:                             ;   in Loop: Header=BB4_6312 Depth=3
	s_or_b32 exec_lo, exec_lo, s13
	v_and_b32_e32 v2, 0xff, v76
	v_dual_mov_b32 v16, 0 :: v_dual_mov_b32 v17, 0
	s_mov_b32 s13, exec_lo
	s_delay_alu instid0(VALU_DEP_2)
	v_cmpx_ne_u16_e32 0, v2
	s_cbranch_execz .LBB4_6464
; %bb.6457:                             ;   in Loop: Header=BB4_6312 Depth=3
	v_bfrev_b32_e32 v17, 1
	s_mov_b32 s45, exec_lo
	v_cmpx_ne_u16_e32 0x80, v2
	s_cbranch_execz .LBB4_6463
; %bb.6458:                             ;   in Loop: Header=BB4_6312 Depth=3
	v_and_b32_e32 v14, 0x7f, v76
	v_mov_b32_e32 v17, 0x7f800001
	s_mov_b32 s74, exec_lo
	s_delay_alu instid0(VALU_DEP_2)
	v_cmpx_ne_u32_e32 0x7f, v14
	s_cbranch_execz .LBB4_6462
; %bb.6459:                             ;   in Loop: Header=BB4_6312 Depth=3
	v_and_b32_e32 v2, 7, v2
	v_lshrrev_b32_e32 v17, 3, v14
	v_cmp_gt_u32_e32 vcc_lo, 8, v14
	s_delay_alu instid0(VALU_DEP_3)
	v_mov_b64_e32 v[14:15], v[2:3]
	s_and_saveexec_b32 s75, vcc_lo
; %bb.6460:                             ;   in Loop: Header=BB4_6312 Depth=3
	v_clz_i32_u32_e32 v14, v2
	s_delay_alu instid0(VALU_DEP_1) | instskip(NEXT) | instid1(VALU_DEP_1)
	v_min_u32_e32 v17, 32, v14
	v_subrev_nc_u32_e32 v14, 28, v17
	s_delay_alu instid0(VALU_DEP_1) | instskip(NEXT) | instid1(VALU_DEP_1)
	v_lshlrev_b64_e32 v[14:15], v14, v[2:3]
	v_dual_sub_nc_u32 v17, 29, v17 :: v_dual_bitop2_b32 v14, 7, v14 bitop3:0x40
; %bb.6461:                             ;   in Loop: Header=BB4_6312 Depth=3
	s_or_b32 exec_lo, exec_lo, s75
	s_delay_alu instid0(VALU_DEP_1) | instskip(NEXT) | instid1(VALU_DEP_2)
	v_dual_lshlrev_b32 v2, 24, v76 :: v_dual_lshlrev_b32 v14, 20, v14
	v_lshl_add_u32 v15, v17, 23, 0x3c000000
	s_delay_alu instid0(VALU_DEP_2) | instskip(NEXT) | instid1(VALU_DEP_1)
	v_and_b32_e32 v2, 0x80000000, v2
	v_or3_b32 v17, v14, v2, v15
.LBB4_6462:                             ;   in Loop: Header=BB4_6312 Depth=3
	s_or_b32 exec_lo, exec_lo, s74
.LBB4_6463:                             ;   in Loop: Header=BB4_6312 Depth=3
	s_delay_alu instid0(SALU_CYCLE_1)
	s_or_b32 exec_lo, exec_lo, s45
.LBB4_6464:                             ;   in Loop: Header=BB4_6312 Depth=3
	s_delay_alu instid0(SALU_CYCLE_1) | instskip(SKIP_3) | instid1(VALU_DEP_1)
	s_or_b32 exec_lo, exec_lo, s13
	s_wait_loadcnt_dscnt 0xb0b
	v_and_b32_e32 v2, 0xff, v73
	s_mov_b32 s13, exec_lo
	v_cmpx_ne_u16_e32 0, v2
	s_cbranch_execz .LBB4_6472
; %bb.6465:                             ;   in Loop: Header=BB4_6312 Depth=3
	v_bfrev_b32_e32 v16, 1
	s_mov_b32 s45, exec_lo
	v_cmpx_ne_u16_e32 0x80, v2
	s_cbranch_execz .LBB4_6471
; %bb.6466:                             ;   in Loop: Header=BB4_6312 Depth=3
	v_and_b32_e32 v14, 0x7f, v73
	v_mov_b32_e32 v16, 0x7f800001
	s_mov_b32 s74, exec_lo
	s_delay_alu instid0(VALU_DEP_2)
	v_cmpx_ne_u32_e32 0x7f, v14
	s_cbranch_execz .LBB4_6470
; %bb.6467:                             ;   in Loop: Header=BB4_6312 Depth=3
	v_and_b32_e32 v2, 7, v2
	v_lshrrev_b32_e32 v16, 3, v14
	v_cmp_gt_u32_e32 vcc_lo, 8, v14
	s_delay_alu instid0(VALU_DEP_3)
	v_mov_b64_e32 v[14:15], v[2:3]
	s_and_saveexec_b32 s75, vcc_lo
; %bb.6468:                             ;   in Loop: Header=BB4_6312 Depth=3
	v_clz_i32_u32_e32 v14, v2
	s_delay_alu instid0(VALU_DEP_1) | instskip(NEXT) | instid1(VALU_DEP_1)
	v_min_u32_e32 v16, 32, v14
	v_subrev_nc_u32_e32 v14, 28, v16
	s_delay_alu instid0(VALU_DEP_1) | instskip(NEXT) | instid1(VALU_DEP_1)
	v_lshlrev_b64_e32 v[14:15], v14, v[2:3]
	v_dual_sub_nc_u32 v16, 29, v16 :: v_dual_bitop2_b32 v14, 7, v14 bitop3:0x40
; %bb.6469:                             ;   in Loop: Header=BB4_6312 Depth=3
	s_or_b32 exec_lo, exec_lo, s75
	s_delay_alu instid0(VALU_DEP_1) | instskip(NEXT) | instid1(VALU_DEP_2)
	v_dual_lshlrev_b32 v2, 24, v73 :: v_dual_lshlrev_b32 v14, 20, v14
	v_lshl_add_u32 v15, v16, 23, 0x3c000000
	s_delay_alu instid0(VALU_DEP_2) | instskip(NEXT) | instid1(VALU_DEP_1)
	v_and_b32_e32 v2, 0x80000000, v2
	v_or3_b32 v16, v14, v2, v15
.LBB4_6470:                             ;   in Loop: Header=BB4_6312 Depth=3
	s_or_b32 exec_lo, exec_lo, s74
.LBB4_6471:                             ;   in Loop: Header=BB4_6312 Depth=3
	s_delay_alu instid0(SALU_CYCLE_1)
	s_or_b32 exec_lo, exec_lo, s45
.LBB4_6472:                             ;   in Loop: Header=BB4_6312 Depth=3
	s_delay_alu instid0(SALU_CYCLE_1) | instskip(NEXT) | instid1(VALU_DEP_1)
	s_or_b32 exec_lo, exec_lo, s13
	v_add_f32_e32 v14, v17, v16
                                        ; implicit-def: $vgpr73
	s_mov_b32 s13, exec_lo
	s_delay_alu instid0(VALU_DEP_1) | instskip(NEXT) | instid1(VALU_DEP_1)
	v_and_b32_e32 v2, 0x7f800000, v14
	v_cmpx_ne_u64_e32 0x7f800000, v[2:3]
	s_xor_b32 s45, exec_lo, s13
	s_cbranch_execz .LBB4_6490
; %bb.6473:                             ;   in Loop: Header=BB4_6312 Depth=3
	v_lshrrev_b32_e32 v15, 24, v14
	v_and_b32_e32 v2, 0x7fffffff, v14
                                        ; implicit-def: $vgpr73
	s_mov_b32 s13, exec_lo
	s_delay_alu instid0(VALU_DEP_2) | instskip(NEXT) | instid1(VALU_DEP_2)
	v_and_b32_e32 v28, 0x80, v15
	v_cmpx_gt_u64_e32 0x43e00001, v[2:3]
	s_xor_b32 s74, exec_lo, s13
	s_cbranch_execz .LBB4_6487
; %bb.6474:                             ;   in Loop: Header=BB4_6312 Depth=3
	v_mov_b32_e32 v73, 0
	s_mov_b32 s75, exec_lo
	v_cmpx_ne_u32_e32 0, v14
	s_cbranch_execz .LBB4_6486
; %bb.6475:                             ;   in Loop: Header=BB4_6312 Depth=3
	v_bfe_u32 v24, v14, 23, 8
	s_delay_alu instid0(VALU_DEP_1) | instskip(SKIP_1) | instid1(VALU_DEP_2)
	v_sub_nc_u32_e32 v2, 0x79, v24
	v_cmp_gt_u32_e32 vcc_lo, 0x7a, v24
	v_cndmask_b32_e32 v2, 0, v2, vcc_lo
	v_cmp_eq_u32_e32 vcc_lo, 0, v24
	s_delay_alu instid0(VALU_DEP_2) | instskip(SKIP_1) | instid1(VALU_DEP_2)
	v_cndmask_b32_e64 v25, v2, 0x78, vcc_lo
	v_and_b32_e32 v2, 0x7fffff, v14
	v_add_nc_u32_e32 v14, 20, v25
	s_delay_alu instid0(VALU_DEP_2) | instskip(SKIP_1) | instid1(VALU_DEP_3)
	v_or_b32_e32 v16, 0x800000, v2
	v_add_nc_u32_e32 v17, 19, v25
	v_lshlrev_b64_e64 v[14:15], v14, -1
	s_delay_alu instid0(VALU_DEP_3) | instskip(NEXT) | instid1(VALU_DEP_3)
	v_cndmask_b32_e32 v2, v16, v2, vcc_lo
	v_lshlrev_b64_e64 v[16:17], v17, 1
	s_delay_alu instid0(VALU_DEP_3) | instskip(NEXT) | instid1(VALU_DEP_3)
	v_bfi_b32 v111, v15, 0, 0
	v_bfi_b32 v110, v14, 0, v2
	v_lshrrev_b64 v[14:15], v25, v[2:3]
	s_delay_alu instid0(VALU_DEP_2) | instskip(NEXT) | instid1(VALU_DEP_2)
	v_cmp_eq_u64_e64 s13, v[110:111], v[16:17]
	v_mov_b64_e32 v[16:17], v[14:15]
	s_and_saveexec_b32 s76, s13
; %bb.6476:                             ;   in Loop: Header=BB4_6312 Depth=3
	v_bfe_u32 v2, v14, 20, 1
	s_delay_alu instid0(VALU_DEP_1) | instskip(NEXT) | instid1(VALU_DEP_1)
	v_add_nc_u64_e32 v[16:17], v[14:15], v[2:3]
	v_add_nc_u64_e32 v[16:17], -1, v[16:17]
; %bb.6477:                             ;   in Loop: Header=BB4_6312 Depth=3
	s_or_b32 exec_lo, exec_lo, s76
	v_add_nc_u32_e32 v2, 0xffffff81, v24
	v_lshrrev_b32_e32 v15, 23, v14
	s_mov_b32 s13, exec_lo
	s_delay_alu instid0(VALU_DEP_2) | instskip(NEXT) | instid1(VALU_DEP_1)
	v_cndmask_b32_e64 v2, v2, 0xffffff82, vcc_lo
	v_add3_u32 v17, v25, v2, v15
	v_and_b32_e32 v2, 0xfffff, v16
                                        ; implicit-def: $vgpr16
	s_delay_alu instid0(VALU_DEP_1) | instskip(NEXT) | instid1(VALU_DEP_1)
	v_dual_add_nc_u32 v24, 6, v17 :: v_dual_add_nc_u32 v2, v2, v14
                                        ; implicit-def: $vgpr14_vgpr15
	v_cmpx_ne_u32_e32 0, v24
	s_xor_b32 s13, exec_lo, s13
; %bb.6478:                             ;   in Loop: Header=BB4_6312 Depth=3
	s_delay_alu instid0(VALU_DEP_2) | instskip(SKIP_1) | instid1(VALU_DEP_1)
	v_cmp_lt_u64_e32 vcc_lo, 0xffffff, v[2:3]
	v_add_nc_u32_e32 v14, 7, v17
	v_cndmask_b32_e32 v16, v24, v14, vcc_lo
	v_cndmask_b32_e64 v14, 0, 1, vcc_lo
	s_delay_alu instid0(VALU_DEP_1)
	v_lshrrev_b64 v[14:15], v14, v[2:3]
; %bb.6479:                             ;   in Loop: Header=BB4_6312 Depth=3
	s_and_not1_saveexec_b32 s13, s13
; %bb.6480:                             ;   in Loop: Header=BB4_6312 Depth=3
	v_mov_b64_e32 v[14:15], v[2:3]
	v_bfe_u32 v16, v2, 23, 1
; %bb.6481:                             ;   in Loop: Header=BB4_6312 Depth=3
	s_or_b32 exec_lo, exec_lo, s13
	s_delay_alu instid0(VALU_DEP_2) | instskip(NEXT) | instid1(VALU_DEP_2)
	v_lshrrev_b64 v[14:15], 20, v[14:15]
	v_cmp_gt_i32_e32 vcc_lo, 16, v16
	v_cmp_ne_u32_e64 s13, 0, v16
                                        ; implicit-def: $vgpr73
	s_delay_alu instid0(VALU_DEP_3) | instskip(NEXT) | instid1(VALU_DEP_1)
	v_dual_cndmask_b32 v15, 0, v15 :: v_dual_cndmask_b32 v14, 7, v14
	v_cmp_ne_u64_e32 vcc_lo, 0, v[14:15]
	s_or_b32 s13, s13, vcc_lo
	s_delay_alu instid0(SALU_CYCLE_1) | instskip(NEXT) | instid1(SALU_CYCLE_1)
	s_and_saveexec_b32 s76, s13
	s_xor_b32 s13, exec_lo, s76
; %bb.6482:                             ;   in Loop: Header=BB4_6312 Depth=3
	v_min_i32_e32 v2, 15, v16
	s_delay_alu instid0(VALU_DEP_1) | instskip(NEXT) | instid1(VALU_DEP_1)
	v_lshl_or_b32 v2, v2, 3, v28
                                        ; implicit-def: $vgpr28
	v_and_or_b32 v73, v14, 7, v2
; %bb.6483:                             ;   in Loop: Header=BB4_6312 Depth=3
	s_and_not1_saveexec_b32 s13, s13
; %bb.6484:                             ;   in Loop: Header=BB4_6312 Depth=3
	v_mov_b32_e32 v73, v28
; %bb.6485:                             ;   in Loop: Header=BB4_6312 Depth=3
	s_or_b32 exec_lo, exec_lo, s13
.LBB4_6486:                             ;   in Loop: Header=BB4_6312 Depth=3
	s_delay_alu instid0(SALU_CYCLE_1)
	s_or_b32 exec_lo, exec_lo, s75
                                        ; implicit-def: $vgpr28
.LBB4_6487:                             ;   in Loop: Header=BB4_6312 Depth=3
	s_and_not1_saveexec_b32 s13, s74
; %bb.6488:                             ;   in Loop: Header=BB4_6312 Depth=3
	v_or_b32_e32 v73, 0x7e, v28
; %bb.6489:                             ;   in Loop: Header=BB4_6312 Depth=3
	s_or_b32 exec_lo, exec_lo, s13
                                        ; implicit-def: $vgpr14
.LBB4_6490:                             ;   in Loop: Header=BB4_6312 Depth=3
	s_and_not1_saveexec_b32 s13, s45
; %bb.6491:                             ;   in Loop: Header=BB4_6312 Depth=3
	v_lshrrev_b32_e32 v2, 24, v14
	s_delay_alu instid0(VALU_DEP_1)
	v_or_b32_e32 v73, 0x7f, v2
; %bb.6492:                             ;   in Loop: Header=BB4_6312 Depth=3
	s_or_b32 exec_lo, exec_lo, s13
	v_and_b32_e32 v2, 0xff, v27
	v_dual_mov_b32 v16, 0 :: v_dual_mov_b32 v17, 0
	s_mov_b32 s13, exec_lo
	s_delay_alu instid0(VALU_DEP_2)
	v_cmpx_ne_u16_e32 0, v2
	s_cbranch_execz .LBB4_6500
; %bb.6493:                             ;   in Loop: Header=BB4_6312 Depth=3
	v_bfrev_b32_e32 v17, 1
	s_mov_b32 s45, exec_lo
	v_cmpx_ne_u16_e32 0x80, v2
	s_cbranch_execz .LBB4_6499
; %bb.6494:                             ;   in Loop: Header=BB4_6312 Depth=3
	v_and_b32_e32 v14, 0x7f, v27
	v_mov_b32_e32 v17, 0x7f800001
	s_mov_b32 s74, exec_lo
	s_delay_alu instid0(VALU_DEP_2)
	v_cmpx_ne_u32_e32 0x7f, v14
	s_cbranch_execz .LBB4_6498
; %bb.6495:                             ;   in Loop: Header=BB4_6312 Depth=3
	v_and_b32_e32 v2, 7, v2
	v_lshrrev_b32_e32 v17, 3, v14
	v_cmp_gt_u32_e32 vcc_lo, 8, v14
	s_delay_alu instid0(VALU_DEP_3)
	v_mov_b64_e32 v[14:15], v[2:3]
	s_and_saveexec_b32 s75, vcc_lo
; %bb.6496:                             ;   in Loop: Header=BB4_6312 Depth=3
	v_clz_i32_u32_e32 v14, v2
	s_delay_alu instid0(VALU_DEP_1) | instskip(NEXT) | instid1(VALU_DEP_1)
	v_min_u32_e32 v17, 32, v14
	v_subrev_nc_u32_e32 v14, 28, v17
	s_delay_alu instid0(VALU_DEP_1) | instskip(NEXT) | instid1(VALU_DEP_1)
	v_lshlrev_b64_e32 v[14:15], v14, v[2:3]
	v_dual_sub_nc_u32 v17, 29, v17 :: v_dual_bitop2_b32 v14, 7, v14 bitop3:0x40
; %bb.6497:                             ;   in Loop: Header=BB4_6312 Depth=3
	s_or_b32 exec_lo, exec_lo, s75
	s_delay_alu instid0(VALU_DEP_1) | instskip(NEXT) | instid1(VALU_DEP_2)
	v_dual_lshlrev_b32 v2, 24, v27 :: v_dual_lshlrev_b32 v14, 20, v14
	v_lshl_add_u32 v15, v17, 23, 0x3c000000
	s_delay_alu instid0(VALU_DEP_2) | instskip(NEXT) | instid1(VALU_DEP_1)
	v_and_b32_e32 v2, 0x80000000, v2
	v_or3_b32 v17, v14, v2, v15
.LBB4_6498:                             ;   in Loop: Header=BB4_6312 Depth=3
	s_or_b32 exec_lo, exec_lo, s74
.LBB4_6499:                             ;   in Loop: Header=BB4_6312 Depth=3
	s_delay_alu instid0(SALU_CYCLE_1)
	s_or_b32 exec_lo, exec_lo, s45
.LBB4_6500:                             ;   in Loop: Header=BB4_6312 Depth=3
	s_delay_alu instid0(SALU_CYCLE_1) | instskip(SKIP_3) | instid1(VALU_DEP_1)
	s_or_b32 exec_lo, exec_lo, s13
	s_wait_loadcnt_dscnt 0xa0a
	v_and_b32_e32 v2, 0xff, v26
	s_mov_b32 s13, exec_lo
	v_cmpx_ne_u16_e32 0, v2
	s_cbranch_execz .LBB4_6508
; %bb.6501:                             ;   in Loop: Header=BB4_6312 Depth=3
	v_bfrev_b32_e32 v16, 1
	s_mov_b32 s45, exec_lo
	v_cmpx_ne_u16_e32 0x80, v2
	s_cbranch_execz .LBB4_6507
; %bb.6502:                             ;   in Loop: Header=BB4_6312 Depth=3
	v_and_b32_e32 v14, 0x7f, v26
	v_mov_b32_e32 v16, 0x7f800001
	s_mov_b32 s74, exec_lo
	s_delay_alu instid0(VALU_DEP_2)
	v_cmpx_ne_u32_e32 0x7f, v14
	s_cbranch_execz .LBB4_6506
; %bb.6503:                             ;   in Loop: Header=BB4_6312 Depth=3
	v_and_b32_e32 v2, 7, v2
	v_lshrrev_b32_e32 v16, 3, v14
	v_cmp_gt_u32_e32 vcc_lo, 8, v14
	s_delay_alu instid0(VALU_DEP_3)
	v_mov_b64_e32 v[14:15], v[2:3]
	s_and_saveexec_b32 s75, vcc_lo
; %bb.6504:                             ;   in Loop: Header=BB4_6312 Depth=3
	v_clz_i32_u32_e32 v14, v2
	s_delay_alu instid0(VALU_DEP_1) | instskip(NEXT) | instid1(VALU_DEP_1)
	v_min_u32_e32 v16, 32, v14
	v_subrev_nc_u32_e32 v14, 28, v16
	s_delay_alu instid0(VALU_DEP_1) | instskip(NEXT) | instid1(VALU_DEP_1)
	v_lshlrev_b64_e32 v[14:15], v14, v[2:3]
	v_dual_sub_nc_u32 v16, 29, v16 :: v_dual_bitop2_b32 v14, 7, v14 bitop3:0x40
; %bb.6505:                             ;   in Loop: Header=BB4_6312 Depth=3
	s_or_b32 exec_lo, exec_lo, s75
	v_lshlrev_b32_e32 v2, 24, v26
	s_delay_alu instid0(VALU_DEP_2) | instskip(NEXT) | instid1(VALU_DEP_3)
	v_lshlrev_b32_e32 v14, 20, v14
	v_lshl_add_u32 v15, v16, 23, 0x3c000000
	s_delay_alu instid0(VALU_DEP_3) | instskip(NEXT) | instid1(VALU_DEP_1)
	v_and_b32_e32 v2, 0x80000000, v2
	v_or3_b32 v16, v14, v2, v15
.LBB4_6506:                             ;   in Loop: Header=BB4_6312 Depth=3
	s_or_b32 exec_lo, exec_lo, s74
.LBB4_6507:                             ;   in Loop: Header=BB4_6312 Depth=3
	s_delay_alu instid0(SALU_CYCLE_1)
	s_or_b32 exec_lo, exec_lo, s45
.LBB4_6508:                             ;   in Loop: Header=BB4_6312 Depth=3
	s_delay_alu instid0(SALU_CYCLE_1) | instskip(NEXT) | instid1(VALU_DEP_1)
	s_or_b32 exec_lo, exec_lo, s13
	v_add_f32_e32 v14, v17, v16
                                        ; implicit-def: $vgpr76
	s_mov_b32 s13, exec_lo
	s_delay_alu instid0(VALU_DEP_1) | instskip(NEXT) | instid1(VALU_DEP_1)
	v_and_b32_e32 v2, 0x7f800000, v14
	v_cmpx_ne_u64_e32 0x7f800000, v[2:3]
	s_xor_b32 s45, exec_lo, s13
	s_cbranch_execz .LBB4_6526
; %bb.6509:                             ;   in Loop: Header=BB4_6312 Depth=3
	v_lshrrev_b32_e32 v15, 24, v14
	v_and_b32_e32 v2, 0x7fffffff, v14
                                        ; implicit-def: $vgpr76
	s_mov_b32 s13, exec_lo
	s_delay_alu instid0(VALU_DEP_2) | instskip(NEXT) | instid1(VALU_DEP_2)
	v_and_b32_e32 v26, 0x80, v15
	v_cmpx_gt_u64_e32 0x43e00001, v[2:3]
	s_xor_b32 s74, exec_lo, s13
	s_cbranch_execz .LBB4_6523
; %bb.6510:                             ;   in Loop: Header=BB4_6312 Depth=3
	v_mov_b32_e32 v76, 0
	s_mov_b32 s75, exec_lo
	v_cmpx_ne_u32_e32 0, v14
	s_cbranch_execz .LBB4_6522
; %bb.6511:                             ;   in Loop: Header=BB4_6312 Depth=3
	v_bfe_u32 v24, v14, 23, 8
	s_delay_alu instid0(VALU_DEP_1) | instskip(SKIP_1) | instid1(VALU_DEP_2)
	v_sub_nc_u32_e32 v2, 0x79, v24
	v_cmp_gt_u32_e32 vcc_lo, 0x7a, v24
	v_cndmask_b32_e32 v2, 0, v2, vcc_lo
	v_cmp_eq_u32_e32 vcc_lo, 0, v24
	s_delay_alu instid0(VALU_DEP_2) | instskip(SKIP_1) | instid1(VALU_DEP_2)
	v_cndmask_b32_e64 v25, v2, 0x78, vcc_lo
	v_and_b32_e32 v2, 0x7fffff, v14
	v_add_nc_u32_e32 v14, 20, v25
	s_delay_alu instid0(VALU_DEP_2) | instskip(SKIP_1) | instid1(VALU_DEP_3)
	v_or_b32_e32 v16, 0x800000, v2
	v_add_nc_u32_e32 v17, 19, v25
	v_lshlrev_b64_e64 v[14:15], v14, -1
	s_delay_alu instid0(VALU_DEP_3) | instskip(NEXT) | instid1(VALU_DEP_3)
	v_cndmask_b32_e32 v2, v16, v2, vcc_lo
	v_lshlrev_b64_e64 v[16:17], v17, 1
	s_delay_alu instid0(VALU_DEP_3) | instskip(NEXT) | instid1(VALU_DEP_3)
	v_bfi_b32 v29, v15, 0, 0
	v_bfi_b32 v28, v14, 0, v2
	v_lshrrev_b64 v[14:15], v25, v[2:3]
	s_delay_alu instid0(VALU_DEP_2) | instskip(NEXT) | instid1(VALU_DEP_2)
	v_cmp_eq_u64_e64 s13, v[28:29], v[16:17]
	v_mov_b64_e32 v[16:17], v[14:15]
	s_and_saveexec_b32 s76, s13
; %bb.6512:                             ;   in Loop: Header=BB4_6312 Depth=3
	v_bfe_u32 v2, v14, 20, 1
	s_delay_alu instid0(VALU_DEP_1) | instskip(NEXT) | instid1(VALU_DEP_1)
	v_add_nc_u64_e32 v[16:17], v[14:15], v[2:3]
	v_add_nc_u64_e32 v[16:17], -1, v[16:17]
; %bb.6513:                             ;   in Loop: Header=BB4_6312 Depth=3
	s_or_b32 exec_lo, exec_lo, s76
	v_add_nc_u32_e32 v2, 0xffffff81, v24
	v_lshrrev_b32_e32 v15, 23, v14
	s_mov_b32 s13, exec_lo
	s_delay_alu instid0(VALU_DEP_2) | instskip(NEXT) | instid1(VALU_DEP_1)
	v_cndmask_b32_e64 v2, v2, 0xffffff82, vcc_lo
	v_add3_u32 v17, v25, v2, v15
	v_and_b32_e32 v2, 0xfffff, v16
                                        ; implicit-def: $vgpr16
	s_delay_alu instid0(VALU_DEP_1) | instskip(NEXT) | instid1(VALU_DEP_1)
	v_dual_add_nc_u32 v24, 6, v17 :: v_dual_add_nc_u32 v2, v2, v14
                                        ; implicit-def: $vgpr14_vgpr15
	v_cmpx_ne_u32_e32 0, v24
	s_xor_b32 s13, exec_lo, s13
; %bb.6514:                             ;   in Loop: Header=BB4_6312 Depth=3
	s_delay_alu instid0(VALU_DEP_2) | instskip(SKIP_1) | instid1(VALU_DEP_1)
	v_cmp_lt_u64_e32 vcc_lo, 0xffffff, v[2:3]
	v_add_nc_u32_e32 v14, 7, v17
	v_cndmask_b32_e32 v16, v24, v14, vcc_lo
	v_cndmask_b32_e64 v14, 0, 1, vcc_lo
	s_delay_alu instid0(VALU_DEP_1)
	v_lshrrev_b64 v[14:15], v14, v[2:3]
; %bb.6515:                             ;   in Loop: Header=BB4_6312 Depth=3
	s_and_not1_saveexec_b32 s13, s13
; %bb.6516:                             ;   in Loop: Header=BB4_6312 Depth=3
	v_mov_b64_e32 v[14:15], v[2:3]
	v_bfe_u32 v16, v2, 23, 1
; %bb.6517:                             ;   in Loop: Header=BB4_6312 Depth=3
	s_or_b32 exec_lo, exec_lo, s13
	s_delay_alu instid0(VALU_DEP_2) | instskip(NEXT) | instid1(VALU_DEP_2)
	v_lshrrev_b64 v[14:15], 20, v[14:15]
	v_cmp_gt_i32_e32 vcc_lo, 16, v16
	v_cmp_ne_u32_e64 s13, 0, v16
                                        ; implicit-def: $vgpr76
	s_delay_alu instid0(VALU_DEP_3) | instskip(NEXT) | instid1(VALU_DEP_1)
	v_dual_cndmask_b32 v15, 0, v15 :: v_dual_cndmask_b32 v14, 7, v14
	v_cmp_ne_u64_e32 vcc_lo, 0, v[14:15]
	s_or_b32 s13, s13, vcc_lo
	s_delay_alu instid0(SALU_CYCLE_1) | instskip(NEXT) | instid1(SALU_CYCLE_1)
	s_and_saveexec_b32 s76, s13
	s_xor_b32 s13, exec_lo, s76
; %bb.6518:                             ;   in Loop: Header=BB4_6312 Depth=3
	v_min_i32_e32 v2, 15, v16
	s_delay_alu instid0(VALU_DEP_1) | instskip(NEXT) | instid1(VALU_DEP_1)
	v_lshl_or_b32 v2, v2, 3, v26
                                        ; implicit-def: $vgpr26
	v_and_or_b32 v76, v14, 7, v2
; %bb.6519:                             ;   in Loop: Header=BB4_6312 Depth=3
	s_and_not1_saveexec_b32 s13, s13
; %bb.6520:                             ;   in Loop: Header=BB4_6312 Depth=3
	v_mov_b32_e32 v76, v26
; %bb.6521:                             ;   in Loop: Header=BB4_6312 Depth=3
	s_or_b32 exec_lo, exec_lo, s13
.LBB4_6522:                             ;   in Loop: Header=BB4_6312 Depth=3
	s_delay_alu instid0(SALU_CYCLE_1)
	s_or_b32 exec_lo, exec_lo, s75
                                        ; implicit-def: $vgpr26
.LBB4_6523:                             ;   in Loop: Header=BB4_6312 Depth=3
	s_and_not1_saveexec_b32 s13, s74
; %bb.6524:                             ;   in Loop: Header=BB4_6312 Depth=3
	v_or_b32_e32 v76, 0x7e, v26
; %bb.6525:                             ;   in Loop: Header=BB4_6312 Depth=3
	s_or_b32 exec_lo, exec_lo, s13
                                        ; implicit-def: $vgpr14
.LBB4_6526:                             ;   in Loop: Header=BB4_6312 Depth=3
	s_and_not1_saveexec_b32 s13, s45
; %bb.6527:                             ;   in Loop: Header=BB4_6312 Depth=3
	v_lshrrev_b32_e32 v2, 24, v14
	s_delay_alu instid0(VALU_DEP_1)
	v_or_b32_e32 v76, 0x7f, v2
; %bb.6528:                             ;   in Loop: Header=BB4_6312 Depth=3
	s_or_b32 exec_lo, exec_lo, s13
	v_and_b32_e32 v2, 0xff, v109
	v_dual_mov_b32 v16, 0 :: v_dual_mov_b32 v17, 0
	s_mov_b32 s13, exec_lo
	s_delay_alu instid0(VALU_DEP_2)
	v_cmpx_ne_u16_e32 0, v2
	s_cbranch_execz .LBB4_6536
; %bb.6529:                             ;   in Loop: Header=BB4_6312 Depth=3
	v_bfrev_b32_e32 v17, 1
	s_mov_b32 s45, exec_lo
	v_cmpx_ne_u16_e32 0x80, v2
	s_cbranch_execz .LBB4_6535
; %bb.6530:                             ;   in Loop: Header=BB4_6312 Depth=3
	v_and_b32_e32 v14, 0x7f, v109
	v_mov_b32_e32 v17, 0x7f800001
	s_mov_b32 s74, exec_lo
	s_delay_alu instid0(VALU_DEP_2)
	v_cmpx_ne_u32_e32 0x7f, v14
	s_cbranch_execz .LBB4_6534
; %bb.6531:                             ;   in Loop: Header=BB4_6312 Depth=3
	v_and_b32_e32 v2, 7, v2
	v_lshrrev_b32_e32 v17, 3, v14
	v_cmp_gt_u32_e32 vcc_lo, 8, v14
	s_delay_alu instid0(VALU_DEP_3)
	v_mov_b64_e32 v[14:15], v[2:3]
	s_and_saveexec_b32 s75, vcc_lo
; %bb.6532:                             ;   in Loop: Header=BB4_6312 Depth=3
	v_clz_i32_u32_e32 v14, v2
	s_delay_alu instid0(VALU_DEP_1) | instskip(NEXT) | instid1(VALU_DEP_1)
	v_min_u32_e32 v17, 32, v14
	v_subrev_nc_u32_e32 v14, 28, v17
	s_delay_alu instid0(VALU_DEP_1) | instskip(NEXT) | instid1(VALU_DEP_1)
	v_lshlrev_b64_e32 v[14:15], v14, v[2:3]
	v_dual_sub_nc_u32 v17, 29, v17 :: v_dual_bitop2_b32 v14, 7, v14 bitop3:0x40
; %bb.6533:                             ;   in Loop: Header=BB4_6312 Depth=3
	s_or_b32 exec_lo, exec_lo, s75
	s_delay_alu instid0(VALU_DEP_1) | instskip(NEXT) | instid1(VALU_DEP_2)
	v_dual_lshlrev_b32 v2, 24, v109 :: v_dual_lshlrev_b32 v14, 20, v14
	v_lshl_add_u32 v15, v17, 23, 0x3c000000
	s_delay_alu instid0(VALU_DEP_2) | instskip(NEXT) | instid1(VALU_DEP_1)
	v_and_b32_e32 v2, 0x80000000, v2
	v_or3_b32 v17, v14, v2, v15
.LBB4_6534:                             ;   in Loop: Header=BB4_6312 Depth=3
	s_or_b32 exec_lo, exec_lo, s74
.LBB4_6535:                             ;   in Loop: Header=BB4_6312 Depth=3
	s_delay_alu instid0(SALU_CYCLE_1)
	s_or_b32 exec_lo, exec_lo, s45
.LBB4_6536:                             ;   in Loop: Header=BB4_6312 Depth=3
	s_delay_alu instid0(SALU_CYCLE_1) | instskip(SKIP_3) | instid1(VALU_DEP_1)
	s_or_b32 exec_lo, exec_lo, s13
	s_wait_loadcnt_dscnt 0x909
	v_and_b32_e32 v2, 0xff, v79
	s_mov_b32 s13, exec_lo
	v_cmpx_ne_u16_e32 0, v2
	s_cbranch_execz .LBB4_6544
; %bb.6537:                             ;   in Loop: Header=BB4_6312 Depth=3
	v_bfrev_b32_e32 v16, 1
	s_mov_b32 s45, exec_lo
	v_cmpx_ne_u16_e32 0x80, v2
	s_cbranch_execz .LBB4_6543
; %bb.6538:                             ;   in Loop: Header=BB4_6312 Depth=3
	v_and_b32_e32 v14, 0x7f, v79
	v_mov_b32_e32 v16, 0x7f800001
	s_mov_b32 s74, exec_lo
	s_delay_alu instid0(VALU_DEP_2)
	v_cmpx_ne_u32_e32 0x7f, v14
	s_cbranch_execz .LBB4_6542
; %bb.6539:                             ;   in Loop: Header=BB4_6312 Depth=3
	v_and_b32_e32 v2, 7, v2
	v_lshrrev_b32_e32 v16, 3, v14
	v_cmp_gt_u32_e32 vcc_lo, 8, v14
	s_delay_alu instid0(VALU_DEP_3)
	v_mov_b64_e32 v[14:15], v[2:3]
	s_and_saveexec_b32 s75, vcc_lo
; %bb.6540:                             ;   in Loop: Header=BB4_6312 Depth=3
	v_clz_i32_u32_e32 v14, v2
	s_delay_alu instid0(VALU_DEP_1) | instskip(NEXT) | instid1(VALU_DEP_1)
	v_min_u32_e32 v16, 32, v14
	v_subrev_nc_u32_e32 v14, 28, v16
	s_delay_alu instid0(VALU_DEP_1) | instskip(NEXT) | instid1(VALU_DEP_1)
	v_lshlrev_b64_e32 v[14:15], v14, v[2:3]
	v_dual_sub_nc_u32 v16, 29, v16 :: v_dual_bitop2_b32 v14, 7, v14 bitop3:0x40
; %bb.6541:                             ;   in Loop: Header=BB4_6312 Depth=3
	s_or_b32 exec_lo, exec_lo, s75
	s_delay_alu instid0(VALU_DEP_1) | instskip(NEXT) | instid1(VALU_DEP_2)
	v_dual_lshlrev_b32 v2, 24, v79 :: v_dual_lshlrev_b32 v14, 20, v14
	v_lshl_add_u32 v15, v16, 23, 0x3c000000
	s_delay_alu instid0(VALU_DEP_2) | instskip(NEXT) | instid1(VALU_DEP_1)
	v_and_b32_e32 v2, 0x80000000, v2
	v_or3_b32 v16, v14, v2, v15
.LBB4_6542:                             ;   in Loop: Header=BB4_6312 Depth=3
	s_or_b32 exec_lo, exec_lo, s74
.LBB4_6543:                             ;   in Loop: Header=BB4_6312 Depth=3
	s_delay_alu instid0(SALU_CYCLE_1)
	s_or_b32 exec_lo, exec_lo, s45
.LBB4_6544:                             ;   in Loop: Header=BB4_6312 Depth=3
	s_delay_alu instid0(SALU_CYCLE_1) | instskip(NEXT) | instid1(VALU_DEP_1)
	s_or_b32 exec_lo, exec_lo, s13
	v_add_f32_e32 v14, v17, v16
                                        ; implicit-def: $vgpr79
	s_mov_b32 s13, exec_lo
	s_delay_alu instid0(VALU_DEP_1) | instskip(NEXT) | instid1(VALU_DEP_1)
	v_and_b32_e32 v2, 0x7f800000, v14
	v_cmpx_ne_u64_e32 0x7f800000, v[2:3]
	s_xor_b32 s45, exec_lo, s13
	s_cbranch_execz .LBB4_6562
; %bb.6545:                             ;   in Loop: Header=BB4_6312 Depth=3
	v_lshrrev_b32_e32 v15, 24, v14
	v_and_b32_e32 v2, 0x7fffffff, v14
                                        ; implicit-def: $vgpr79
	s_mov_b32 s13, exec_lo
	s_delay_alu instid0(VALU_DEP_2) | instskip(NEXT) | instid1(VALU_DEP_2)
	v_and_b32_e32 v26, 0x80, v15
	v_cmpx_gt_u64_e32 0x43e00001, v[2:3]
	s_xor_b32 s74, exec_lo, s13
	s_cbranch_execz .LBB4_6559
; %bb.6546:                             ;   in Loop: Header=BB4_6312 Depth=3
	v_mov_b32_e32 v79, 0
	s_mov_b32 s75, exec_lo
	v_cmpx_ne_u32_e32 0, v14
	s_cbranch_execz .LBB4_6558
; %bb.6547:                             ;   in Loop: Header=BB4_6312 Depth=3
	v_bfe_u32 v24, v14, 23, 8
	s_delay_alu instid0(VALU_DEP_1) | instskip(SKIP_1) | instid1(VALU_DEP_2)
	v_sub_nc_u32_e32 v2, 0x79, v24
	v_cmp_gt_u32_e32 vcc_lo, 0x7a, v24
	v_cndmask_b32_e32 v2, 0, v2, vcc_lo
	v_cmp_eq_u32_e32 vcc_lo, 0, v24
	s_delay_alu instid0(VALU_DEP_2) | instskip(SKIP_1) | instid1(VALU_DEP_2)
	v_cndmask_b32_e64 v25, v2, 0x78, vcc_lo
	v_and_b32_e32 v2, 0x7fffff, v14
	v_add_nc_u32_e32 v14, 20, v25
	s_delay_alu instid0(VALU_DEP_2) | instskip(SKIP_1) | instid1(VALU_DEP_3)
	v_or_b32_e32 v16, 0x800000, v2
	v_add_nc_u32_e32 v17, 19, v25
	v_lshlrev_b64_e64 v[14:15], v14, -1
	s_delay_alu instid0(VALU_DEP_3) | instskip(NEXT) | instid1(VALU_DEP_3)
	v_cndmask_b32_e32 v2, v16, v2, vcc_lo
	v_lshlrev_b64_e64 v[16:17], v17, 1
	s_delay_alu instid0(VALU_DEP_3) | instskip(NEXT) | instid1(VALU_DEP_3)
	v_bfi_b32 v29, v15, 0, 0
	v_bfi_b32 v28, v14, 0, v2
	v_lshrrev_b64 v[14:15], v25, v[2:3]
	s_delay_alu instid0(VALU_DEP_2) | instskip(NEXT) | instid1(VALU_DEP_2)
	v_cmp_eq_u64_e64 s13, v[28:29], v[16:17]
	v_mov_b64_e32 v[16:17], v[14:15]
	s_and_saveexec_b32 s76, s13
; %bb.6548:                             ;   in Loop: Header=BB4_6312 Depth=3
	v_bfe_u32 v2, v14, 20, 1
	s_delay_alu instid0(VALU_DEP_1) | instskip(NEXT) | instid1(VALU_DEP_1)
	v_add_nc_u64_e32 v[16:17], v[14:15], v[2:3]
	v_add_nc_u64_e32 v[16:17], -1, v[16:17]
; %bb.6549:                             ;   in Loop: Header=BB4_6312 Depth=3
	s_or_b32 exec_lo, exec_lo, s76
	v_add_nc_u32_e32 v2, 0xffffff81, v24
	v_lshrrev_b32_e32 v15, 23, v14
	s_mov_b32 s13, exec_lo
	s_delay_alu instid0(VALU_DEP_2) | instskip(NEXT) | instid1(VALU_DEP_1)
	v_cndmask_b32_e64 v2, v2, 0xffffff82, vcc_lo
	v_add3_u32 v17, v25, v2, v15
	v_and_b32_e32 v2, 0xfffff, v16
                                        ; implicit-def: $vgpr16
	s_delay_alu instid0(VALU_DEP_1) | instskip(NEXT) | instid1(VALU_DEP_1)
	v_dual_add_nc_u32 v24, 6, v17 :: v_dual_add_nc_u32 v2, v2, v14
                                        ; implicit-def: $vgpr14_vgpr15
	v_cmpx_ne_u32_e32 0, v24
	s_xor_b32 s13, exec_lo, s13
; %bb.6550:                             ;   in Loop: Header=BB4_6312 Depth=3
	s_delay_alu instid0(VALU_DEP_2) | instskip(SKIP_1) | instid1(VALU_DEP_1)
	v_cmp_lt_u64_e32 vcc_lo, 0xffffff, v[2:3]
	v_add_nc_u32_e32 v14, 7, v17
	v_cndmask_b32_e32 v16, v24, v14, vcc_lo
	v_cndmask_b32_e64 v14, 0, 1, vcc_lo
	s_delay_alu instid0(VALU_DEP_1)
	v_lshrrev_b64 v[14:15], v14, v[2:3]
; %bb.6551:                             ;   in Loop: Header=BB4_6312 Depth=3
	s_and_not1_saveexec_b32 s13, s13
; %bb.6552:                             ;   in Loop: Header=BB4_6312 Depth=3
	v_mov_b64_e32 v[14:15], v[2:3]
	v_bfe_u32 v16, v2, 23, 1
; %bb.6553:                             ;   in Loop: Header=BB4_6312 Depth=3
	s_or_b32 exec_lo, exec_lo, s13
	s_delay_alu instid0(VALU_DEP_2) | instskip(NEXT) | instid1(VALU_DEP_2)
	v_lshrrev_b64 v[14:15], 20, v[14:15]
	v_cmp_gt_i32_e32 vcc_lo, 16, v16
	v_cmp_ne_u32_e64 s13, 0, v16
                                        ; implicit-def: $vgpr79
	s_delay_alu instid0(VALU_DEP_3) | instskip(NEXT) | instid1(VALU_DEP_1)
	v_dual_cndmask_b32 v15, 0, v15 :: v_dual_cndmask_b32 v14, 7, v14
	v_cmp_ne_u64_e32 vcc_lo, 0, v[14:15]
	s_or_b32 s13, s13, vcc_lo
	s_delay_alu instid0(SALU_CYCLE_1) | instskip(NEXT) | instid1(SALU_CYCLE_1)
	s_and_saveexec_b32 s76, s13
	s_xor_b32 s13, exec_lo, s76
; %bb.6554:                             ;   in Loop: Header=BB4_6312 Depth=3
	v_min_i32_e32 v2, 15, v16
	s_delay_alu instid0(VALU_DEP_1) | instskip(NEXT) | instid1(VALU_DEP_1)
	v_lshl_or_b32 v2, v2, 3, v26
                                        ; implicit-def: $vgpr26
	v_and_or_b32 v79, v14, 7, v2
; %bb.6555:                             ;   in Loop: Header=BB4_6312 Depth=3
	s_and_not1_saveexec_b32 s13, s13
; %bb.6556:                             ;   in Loop: Header=BB4_6312 Depth=3
	v_mov_b32_e32 v79, v26
; %bb.6557:                             ;   in Loop: Header=BB4_6312 Depth=3
	s_or_b32 exec_lo, exec_lo, s13
.LBB4_6558:                             ;   in Loop: Header=BB4_6312 Depth=3
	s_delay_alu instid0(SALU_CYCLE_1)
	s_or_b32 exec_lo, exec_lo, s75
                                        ; implicit-def: $vgpr26
.LBB4_6559:                             ;   in Loop: Header=BB4_6312 Depth=3
	s_and_not1_saveexec_b32 s13, s74
; %bb.6560:                             ;   in Loop: Header=BB4_6312 Depth=3
	v_or_b32_e32 v79, 0x7e, v26
; %bb.6561:                             ;   in Loop: Header=BB4_6312 Depth=3
	s_or_b32 exec_lo, exec_lo, s13
                                        ; implicit-def: $vgpr14
.LBB4_6562:                             ;   in Loop: Header=BB4_6312 Depth=3
	s_and_not1_saveexec_b32 s13, s45
; %bb.6563:                             ;   in Loop: Header=BB4_6312 Depth=3
	v_lshrrev_b32_e32 v2, 24, v14
	s_delay_alu instid0(VALU_DEP_1)
	v_or_b32_e32 v79, 0x7f, v2
; %bb.6564:                             ;   in Loop: Header=BB4_6312 Depth=3
	s_or_b32 exec_lo, exec_lo, s13
	v_and_b32_e32 v2, 0xff, v108
	v_dual_mov_b32 v16, 0 :: v_dual_mov_b32 v17, 0
	s_mov_b32 s13, exec_lo
	s_delay_alu instid0(VALU_DEP_2)
	v_cmpx_ne_u16_e32 0, v2
	s_cbranch_execz .LBB4_6572
; %bb.6565:                             ;   in Loop: Header=BB4_6312 Depth=3
	v_bfrev_b32_e32 v17, 1
	s_mov_b32 s45, exec_lo
	v_cmpx_ne_u16_e32 0x80, v2
	s_cbranch_execz .LBB4_6571
; %bb.6566:                             ;   in Loop: Header=BB4_6312 Depth=3
	v_and_b32_e32 v14, 0x7f, v108
	v_mov_b32_e32 v17, 0x7f800001
	s_mov_b32 s74, exec_lo
	s_delay_alu instid0(VALU_DEP_2)
	v_cmpx_ne_u32_e32 0x7f, v14
	s_cbranch_execz .LBB4_6570
; %bb.6567:                             ;   in Loop: Header=BB4_6312 Depth=3
	v_and_b32_e32 v2, 7, v2
	v_lshrrev_b32_e32 v17, 3, v14
	v_cmp_gt_u32_e32 vcc_lo, 8, v14
	s_delay_alu instid0(VALU_DEP_3)
	v_mov_b64_e32 v[14:15], v[2:3]
	s_and_saveexec_b32 s75, vcc_lo
; %bb.6568:                             ;   in Loop: Header=BB4_6312 Depth=3
	v_clz_i32_u32_e32 v14, v2
	s_delay_alu instid0(VALU_DEP_1) | instskip(NEXT) | instid1(VALU_DEP_1)
	v_min_u32_e32 v17, 32, v14
	v_subrev_nc_u32_e32 v14, 28, v17
	s_delay_alu instid0(VALU_DEP_1) | instskip(NEXT) | instid1(VALU_DEP_1)
	v_lshlrev_b64_e32 v[14:15], v14, v[2:3]
	v_dual_sub_nc_u32 v17, 29, v17 :: v_dual_bitop2_b32 v14, 7, v14 bitop3:0x40
; %bb.6569:                             ;   in Loop: Header=BB4_6312 Depth=3
	s_or_b32 exec_lo, exec_lo, s75
	s_delay_alu instid0(VALU_DEP_1) | instskip(NEXT) | instid1(VALU_DEP_2)
	v_dual_lshlrev_b32 v2, 24, v108 :: v_dual_lshlrev_b32 v14, 20, v14
	v_lshl_add_u32 v15, v17, 23, 0x3c000000
	s_delay_alu instid0(VALU_DEP_2) | instskip(NEXT) | instid1(VALU_DEP_1)
	v_and_b32_e32 v2, 0x80000000, v2
	v_or3_b32 v17, v14, v2, v15
.LBB4_6570:                             ;   in Loop: Header=BB4_6312 Depth=3
	s_or_b32 exec_lo, exec_lo, s74
.LBB4_6571:                             ;   in Loop: Header=BB4_6312 Depth=3
	s_delay_alu instid0(SALU_CYCLE_1)
	s_or_b32 exec_lo, exec_lo, s45
.LBB4_6572:                             ;   in Loop: Header=BB4_6312 Depth=3
	s_delay_alu instid0(SALU_CYCLE_1) | instskip(SKIP_3) | instid1(VALU_DEP_1)
	s_or_b32 exec_lo, exec_lo, s13
	s_wait_loadcnt_dscnt 0x808
	v_and_b32_e32 v2, 0xff, v106
	s_mov_b32 s13, exec_lo
	v_cmpx_ne_u16_e32 0, v2
	s_cbranch_execz .LBB4_6580
; %bb.6573:                             ;   in Loop: Header=BB4_6312 Depth=3
	v_bfrev_b32_e32 v16, 1
	s_mov_b32 s45, exec_lo
	v_cmpx_ne_u16_e32 0x80, v2
	s_cbranch_execz .LBB4_6579
; %bb.6574:                             ;   in Loop: Header=BB4_6312 Depth=3
	v_and_b32_e32 v14, 0x7f, v106
	v_mov_b32_e32 v16, 0x7f800001
	s_mov_b32 s74, exec_lo
	s_delay_alu instid0(VALU_DEP_2)
	v_cmpx_ne_u32_e32 0x7f, v14
	s_cbranch_execz .LBB4_6578
; %bb.6575:                             ;   in Loop: Header=BB4_6312 Depth=3
	v_and_b32_e32 v2, 7, v2
	v_lshrrev_b32_e32 v16, 3, v14
	v_cmp_gt_u32_e32 vcc_lo, 8, v14
	s_delay_alu instid0(VALU_DEP_3)
	v_mov_b64_e32 v[14:15], v[2:3]
	s_and_saveexec_b32 s75, vcc_lo
; %bb.6576:                             ;   in Loop: Header=BB4_6312 Depth=3
	v_clz_i32_u32_e32 v14, v2
	s_delay_alu instid0(VALU_DEP_1) | instskip(NEXT) | instid1(VALU_DEP_1)
	v_min_u32_e32 v16, 32, v14
	v_subrev_nc_u32_e32 v14, 28, v16
	s_delay_alu instid0(VALU_DEP_1) | instskip(NEXT) | instid1(VALU_DEP_1)
	v_lshlrev_b64_e32 v[14:15], v14, v[2:3]
	v_dual_sub_nc_u32 v16, 29, v16 :: v_dual_bitop2_b32 v14, 7, v14 bitop3:0x40
; %bb.6577:                             ;   in Loop: Header=BB4_6312 Depth=3
	s_or_b32 exec_lo, exec_lo, s75
	v_lshlrev_b32_e32 v2, 24, v106
	s_delay_alu instid0(VALU_DEP_2) | instskip(NEXT) | instid1(VALU_DEP_3)
	v_lshlrev_b32_e32 v14, 20, v14
	v_lshl_add_u32 v15, v16, 23, 0x3c000000
	s_delay_alu instid0(VALU_DEP_3) | instskip(NEXT) | instid1(VALU_DEP_1)
	v_and_b32_e32 v2, 0x80000000, v2
	v_or3_b32 v16, v14, v2, v15
.LBB4_6578:                             ;   in Loop: Header=BB4_6312 Depth=3
	s_or_b32 exec_lo, exec_lo, s74
.LBB4_6579:                             ;   in Loop: Header=BB4_6312 Depth=3
	s_delay_alu instid0(SALU_CYCLE_1)
	s_or_b32 exec_lo, exec_lo, s45
.LBB4_6580:                             ;   in Loop: Header=BB4_6312 Depth=3
	s_delay_alu instid0(SALU_CYCLE_1) | instskip(NEXT) | instid1(VALU_DEP_1)
	s_or_b32 exec_lo, exec_lo, s13
	v_add_f32_e32 v14, v17, v16
                                        ; implicit-def: $vgpr106
	s_mov_b32 s13, exec_lo
	s_delay_alu instid0(VALU_DEP_1) | instskip(NEXT) | instid1(VALU_DEP_1)
	v_and_b32_e32 v2, 0x7f800000, v14
	v_cmpx_ne_u64_e32 0x7f800000, v[2:3]
	s_xor_b32 s45, exec_lo, s13
	s_cbranch_execz .LBB4_6598
; %bb.6581:                             ;   in Loop: Header=BB4_6312 Depth=3
	v_lshrrev_b32_e32 v15, 24, v14
	v_and_b32_e32 v2, 0x7fffffff, v14
                                        ; implicit-def: $vgpr106
	s_mov_b32 s13, exec_lo
	s_delay_alu instid0(VALU_DEP_2) | instskip(NEXT) | instid1(VALU_DEP_2)
	v_and_b32_e32 v26, 0x80, v15
	v_cmpx_gt_u64_e32 0x43e00001, v[2:3]
	s_xor_b32 s74, exec_lo, s13
	s_cbranch_execz .LBB4_6595
; %bb.6582:                             ;   in Loop: Header=BB4_6312 Depth=3
	v_mov_b32_e32 v106, 0
	s_mov_b32 s75, exec_lo
	v_cmpx_ne_u32_e32 0, v14
	s_cbranch_execz .LBB4_6594
; %bb.6583:                             ;   in Loop: Header=BB4_6312 Depth=3
	v_bfe_u32 v24, v14, 23, 8
	s_delay_alu instid0(VALU_DEP_1) | instskip(SKIP_1) | instid1(VALU_DEP_2)
	v_sub_nc_u32_e32 v2, 0x79, v24
	v_cmp_gt_u32_e32 vcc_lo, 0x7a, v24
	v_cndmask_b32_e32 v2, 0, v2, vcc_lo
	v_cmp_eq_u32_e32 vcc_lo, 0, v24
	s_delay_alu instid0(VALU_DEP_2) | instskip(SKIP_1) | instid1(VALU_DEP_2)
	v_cndmask_b32_e64 v25, v2, 0x78, vcc_lo
	v_and_b32_e32 v2, 0x7fffff, v14
	v_add_nc_u32_e32 v14, 20, v25
	s_delay_alu instid0(VALU_DEP_2) | instskip(SKIP_1) | instid1(VALU_DEP_3)
	v_or_b32_e32 v16, 0x800000, v2
	v_add_nc_u32_e32 v17, 19, v25
	v_lshlrev_b64_e64 v[14:15], v14, -1
	s_delay_alu instid0(VALU_DEP_3) | instskip(NEXT) | instid1(VALU_DEP_3)
	v_cndmask_b32_e32 v2, v16, v2, vcc_lo
	v_lshlrev_b64_e64 v[16:17], v17, 1
	s_delay_alu instid0(VALU_DEP_3) | instskip(NEXT) | instid1(VALU_DEP_3)
	v_bfi_b32 v29, v15, 0, 0
	v_bfi_b32 v28, v14, 0, v2
	v_lshrrev_b64 v[14:15], v25, v[2:3]
	s_delay_alu instid0(VALU_DEP_2) | instskip(NEXT) | instid1(VALU_DEP_2)
	v_cmp_eq_u64_e64 s13, v[28:29], v[16:17]
	v_mov_b64_e32 v[16:17], v[14:15]
	s_and_saveexec_b32 s76, s13
; %bb.6584:                             ;   in Loop: Header=BB4_6312 Depth=3
	v_bfe_u32 v2, v14, 20, 1
	s_delay_alu instid0(VALU_DEP_1) | instskip(NEXT) | instid1(VALU_DEP_1)
	v_add_nc_u64_e32 v[16:17], v[14:15], v[2:3]
	v_add_nc_u64_e32 v[16:17], -1, v[16:17]
; %bb.6585:                             ;   in Loop: Header=BB4_6312 Depth=3
	s_or_b32 exec_lo, exec_lo, s76
	v_add_nc_u32_e32 v2, 0xffffff81, v24
	v_lshrrev_b32_e32 v15, 23, v14
	s_mov_b32 s13, exec_lo
	s_delay_alu instid0(VALU_DEP_2) | instskip(NEXT) | instid1(VALU_DEP_1)
	v_cndmask_b32_e64 v2, v2, 0xffffff82, vcc_lo
	v_add3_u32 v17, v25, v2, v15
	v_and_b32_e32 v2, 0xfffff, v16
                                        ; implicit-def: $vgpr16
	s_delay_alu instid0(VALU_DEP_1) | instskip(NEXT) | instid1(VALU_DEP_1)
	v_dual_add_nc_u32 v24, 6, v17 :: v_dual_add_nc_u32 v2, v2, v14
                                        ; implicit-def: $vgpr14_vgpr15
	v_cmpx_ne_u32_e32 0, v24
	s_xor_b32 s13, exec_lo, s13
; %bb.6586:                             ;   in Loop: Header=BB4_6312 Depth=3
	s_delay_alu instid0(VALU_DEP_2) | instskip(SKIP_1) | instid1(VALU_DEP_1)
	v_cmp_lt_u64_e32 vcc_lo, 0xffffff, v[2:3]
	v_add_nc_u32_e32 v14, 7, v17
	v_cndmask_b32_e32 v16, v24, v14, vcc_lo
	v_cndmask_b32_e64 v14, 0, 1, vcc_lo
	s_delay_alu instid0(VALU_DEP_1)
	v_lshrrev_b64 v[14:15], v14, v[2:3]
; %bb.6587:                             ;   in Loop: Header=BB4_6312 Depth=3
	s_and_not1_saveexec_b32 s13, s13
; %bb.6588:                             ;   in Loop: Header=BB4_6312 Depth=3
	v_mov_b64_e32 v[14:15], v[2:3]
	v_bfe_u32 v16, v2, 23, 1
; %bb.6589:                             ;   in Loop: Header=BB4_6312 Depth=3
	s_or_b32 exec_lo, exec_lo, s13
	s_delay_alu instid0(VALU_DEP_2) | instskip(NEXT) | instid1(VALU_DEP_2)
	v_lshrrev_b64 v[14:15], 20, v[14:15]
	v_cmp_gt_i32_e32 vcc_lo, 16, v16
	v_cmp_ne_u32_e64 s13, 0, v16
                                        ; implicit-def: $vgpr106
	s_delay_alu instid0(VALU_DEP_3) | instskip(NEXT) | instid1(VALU_DEP_1)
	v_dual_cndmask_b32 v15, 0, v15 :: v_dual_cndmask_b32 v14, 7, v14
	v_cmp_ne_u64_e32 vcc_lo, 0, v[14:15]
	s_or_b32 s13, s13, vcc_lo
	s_delay_alu instid0(SALU_CYCLE_1) | instskip(NEXT) | instid1(SALU_CYCLE_1)
	s_and_saveexec_b32 s76, s13
	s_xor_b32 s13, exec_lo, s76
; %bb.6590:                             ;   in Loop: Header=BB4_6312 Depth=3
	v_min_i32_e32 v2, 15, v16
	s_delay_alu instid0(VALU_DEP_1) | instskip(NEXT) | instid1(VALU_DEP_1)
	v_lshl_or_b32 v2, v2, 3, v26
                                        ; implicit-def: $vgpr26
	v_and_or_b32 v106, v14, 7, v2
; %bb.6591:                             ;   in Loop: Header=BB4_6312 Depth=3
	s_and_not1_saveexec_b32 s13, s13
; %bb.6592:                             ;   in Loop: Header=BB4_6312 Depth=3
	v_mov_b32_e32 v106, v26
; %bb.6593:                             ;   in Loop: Header=BB4_6312 Depth=3
	s_or_b32 exec_lo, exec_lo, s13
.LBB4_6594:                             ;   in Loop: Header=BB4_6312 Depth=3
	s_delay_alu instid0(SALU_CYCLE_1)
	s_or_b32 exec_lo, exec_lo, s75
                                        ; implicit-def: $vgpr26
.LBB4_6595:                             ;   in Loop: Header=BB4_6312 Depth=3
	s_and_not1_saveexec_b32 s13, s74
; %bb.6596:                             ;   in Loop: Header=BB4_6312 Depth=3
	v_or_b32_e32 v106, 0x7e, v26
; %bb.6597:                             ;   in Loop: Header=BB4_6312 Depth=3
	s_or_b32 exec_lo, exec_lo, s13
                                        ; implicit-def: $vgpr14
.LBB4_6598:                             ;   in Loop: Header=BB4_6312 Depth=3
	s_and_not1_saveexec_b32 s13, s45
; %bb.6599:                             ;   in Loop: Header=BB4_6312 Depth=3
	v_lshrrev_b32_e32 v2, 24, v14
	s_delay_alu instid0(VALU_DEP_1)
	v_or_b32_e32 v106, 0x7f, v2
; %bb.6600:                             ;   in Loop: Header=BB4_6312 Depth=3
	s_or_b32 exec_lo, exec_lo, s13
	v_and_b32_e32 v2, 0xff, v107
	v_dual_mov_b32 v16, 0 :: v_dual_mov_b32 v17, 0
	s_mov_b32 s13, exec_lo
	s_delay_alu instid0(VALU_DEP_2)
	v_cmpx_ne_u16_e32 0, v2
	s_cbranch_execz .LBB4_6608
; %bb.6601:                             ;   in Loop: Header=BB4_6312 Depth=3
	v_bfrev_b32_e32 v17, 1
	s_mov_b32 s45, exec_lo
	v_cmpx_ne_u16_e32 0x80, v2
	s_cbranch_execz .LBB4_6607
; %bb.6602:                             ;   in Loop: Header=BB4_6312 Depth=3
	v_and_b32_e32 v14, 0x7f, v107
	v_mov_b32_e32 v17, 0x7f800001
	s_mov_b32 s74, exec_lo
	s_delay_alu instid0(VALU_DEP_2)
	v_cmpx_ne_u32_e32 0x7f, v14
	s_cbranch_execz .LBB4_6606
; %bb.6603:                             ;   in Loop: Header=BB4_6312 Depth=3
	v_and_b32_e32 v2, 7, v2
	v_lshrrev_b32_e32 v17, 3, v14
	v_cmp_gt_u32_e32 vcc_lo, 8, v14
	s_delay_alu instid0(VALU_DEP_3)
	v_mov_b64_e32 v[14:15], v[2:3]
	s_and_saveexec_b32 s75, vcc_lo
; %bb.6604:                             ;   in Loop: Header=BB4_6312 Depth=3
	v_clz_i32_u32_e32 v14, v2
	s_delay_alu instid0(VALU_DEP_1) | instskip(NEXT) | instid1(VALU_DEP_1)
	v_min_u32_e32 v17, 32, v14
	v_subrev_nc_u32_e32 v14, 28, v17
	s_delay_alu instid0(VALU_DEP_1) | instskip(NEXT) | instid1(VALU_DEP_1)
	v_lshlrev_b64_e32 v[14:15], v14, v[2:3]
	v_dual_sub_nc_u32 v17, 29, v17 :: v_dual_bitop2_b32 v14, 7, v14 bitop3:0x40
; %bb.6605:                             ;   in Loop: Header=BB4_6312 Depth=3
	s_or_b32 exec_lo, exec_lo, s75
	s_delay_alu instid0(VALU_DEP_1) | instskip(NEXT) | instid1(VALU_DEP_2)
	v_dual_lshlrev_b32 v2, 24, v107 :: v_dual_lshlrev_b32 v14, 20, v14
	v_lshl_add_u32 v15, v17, 23, 0x3c000000
	s_delay_alu instid0(VALU_DEP_2) | instskip(NEXT) | instid1(VALU_DEP_1)
	v_and_b32_e32 v2, 0x80000000, v2
	v_or3_b32 v17, v14, v2, v15
.LBB4_6606:                             ;   in Loop: Header=BB4_6312 Depth=3
	s_or_b32 exec_lo, exec_lo, s74
.LBB4_6607:                             ;   in Loop: Header=BB4_6312 Depth=3
	s_delay_alu instid0(SALU_CYCLE_1)
	s_or_b32 exec_lo, exec_lo, s45
.LBB4_6608:                             ;   in Loop: Header=BB4_6312 Depth=3
	s_delay_alu instid0(SALU_CYCLE_1) | instskip(SKIP_3) | instid1(VALU_DEP_1)
	s_or_b32 exec_lo, exec_lo, s13
	s_wait_loadcnt_dscnt 0x707
	v_and_b32_e32 v2, 0xff, v105
	s_mov_b32 s13, exec_lo
	v_cmpx_ne_u16_e32 0, v2
	s_cbranch_execz .LBB4_6616
; %bb.6609:                             ;   in Loop: Header=BB4_6312 Depth=3
	v_bfrev_b32_e32 v16, 1
	s_mov_b32 s45, exec_lo
	v_cmpx_ne_u16_e32 0x80, v2
	s_cbranch_execz .LBB4_6615
; %bb.6610:                             ;   in Loop: Header=BB4_6312 Depth=3
	v_and_b32_e32 v14, 0x7f, v105
	v_mov_b32_e32 v16, 0x7f800001
	s_mov_b32 s74, exec_lo
	s_delay_alu instid0(VALU_DEP_2)
	v_cmpx_ne_u32_e32 0x7f, v14
	s_cbranch_execz .LBB4_6614
; %bb.6611:                             ;   in Loop: Header=BB4_6312 Depth=3
	v_and_b32_e32 v2, 7, v2
	v_lshrrev_b32_e32 v16, 3, v14
	v_cmp_gt_u32_e32 vcc_lo, 8, v14
	s_delay_alu instid0(VALU_DEP_3)
	v_mov_b64_e32 v[14:15], v[2:3]
	s_and_saveexec_b32 s75, vcc_lo
; %bb.6612:                             ;   in Loop: Header=BB4_6312 Depth=3
	v_clz_i32_u32_e32 v14, v2
	s_delay_alu instid0(VALU_DEP_1) | instskip(NEXT) | instid1(VALU_DEP_1)
	v_min_u32_e32 v16, 32, v14
	v_subrev_nc_u32_e32 v14, 28, v16
	s_delay_alu instid0(VALU_DEP_1) | instskip(NEXT) | instid1(VALU_DEP_1)
	v_lshlrev_b64_e32 v[14:15], v14, v[2:3]
	v_dual_sub_nc_u32 v16, 29, v16 :: v_dual_bitop2_b32 v14, 7, v14 bitop3:0x40
; %bb.6613:                             ;   in Loop: Header=BB4_6312 Depth=3
	s_or_b32 exec_lo, exec_lo, s75
	s_delay_alu instid0(VALU_DEP_1) | instskip(NEXT) | instid1(VALU_DEP_2)
	v_dual_lshlrev_b32 v2, 24, v105 :: v_dual_lshlrev_b32 v14, 20, v14
	v_lshl_add_u32 v15, v16, 23, 0x3c000000
	s_delay_alu instid0(VALU_DEP_2) | instskip(NEXT) | instid1(VALU_DEP_1)
	v_and_b32_e32 v2, 0x80000000, v2
	v_or3_b32 v16, v14, v2, v15
.LBB4_6614:                             ;   in Loop: Header=BB4_6312 Depth=3
	s_or_b32 exec_lo, exec_lo, s74
.LBB4_6615:                             ;   in Loop: Header=BB4_6312 Depth=3
	s_delay_alu instid0(SALU_CYCLE_1)
	s_or_b32 exec_lo, exec_lo, s45
.LBB4_6616:                             ;   in Loop: Header=BB4_6312 Depth=3
	s_delay_alu instid0(SALU_CYCLE_1) | instskip(NEXT) | instid1(VALU_DEP_1)
	s_or_b32 exec_lo, exec_lo, s13
	v_add_f32_e32 v14, v17, v16
                                        ; implicit-def: $vgpr105
	s_mov_b32 s13, exec_lo
	s_delay_alu instid0(VALU_DEP_1) | instskip(NEXT) | instid1(VALU_DEP_1)
	v_and_b32_e32 v2, 0x7f800000, v14
	v_cmpx_ne_u64_e32 0x7f800000, v[2:3]
	s_xor_b32 s45, exec_lo, s13
	s_cbranch_execz .LBB4_6634
; %bb.6617:                             ;   in Loop: Header=BB4_6312 Depth=3
	v_lshrrev_b32_e32 v15, 24, v14
	v_and_b32_e32 v2, 0x7fffffff, v14
                                        ; implicit-def: $vgpr105
	s_mov_b32 s13, exec_lo
	s_delay_alu instid0(VALU_DEP_2) | instskip(NEXT) | instid1(VALU_DEP_2)
	v_and_b32_e32 v26, 0x80, v15
	v_cmpx_gt_u64_e32 0x43e00001, v[2:3]
	s_xor_b32 s74, exec_lo, s13
	s_cbranch_execz .LBB4_6631
; %bb.6618:                             ;   in Loop: Header=BB4_6312 Depth=3
	v_mov_b32_e32 v105, 0
	s_mov_b32 s75, exec_lo
	v_cmpx_ne_u32_e32 0, v14
	s_cbranch_execz .LBB4_6630
; %bb.6619:                             ;   in Loop: Header=BB4_6312 Depth=3
	v_bfe_u32 v24, v14, 23, 8
	s_delay_alu instid0(VALU_DEP_1) | instskip(SKIP_1) | instid1(VALU_DEP_2)
	v_sub_nc_u32_e32 v2, 0x79, v24
	v_cmp_gt_u32_e32 vcc_lo, 0x7a, v24
	v_cndmask_b32_e32 v2, 0, v2, vcc_lo
	v_cmp_eq_u32_e32 vcc_lo, 0, v24
	s_delay_alu instid0(VALU_DEP_2) | instskip(SKIP_1) | instid1(VALU_DEP_2)
	v_cndmask_b32_e64 v25, v2, 0x78, vcc_lo
	v_and_b32_e32 v2, 0x7fffff, v14
	v_add_nc_u32_e32 v14, 20, v25
	s_delay_alu instid0(VALU_DEP_2) | instskip(SKIP_1) | instid1(VALU_DEP_3)
	v_or_b32_e32 v16, 0x800000, v2
	v_add_nc_u32_e32 v17, 19, v25
	v_lshlrev_b64_e64 v[14:15], v14, -1
	s_delay_alu instid0(VALU_DEP_3) | instskip(NEXT) | instid1(VALU_DEP_3)
	v_cndmask_b32_e32 v2, v16, v2, vcc_lo
	v_lshlrev_b64_e64 v[16:17], v17, 1
	s_delay_alu instid0(VALU_DEP_3) | instskip(NEXT) | instid1(VALU_DEP_3)
	v_bfi_b32 v29, v15, 0, 0
	v_bfi_b32 v28, v14, 0, v2
	v_lshrrev_b64 v[14:15], v25, v[2:3]
	s_delay_alu instid0(VALU_DEP_2) | instskip(NEXT) | instid1(VALU_DEP_2)
	v_cmp_eq_u64_e64 s13, v[28:29], v[16:17]
	v_mov_b64_e32 v[16:17], v[14:15]
	s_and_saveexec_b32 s76, s13
; %bb.6620:                             ;   in Loop: Header=BB4_6312 Depth=3
	v_bfe_u32 v2, v14, 20, 1
	s_delay_alu instid0(VALU_DEP_1) | instskip(NEXT) | instid1(VALU_DEP_1)
	v_add_nc_u64_e32 v[16:17], v[14:15], v[2:3]
	v_add_nc_u64_e32 v[16:17], -1, v[16:17]
; %bb.6621:                             ;   in Loop: Header=BB4_6312 Depth=3
	s_or_b32 exec_lo, exec_lo, s76
	v_add_nc_u32_e32 v2, 0xffffff81, v24
	v_lshrrev_b32_e32 v15, 23, v14
	s_mov_b32 s13, exec_lo
	s_delay_alu instid0(VALU_DEP_2) | instskip(NEXT) | instid1(VALU_DEP_1)
	v_cndmask_b32_e64 v2, v2, 0xffffff82, vcc_lo
	v_add3_u32 v17, v25, v2, v15
	v_and_b32_e32 v2, 0xfffff, v16
                                        ; implicit-def: $vgpr16
	s_delay_alu instid0(VALU_DEP_1) | instskip(NEXT) | instid1(VALU_DEP_1)
	v_dual_add_nc_u32 v24, 6, v17 :: v_dual_add_nc_u32 v2, v2, v14
                                        ; implicit-def: $vgpr14_vgpr15
	v_cmpx_ne_u32_e32 0, v24
	s_xor_b32 s13, exec_lo, s13
; %bb.6622:                             ;   in Loop: Header=BB4_6312 Depth=3
	s_delay_alu instid0(VALU_DEP_2) | instskip(SKIP_1) | instid1(VALU_DEP_1)
	v_cmp_lt_u64_e32 vcc_lo, 0xffffff, v[2:3]
	v_add_nc_u32_e32 v14, 7, v17
	v_cndmask_b32_e32 v16, v24, v14, vcc_lo
	v_cndmask_b32_e64 v14, 0, 1, vcc_lo
	s_delay_alu instid0(VALU_DEP_1)
	v_lshrrev_b64 v[14:15], v14, v[2:3]
; %bb.6623:                             ;   in Loop: Header=BB4_6312 Depth=3
	s_and_not1_saveexec_b32 s13, s13
; %bb.6624:                             ;   in Loop: Header=BB4_6312 Depth=3
	v_mov_b64_e32 v[14:15], v[2:3]
	v_bfe_u32 v16, v2, 23, 1
; %bb.6625:                             ;   in Loop: Header=BB4_6312 Depth=3
	s_or_b32 exec_lo, exec_lo, s13
	s_delay_alu instid0(VALU_DEP_2) | instskip(NEXT) | instid1(VALU_DEP_2)
	v_lshrrev_b64 v[14:15], 20, v[14:15]
	v_cmp_gt_i32_e32 vcc_lo, 16, v16
	v_cmp_ne_u32_e64 s13, 0, v16
                                        ; implicit-def: $vgpr105
	s_delay_alu instid0(VALU_DEP_3) | instskip(NEXT) | instid1(VALU_DEP_1)
	v_dual_cndmask_b32 v15, 0, v15 :: v_dual_cndmask_b32 v14, 7, v14
	v_cmp_ne_u64_e32 vcc_lo, 0, v[14:15]
	s_or_b32 s13, s13, vcc_lo
	s_delay_alu instid0(SALU_CYCLE_1) | instskip(NEXT) | instid1(SALU_CYCLE_1)
	s_and_saveexec_b32 s76, s13
	s_xor_b32 s13, exec_lo, s76
; %bb.6626:                             ;   in Loop: Header=BB4_6312 Depth=3
	v_min_i32_e32 v2, 15, v16
	s_delay_alu instid0(VALU_DEP_1) | instskip(NEXT) | instid1(VALU_DEP_1)
	v_lshl_or_b32 v2, v2, 3, v26
                                        ; implicit-def: $vgpr26
	v_and_or_b32 v105, v14, 7, v2
; %bb.6627:                             ;   in Loop: Header=BB4_6312 Depth=3
	s_and_not1_saveexec_b32 s13, s13
; %bb.6628:                             ;   in Loop: Header=BB4_6312 Depth=3
	v_mov_b32_e32 v105, v26
; %bb.6629:                             ;   in Loop: Header=BB4_6312 Depth=3
	s_or_b32 exec_lo, exec_lo, s13
.LBB4_6630:                             ;   in Loop: Header=BB4_6312 Depth=3
	s_delay_alu instid0(SALU_CYCLE_1)
	s_or_b32 exec_lo, exec_lo, s75
                                        ; implicit-def: $vgpr26
.LBB4_6631:                             ;   in Loop: Header=BB4_6312 Depth=3
	s_and_not1_saveexec_b32 s13, s74
; %bb.6632:                             ;   in Loop: Header=BB4_6312 Depth=3
	v_or_b32_e32 v105, 0x7e, v26
; %bb.6633:                             ;   in Loop: Header=BB4_6312 Depth=3
	s_or_b32 exec_lo, exec_lo, s13
                                        ; implicit-def: $vgpr14
.LBB4_6634:                             ;   in Loop: Header=BB4_6312 Depth=3
	s_and_not1_saveexec_b32 s13, s45
; %bb.6635:                             ;   in Loop: Header=BB4_6312 Depth=3
	v_lshrrev_b32_e32 v2, 24, v14
	s_delay_alu instid0(VALU_DEP_1)
	v_or_b32_e32 v105, 0x7f, v2
; %bb.6636:                             ;   in Loop: Header=BB4_6312 Depth=3
	s_or_b32 exec_lo, exec_lo, s13
	v_and_b32_e32 v2, 0xff, v104
	v_dual_mov_b32 v16, 0 :: v_dual_mov_b32 v17, 0
	s_mov_b32 s13, exec_lo
	s_delay_alu instid0(VALU_DEP_2)
	v_cmpx_ne_u16_e32 0, v2
	s_cbranch_execz .LBB4_6644
; %bb.6637:                             ;   in Loop: Header=BB4_6312 Depth=3
	v_bfrev_b32_e32 v17, 1
	s_mov_b32 s45, exec_lo
	v_cmpx_ne_u16_e32 0x80, v2
	s_cbranch_execz .LBB4_6643
; %bb.6638:                             ;   in Loop: Header=BB4_6312 Depth=3
	v_and_b32_e32 v14, 0x7f, v104
	v_mov_b32_e32 v17, 0x7f800001
	s_mov_b32 s74, exec_lo
	s_delay_alu instid0(VALU_DEP_2)
	v_cmpx_ne_u32_e32 0x7f, v14
	s_cbranch_execz .LBB4_6642
; %bb.6639:                             ;   in Loop: Header=BB4_6312 Depth=3
	v_and_b32_e32 v2, 7, v2
	v_lshrrev_b32_e32 v17, 3, v14
	v_cmp_gt_u32_e32 vcc_lo, 8, v14
	s_delay_alu instid0(VALU_DEP_3)
	v_mov_b64_e32 v[14:15], v[2:3]
	s_and_saveexec_b32 s75, vcc_lo
; %bb.6640:                             ;   in Loop: Header=BB4_6312 Depth=3
	v_clz_i32_u32_e32 v14, v2
	s_delay_alu instid0(VALU_DEP_1) | instskip(NEXT) | instid1(VALU_DEP_1)
	v_min_u32_e32 v17, 32, v14
	v_subrev_nc_u32_e32 v14, 28, v17
	s_delay_alu instid0(VALU_DEP_1) | instskip(NEXT) | instid1(VALU_DEP_1)
	v_lshlrev_b64_e32 v[14:15], v14, v[2:3]
	v_dual_sub_nc_u32 v17, 29, v17 :: v_dual_bitop2_b32 v14, 7, v14 bitop3:0x40
; %bb.6641:                             ;   in Loop: Header=BB4_6312 Depth=3
	s_or_b32 exec_lo, exec_lo, s75
	s_delay_alu instid0(VALU_DEP_1) | instskip(NEXT) | instid1(VALU_DEP_2)
	v_dual_lshlrev_b32 v2, 24, v104 :: v_dual_lshlrev_b32 v14, 20, v14
	v_lshl_add_u32 v15, v17, 23, 0x3c000000
	s_delay_alu instid0(VALU_DEP_2) | instskip(NEXT) | instid1(VALU_DEP_1)
	v_and_b32_e32 v2, 0x80000000, v2
	v_or3_b32 v17, v14, v2, v15
.LBB4_6642:                             ;   in Loop: Header=BB4_6312 Depth=3
	s_or_b32 exec_lo, exec_lo, s74
.LBB4_6643:                             ;   in Loop: Header=BB4_6312 Depth=3
	s_delay_alu instid0(SALU_CYCLE_1)
	s_or_b32 exec_lo, exec_lo, s45
.LBB4_6644:                             ;   in Loop: Header=BB4_6312 Depth=3
	s_delay_alu instid0(SALU_CYCLE_1) | instskip(SKIP_3) | instid1(VALU_DEP_1)
	s_or_b32 exec_lo, exec_lo, s13
	s_wait_loadcnt_dscnt 0x606
	v_and_b32_e32 v2, 0xff, v78
	s_mov_b32 s13, exec_lo
	v_cmpx_ne_u16_e32 0, v2
	s_cbranch_execz .LBB4_6652
; %bb.6645:                             ;   in Loop: Header=BB4_6312 Depth=3
	v_bfrev_b32_e32 v16, 1
	s_mov_b32 s45, exec_lo
	v_cmpx_ne_u16_e32 0x80, v2
	s_cbranch_execz .LBB4_6651
; %bb.6646:                             ;   in Loop: Header=BB4_6312 Depth=3
	v_and_b32_e32 v14, 0x7f, v78
	v_mov_b32_e32 v16, 0x7f800001
	s_mov_b32 s74, exec_lo
	s_delay_alu instid0(VALU_DEP_2)
	v_cmpx_ne_u32_e32 0x7f, v14
	s_cbranch_execz .LBB4_6650
; %bb.6647:                             ;   in Loop: Header=BB4_6312 Depth=3
	v_and_b32_e32 v2, 7, v2
	v_lshrrev_b32_e32 v16, 3, v14
	v_cmp_gt_u32_e32 vcc_lo, 8, v14
	s_delay_alu instid0(VALU_DEP_3)
	v_mov_b64_e32 v[14:15], v[2:3]
	s_and_saveexec_b32 s75, vcc_lo
; %bb.6648:                             ;   in Loop: Header=BB4_6312 Depth=3
	v_clz_i32_u32_e32 v14, v2
	s_delay_alu instid0(VALU_DEP_1) | instskip(NEXT) | instid1(VALU_DEP_1)
	v_min_u32_e32 v16, 32, v14
	v_subrev_nc_u32_e32 v14, 28, v16
	s_delay_alu instid0(VALU_DEP_1) | instskip(NEXT) | instid1(VALU_DEP_1)
	v_lshlrev_b64_e32 v[14:15], v14, v[2:3]
	v_dual_sub_nc_u32 v16, 29, v16 :: v_dual_bitop2_b32 v14, 7, v14 bitop3:0x40
; %bb.6649:                             ;   in Loop: Header=BB4_6312 Depth=3
	s_or_b32 exec_lo, exec_lo, s75
	v_lshlrev_b32_e32 v2, 24, v78
	s_delay_alu instid0(VALU_DEP_2) | instskip(NEXT) | instid1(VALU_DEP_3)
	v_lshlrev_b32_e32 v14, 20, v14
	v_lshl_add_u32 v15, v16, 23, 0x3c000000
	s_delay_alu instid0(VALU_DEP_3) | instskip(NEXT) | instid1(VALU_DEP_1)
	v_and_b32_e32 v2, 0x80000000, v2
	v_or3_b32 v16, v14, v2, v15
.LBB4_6650:                             ;   in Loop: Header=BB4_6312 Depth=3
	s_or_b32 exec_lo, exec_lo, s74
.LBB4_6651:                             ;   in Loop: Header=BB4_6312 Depth=3
	s_delay_alu instid0(SALU_CYCLE_1)
	s_or_b32 exec_lo, exec_lo, s45
.LBB4_6652:                             ;   in Loop: Header=BB4_6312 Depth=3
	s_delay_alu instid0(SALU_CYCLE_1) | instskip(NEXT) | instid1(VALU_DEP_1)
	s_or_b32 exec_lo, exec_lo, s13
	v_add_f32_e32 v14, v17, v16
                                        ; implicit-def: $vgpr78
	s_mov_b32 s13, exec_lo
	s_delay_alu instid0(VALU_DEP_1) | instskip(NEXT) | instid1(VALU_DEP_1)
	v_and_b32_e32 v2, 0x7f800000, v14
	v_cmpx_ne_u64_e32 0x7f800000, v[2:3]
	s_xor_b32 s45, exec_lo, s13
	s_cbranch_execz .LBB4_6670
; %bb.6653:                             ;   in Loop: Header=BB4_6312 Depth=3
	v_lshrrev_b32_e32 v15, 24, v14
	v_and_b32_e32 v2, 0x7fffffff, v14
                                        ; implicit-def: $vgpr78
	s_mov_b32 s13, exec_lo
	s_delay_alu instid0(VALU_DEP_2) | instskip(NEXT) | instid1(VALU_DEP_2)
	v_and_b32_e32 v26, 0x80, v15
	v_cmpx_gt_u64_e32 0x43e00001, v[2:3]
	s_xor_b32 s74, exec_lo, s13
	s_cbranch_execz .LBB4_6667
; %bb.6654:                             ;   in Loop: Header=BB4_6312 Depth=3
	v_mov_b32_e32 v78, 0
	s_mov_b32 s75, exec_lo
	v_cmpx_ne_u32_e32 0, v14
	s_cbranch_execz .LBB4_6666
; %bb.6655:                             ;   in Loop: Header=BB4_6312 Depth=3
	v_bfe_u32 v24, v14, 23, 8
	s_delay_alu instid0(VALU_DEP_1) | instskip(SKIP_1) | instid1(VALU_DEP_2)
	v_sub_nc_u32_e32 v2, 0x79, v24
	v_cmp_gt_u32_e32 vcc_lo, 0x7a, v24
	v_cndmask_b32_e32 v2, 0, v2, vcc_lo
	v_cmp_eq_u32_e32 vcc_lo, 0, v24
	s_delay_alu instid0(VALU_DEP_2) | instskip(SKIP_1) | instid1(VALU_DEP_2)
	v_cndmask_b32_e64 v25, v2, 0x78, vcc_lo
	v_and_b32_e32 v2, 0x7fffff, v14
	v_add_nc_u32_e32 v14, 20, v25
	s_delay_alu instid0(VALU_DEP_2) | instskip(SKIP_1) | instid1(VALU_DEP_3)
	v_or_b32_e32 v16, 0x800000, v2
	v_add_nc_u32_e32 v17, 19, v25
	v_lshlrev_b64_e64 v[14:15], v14, -1
	s_delay_alu instid0(VALU_DEP_3) | instskip(NEXT) | instid1(VALU_DEP_3)
	v_cndmask_b32_e32 v2, v16, v2, vcc_lo
	v_lshlrev_b64_e64 v[16:17], v17, 1
	s_delay_alu instid0(VALU_DEP_3) | instskip(NEXT) | instid1(VALU_DEP_3)
	v_bfi_b32 v29, v15, 0, 0
	v_bfi_b32 v28, v14, 0, v2
	v_lshrrev_b64 v[14:15], v25, v[2:3]
	s_delay_alu instid0(VALU_DEP_2) | instskip(NEXT) | instid1(VALU_DEP_2)
	v_cmp_eq_u64_e64 s13, v[28:29], v[16:17]
	v_mov_b64_e32 v[16:17], v[14:15]
	s_and_saveexec_b32 s76, s13
; %bb.6656:                             ;   in Loop: Header=BB4_6312 Depth=3
	v_bfe_u32 v2, v14, 20, 1
	s_delay_alu instid0(VALU_DEP_1) | instskip(NEXT) | instid1(VALU_DEP_1)
	v_add_nc_u64_e32 v[16:17], v[14:15], v[2:3]
	v_add_nc_u64_e32 v[16:17], -1, v[16:17]
; %bb.6657:                             ;   in Loop: Header=BB4_6312 Depth=3
	s_or_b32 exec_lo, exec_lo, s76
	v_add_nc_u32_e32 v2, 0xffffff81, v24
	v_lshrrev_b32_e32 v15, 23, v14
	s_mov_b32 s13, exec_lo
	s_delay_alu instid0(VALU_DEP_2) | instskip(NEXT) | instid1(VALU_DEP_1)
	v_cndmask_b32_e64 v2, v2, 0xffffff82, vcc_lo
	v_add3_u32 v17, v25, v2, v15
	v_and_b32_e32 v2, 0xfffff, v16
                                        ; implicit-def: $vgpr16
	s_delay_alu instid0(VALU_DEP_1) | instskip(NEXT) | instid1(VALU_DEP_1)
	v_dual_add_nc_u32 v24, 6, v17 :: v_dual_add_nc_u32 v2, v2, v14
                                        ; implicit-def: $vgpr14_vgpr15
	v_cmpx_ne_u32_e32 0, v24
	s_xor_b32 s13, exec_lo, s13
; %bb.6658:                             ;   in Loop: Header=BB4_6312 Depth=3
	s_delay_alu instid0(VALU_DEP_2) | instskip(SKIP_1) | instid1(VALU_DEP_1)
	v_cmp_lt_u64_e32 vcc_lo, 0xffffff, v[2:3]
	v_add_nc_u32_e32 v14, 7, v17
	v_cndmask_b32_e32 v16, v24, v14, vcc_lo
	v_cndmask_b32_e64 v14, 0, 1, vcc_lo
	s_delay_alu instid0(VALU_DEP_1)
	v_lshrrev_b64 v[14:15], v14, v[2:3]
; %bb.6659:                             ;   in Loop: Header=BB4_6312 Depth=3
	s_and_not1_saveexec_b32 s13, s13
; %bb.6660:                             ;   in Loop: Header=BB4_6312 Depth=3
	v_mov_b64_e32 v[14:15], v[2:3]
	v_bfe_u32 v16, v2, 23, 1
; %bb.6661:                             ;   in Loop: Header=BB4_6312 Depth=3
	s_or_b32 exec_lo, exec_lo, s13
	s_delay_alu instid0(VALU_DEP_2) | instskip(NEXT) | instid1(VALU_DEP_2)
	v_lshrrev_b64 v[14:15], 20, v[14:15]
	v_cmp_gt_i32_e32 vcc_lo, 16, v16
	v_cmp_ne_u32_e64 s13, 0, v16
                                        ; implicit-def: $vgpr78
	s_delay_alu instid0(VALU_DEP_3) | instskip(NEXT) | instid1(VALU_DEP_1)
	v_dual_cndmask_b32 v15, 0, v15 :: v_dual_cndmask_b32 v14, 7, v14
	v_cmp_ne_u64_e32 vcc_lo, 0, v[14:15]
	s_or_b32 s13, s13, vcc_lo
	s_delay_alu instid0(SALU_CYCLE_1) | instskip(NEXT) | instid1(SALU_CYCLE_1)
	s_and_saveexec_b32 s76, s13
	s_xor_b32 s13, exec_lo, s76
; %bb.6662:                             ;   in Loop: Header=BB4_6312 Depth=3
	v_min_i32_e32 v2, 15, v16
	s_delay_alu instid0(VALU_DEP_1) | instskip(NEXT) | instid1(VALU_DEP_1)
	v_lshl_or_b32 v2, v2, 3, v26
                                        ; implicit-def: $vgpr26
	v_and_or_b32 v78, v14, 7, v2
; %bb.6663:                             ;   in Loop: Header=BB4_6312 Depth=3
	s_and_not1_saveexec_b32 s13, s13
; %bb.6664:                             ;   in Loop: Header=BB4_6312 Depth=3
	v_mov_b32_e32 v78, v26
; %bb.6665:                             ;   in Loop: Header=BB4_6312 Depth=3
	s_or_b32 exec_lo, exec_lo, s13
.LBB4_6666:                             ;   in Loop: Header=BB4_6312 Depth=3
	s_delay_alu instid0(SALU_CYCLE_1)
	s_or_b32 exec_lo, exec_lo, s75
                                        ; implicit-def: $vgpr26
.LBB4_6667:                             ;   in Loop: Header=BB4_6312 Depth=3
	s_and_not1_saveexec_b32 s13, s74
; %bb.6668:                             ;   in Loop: Header=BB4_6312 Depth=3
	v_or_b32_e32 v78, 0x7e, v26
; %bb.6669:                             ;   in Loop: Header=BB4_6312 Depth=3
	s_or_b32 exec_lo, exec_lo, s13
                                        ; implicit-def: $vgpr14
.LBB4_6670:                             ;   in Loop: Header=BB4_6312 Depth=3
	s_and_not1_saveexec_b32 s13, s45
; %bb.6671:                             ;   in Loop: Header=BB4_6312 Depth=3
	v_lshrrev_b32_e32 v2, 24, v14
	s_delay_alu instid0(VALU_DEP_1)
	v_or_b32_e32 v78, 0x7f, v2
; %bb.6672:                             ;   in Loop: Header=BB4_6312 Depth=3
	s_or_b32 exec_lo, exec_lo, s13
	v_and_b32_e32 v2, 0xff, v77
	v_dual_mov_b32 v16, 0 :: v_dual_mov_b32 v17, 0
	s_mov_b32 s13, exec_lo
	s_delay_alu instid0(VALU_DEP_2)
	v_cmpx_ne_u16_e32 0, v2
	s_cbranch_execz .LBB4_6680
; %bb.6673:                             ;   in Loop: Header=BB4_6312 Depth=3
	v_bfrev_b32_e32 v17, 1
	s_mov_b32 s45, exec_lo
	v_cmpx_ne_u16_e32 0x80, v2
	s_cbranch_execz .LBB4_6679
; %bb.6674:                             ;   in Loop: Header=BB4_6312 Depth=3
	v_and_b32_e32 v14, 0x7f, v77
	v_mov_b32_e32 v17, 0x7f800001
	s_mov_b32 s74, exec_lo
	s_delay_alu instid0(VALU_DEP_2)
	v_cmpx_ne_u32_e32 0x7f, v14
	s_cbranch_execz .LBB4_6678
; %bb.6675:                             ;   in Loop: Header=BB4_6312 Depth=3
	v_and_b32_e32 v2, 7, v2
	v_lshrrev_b32_e32 v17, 3, v14
	v_cmp_gt_u32_e32 vcc_lo, 8, v14
	s_delay_alu instid0(VALU_DEP_3)
	v_mov_b64_e32 v[14:15], v[2:3]
	s_and_saveexec_b32 s75, vcc_lo
; %bb.6676:                             ;   in Loop: Header=BB4_6312 Depth=3
	v_clz_i32_u32_e32 v14, v2
	s_delay_alu instid0(VALU_DEP_1) | instskip(NEXT) | instid1(VALU_DEP_1)
	v_min_u32_e32 v17, 32, v14
	v_subrev_nc_u32_e32 v14, 28, v17
	s_delay_alu instid0(VALU_DEP_1) | instskip(NEXT) | instid1(VALU_DEP_1)
	v_lshlrev_b64_e32 v[14:15], v14, v[2:3]
	v_dual_sub_nc_u32 v17, 29, v17 :: v_dual_bitop2_b32 v14, 7, v14 bitop3:0x40
; %bb.6677:                             ;   in Loop: Header=BB4_6312 Depth=3
	s_or_b32 exec_lo, exec_lo, s75
	s_delay_alu instid0(VALU_DEP_1) | instskip(NEXT) | instid1(VALU_DEP_2)
	v_dual_lshlrev_b32 v2, 24, v77 :: v_dual_lshlrev_b32 v14, 20, v14
	v_lshl_add_u32 v15, v17, 23, 0x3c000000
	s_delay_alu instid0(VALU_DEP_2) | instskip(NEXT) | instid1(VALU_DEP_1)
	v_and_b32_e32 v2, 0x80000000, v2
	v_or3_b32 v17, v14, v2, v15
.LBB4_6678:                             ;   in Loop: Header=BB4_6312 Depth=3
	s_or_b32 exec_lo, exec_lo, s74
.LBB4_6679:                             ;   in Loop: Header=BB4_6312 Depth=3
	s_delay_alu instid0(SALU_CYCLE_1)
	s_or_b32 exec_lo, exec_lo, s45
.LBB4_6680:                             ;   in Loop: Header=BB4_6312 Depth=3
	s_delay_alu instid0(SALU_CYCLE_1) | instskip(SKIP_3) | instid1(VALU_DEP_1)
	s_or_b32 exec_lo, exec_lo, s13
	s_wait_loadcnt_dscnt 0x505
	v_and_b32_e32 v2, 0xff, v75
	s_mov_b32 s13, exec_lo
	v_cmpx_ne_u16_e32 0, v2
	s_cbranch_execz .LBB4_6688
; %bb.6681:                             ;   in Loop: Header=BB4_6312 Depth=3
	v_bfrev_b32_e32 v16, 1
	s_mov_b32 s45, exec_lo
	v_cmpx_ne_u16_e32 0x80, v2
	s_cbranch_execz .LBB4_6687
; %bb.6682:                             ;   in Loop: Header=BB4_6312 Depth=3
	v_and_b32_e32 v14, 0x7f, v75
	v_mov_b32_e32 v16, 0x7f800001
	s_mov_b32 s74, exec_lo
	s_delay_alu instid0(VALU_DEP_2)
	v_cmpx_ne_u32_e32 0x7f, v14
	s_cbranch_execz .LBB4_6686
; %bb.6683:                             ;   in Loop: Header=BB4_6312 Depth=3
	v_and_b32_e32 v2, 7, v2
	v_lshrrev_b32_e32 v16, 3, v14
	v_cmp_gt_u32_e32 vcc_lo, 8, v14
	s_delay_alu instid0(VALU_DEP_3)
	v_mov_b64_e32 v[14:15], v[2:3]
	s_and_saveexec_b32 s75, vcc_lo
; %bb.6684:                             ;   in Loop: Header=BB4_6312 Depth=3
	v_clz_i32_u32_e32 v14, v2
	s_delay_alu instid0(VALU_DEP_1) | instskip(NEXT) | instid1(VALU_DEP_1)
	v_min_u32_e32 v16, 32, v14
	v_subrev_nc_u32_e32 v14, 28, v16
	s_delay_alu instid0(VALU_DEP_1) | instskip(NEXT) | instid1(VALU_DEP_1)
	v_lshlrev_b64_e32 v[14:15], v14, v[2:3]
	v_dual_sub_nc_u32 v16, 29, v16 :: v_dual_bitop2_b32 v14, 7, v14 bitop3:0x40
; %bb.6685:                             ;   in Loop: Header=BB4_6312 Depth=3
	s_or_b32 exec_lo, exec_lo, s75
	s_delay_alu instid0(VALU_DEP_1) | instskip(NEXT) | instid1(VALU_DEP_2)
	v_dual_lshlrev_b32 v2, 24, v75 :: v_dual_lshlrev_b32 v14, 20, v14
	v_lshl_add_u32 v15, v16, 23, 0x3c000000
	s_delay_alu instid0(VALU_DEP_2) | instskip(NEXT) | instid1(VALU_DEP_1)
	v_and_b32_e32 v2, 0x80000000, v2
	v_or3_b32 v16, v14, v2, v15
.LBB4_6686:                             ;   in Loop: Header=BB4_6312 Depth=3
	s_or_b32 exec_lo, exec_lo, s74
.LBB4_6687:                             ;   in Loop: Header=BB4_6312 Depth=3
	s_delay_alu instid0(SALU_CYCLE_1)
	s_or_b32 exec_lo, exec_lo, s45
.LBB4_6688:                             ;   in Loop: Header=BB4_6312 Depth=3
	s_delay_alu instid0(SALU_CYCLE_1) | instskip(NEXT) | instid1(VALU_DEP_1)
	s_or_b32 exec_lo, exec_lo, s13
	v_add_f32_e32 v14, v17, v16
                                        ; implicit-def: $vgpr26
	s_mov_b32 s13, exec_lo
	s_delay_alu instid0(VALU_DEP_1) | instskip(NEXT) | instid1(VALU_DEP_1)
	v_and_b32_e32 v2, 0x7f800000, v14
	v_cmpx_ne_u64_e32 0x7f800000, v[2:3]
	s_xor_b32 s45, exec_lo, s13
	s_cbranch_execz .LBB4_6706
; %bb.6689:                             ;   in Loop: Header=BB4_6312 Depth=3
	v_lshrrev_b32_e32 v15, 24, v14
	v_and_b32_e32 v2, 0x7fffffff, v14
                                        ; implicit-def: $vgpr26
	s_mov_b32 s13, exec_lo
	s_delay_alu instid0(VALU_DEP_2) | instskip(NEXT) | instid1(VALU_DEP_2)
	v_and_b32_e32 v27, 0x80, v15
	v_cmpx_gt_u64_e32 0x43e00001, v[2:3]
	s_xor_b32 s74, exec_lo, s13
	s_cbranch_execz .LBB4_6703
; %bb.6690:                             ;   in Loop: Header=BB4_6312 Depth=3
	v_mov_b32_e32 v26, 0
	s_mov_b32 s75, exec_lo
	v_cmpx_ne_u32_e32 0, v14
	s_cbranch_execz .LBB4_6702
; %bb.6691:                             ;   in Loop: Header=BB4_6312 Depth=3
	v_bfe_u32 v24, v14, 23, 8
	s_delay_alu instid0(VALU_DEP_1) | instskip(SKIP_1) | instid1(VALU_DEP_2)
	v_sub_nc_u32_e32 v2, 0x79, v24
	v_cmp_gt_u32_e32 vcc_lo, 0x7a, v24
	v_cndmask_b32_e32 v2, 0, v2, vcc_lo
	v_cmp_eq_u32_e32 vcc_lo, 0, v24
	s_delay_alu instid0(VALU_DEP_2) | instskip(SKIP_1) | instid1(VALU_DEP_2)
	v_cndmask_b32_e64 v25, v2, 0x78, vcc_lo
	v_and_b32_e32 v2, 0x7fffff, v14
	v_add_nc_u32_e32 v14, 20, v25
	s_delay_alu instid0(VALU_DEP_2) | instskip(SKIP_1) | instid1(VALU_DEP_3)
	v_or_b32_e32 v16, 0x800000, v2
	v_add_nc_u32_e32 v17, 19, v25
	v_lshlrev_b64_e64 v[14:15], v14, -1
	s_delay_alu instid0(VALU_DEP_3) | instskip(NEXT) | instid1(VALU_DEP_3)
	v_cndmask_b32_e32 v2, v16, v2, vcc_lo
	v_lshlrev_b64_e64 v[16:17], v17, 1
	s_delay_alu instid0(VALU_DEP_3) | instskip(NEXT) | instid1(VALU_DEP_3)
	v_bfi_b32 v29, v15, 0, 0
	v_bfi_b32 v28, v14, 0, v2
	v_lshrrev_b64 v[14:15], v25, v[2:3]
	s_delay_alu instid0(VALU_DEP_2) | instskip(NEXT) | instid1(VALU_DEP_2)
	v_cmp_eq_u64_e64 s13, v[28:29], v[16:17]
	v_mov_b64_e32 v[16:17], v[14:15]
	s_and_saveexec_b32 s76, s13
; %bb.6692:                             ;   in Loop: Header=BB4_6312 Depth=3
	v_bfe_u32 v2, v14, 20, 1
	s_delay_alu instid0(VALU_DEP_1) | instskip(NEXT) | instid1(VALU_DEP_1)
	v_add_nc_u64_e32 v[16:17], v[14:15], v[2:3]
	v_add_nc_u64_e32 v[16:17], -1, v[16:17]
; %bb.6693:                             ;   in Loop: Header=BB4_6312 Depth=3
	s_or_b32 exec_lo, exec_lo, s76
	v_add_nc_u32_e32 v2, 0xffffff81, v24
	v_lshrrev_b32_e32 v15, 23, v14
	s_mov_b32 s13, exec_lo
	s_delay_alu instid0(VALU_DEP_2) | instskip(NEXT) | instid1(VALU_DEP_1)
	v_cndmask_b32_e64 v2, v2, 0xffffff82, vcc_lo
	v_add3_u32 v17, v25, v2, v15
	v_and_b32_e32 v2, 0xfffff, v16
                                        ; implicit-def: $vgpr16
	s_delay_alu instid0(VALU_DEP_1) | instskip(NEXT) | instid1(VALU_DEP_1)
	v_dual_add_nc_u32 v24, 6, v17 :: v_dual_add_nc_u32 v2, v2, v14
                                        ; implicit-def: $vgpr14_vgpr15
	v_cmpx_ne_u32_e32 0, v24
	s_xor_b32 s13, exec_lo, s13
; %bb.6694:                             ;   in Loop: Header=BB4_6312 Depth=3
	s_delay_alu instid0(VALU_DEP_2) | instskip(SKIP_1) | instid1(VALU_DEP_1)
	v_cmp_lt_u64_e32 vcc_lo, 0xffffff, v[2:3]
	v_add_nc_u32_e32 v14, 7, v17
	v_cndmask_b32_e32 v16, v24, v14, vcc_lo
	v_cndmask_b32_e64 v14, 0, 1, vcc_lo
	s_delay_alu instid0(VALU_DEP_1)
	v_lshrrev_b64 v[14:15], v14, v[2:3]
; %bb.6695:                             ;   in Loop: Header=BB4_6312 Depth=3
	s_and_not1_saveexec_b32 s13, s13
; %bb.6696:                             ;   in Loop: Header=BB4_6312 Depth=3
	v_mov_b64_e32 v[14:15], v[2:3]
	v_bfe_u32 v16, v2, 23, 1
; %bb.6697:                             ;   in Loop: Header=BB4_6312 Depth=3
	s_or_b32 exec_lo, exec_lo, s13
	s_delay_alu instid0(VALU_DEP_2) | instskip(NEXT) | instid1(VALU_DEP_2)
	v_lshrrev_b64 v[14:15], 20, v[14:15]
	v_cmp_gt_i32_e32 vcc_lo, 16, v16
	v_cmp_ne_u32_e64 s13, 0, v16
                                        ; implicit-def: $vgpr26
	s_delay_alu instid0(VALU_DEP_3) | instskip(NEXT) | instid1(VALU_DEP_1)
	v_dual_cndmask_b32 v15, 0, v15 :: v_dual_cndmask_b32 v14, 7, v14
	v_cmp_ne_u64_e32 vcc_lo, 0, v[14:15]
	s_or_b32 s13, s13, vcc_lo
	s_delay_alu instid0(SALU_CYCLE_1) | instskip(NEXT) | instid1(SALU_CYCLE_1)
	s_and_saveexec_b32 s76, s13
	s_xor_b32 s13, exec_lo, s76
; %bb.6698:                             ;   in Loop: Header=BB4_6312 Depth=3
	v_min_i32_e32 v2, 15, v16
	s_delay_alu instid0(VALU_DEP_1) | instskip(NEXT) | instid1(VALU_DEP_1)
	v_lshl_or_b32 v2, v2, 3, v27
                                        ; implicit-def: $vgpr27
	v_and_or_b32 v26, v14, 7, v2
; %bb.6699:                             ;   in Loop: Header=BB4_6312 Depth=3
	s_and_not1_saveexec_b32 s13, s13
; %bb.6700:                             ;   in Loop: Header=BB4_6312 Depth=3
	v_mov_b32_e32 v26, v27
; %bb.6701:                             ;   in Loop: Header=BB4_6312 Depth=3
	s_or_b32 exec_lo, exec_lo, s13
.LBB4_6702:                             ;   in Loop: Header=BB4_6312 Depth=3
	s_delay_alu instid0(SALU_CYCLE_1)
	s_or_b32 exec_lo, exec_lo, s75
                                        ; implicit-def: $vgpr27
.LBB4_6703:                             ;   in Loop: Header=BB4_6312 Depth=3
	s_and_not1_saveexec_b32 s13, s74
; %bb.6704:                             ;   in Loop: Header=BB4_6312 Depth=3
	v_or_b32_e32 v26, 0x7e, v27
; %bb.6705:                             ;   in Loop: Header=BB4_6312 Depth=3
	s_or_b32 exec_lo, exec_lo, s13
                                        ; implicit-def: $vgpr14
.LBB4_6706:                             ;   in Loop: Header=BB4_6312 Depth=3
	s_and_not1_saveexec_b32 s13, s45
; %bb.6707:                             ;   in Loop: Header=BB4_6312 Depth=3
	v_lshrrev_b32_e32 v2, 24, v14
	s_delay_alu instid0(VALU_DEP_1)
	v_or_b32_e32 v26, 0x7f, v2
; %bb.6708:                             ;   in Loop: Header=BB4_6312 Depth=3
	s_or_b32 exec_lo, exec_lo, s13
	v_and_b32_e32 v2, 0xff, v74
	v_dual_mov_b32 v16, 0 :: v_dual_mov_b32 v17, 0
	s_mov_b32 s13, exec_lo
	s_delay_alu instid0(VALU_DEP_2)
	v_cmpx_ne_u16_e32 0, v2
	s_cbranch_execz .LBB4_6716
; %bb.6709:                             ;   in Loop: Header=BB4_6312 Depth=3
	v_bfrev_b32_e32 v17, 1
	s_mov_b32 s45, exec_lo
	v_cmpx_ne_u16_e32 0x80, v2
	s_cbranch_execz .LBB4_6715
; %bb.6710:                             ;   in Loop: Header=BB4_6312 Depth=3
	v_and_b32_e32 v14, 0x7f, v74
	v_mov_b32_e32 v17, 0x7f800001
	s_mov_b32 s74, exec_lo
	s_delay_alu instid0(VALU_DEP_2)
	v_cmpx_ne_u32_e32 0x7f, v14
	s_cbranch_execz .LBB4_6714
; %bb.6711:                             ;   in Loop: Header=BB4_6312 Depth=3
	v_and_b32_e32 v2, 7, v2
	v_lshrrev_b32_e32 v17, 3, v14
	v_cmp_gt_u32_e32 vcc_lo, 8, v14
	s_delay_alu instid0(VALU_DEP_3)
	v_mov_b64_e32 v[14:15], v[2:3]
	s_and_saveexec_b32 s75, vcc_lo
; %bb.6712:                             ;   in Loop: Header=BB4_6312 Depth=3
	v_clz_i32_u32_e32 v14, v2
	s_delay_alu instid0(VALU_DEP_1) | instskip(NEXT) | instid1(VALU_DEP_1)
	v_min_u32_e32 v17, 32, v14
	v_subrev_nc_u32_e32 v14, 28, v17
	s_delay_alu instid0(VALU_DEP_1) | instskip(NEXT) | instid1(VALU_DEP_1)
	v_lshlrev_b64_e32 v[14:15], v14, v[2:3]
	v_dual_sub_nc_u32 v17, 29, v17 :: v_dual_bitop2_b32 v14, 7, v14 bitop3:0x40
; %bb.6713:                             ;   in Loop: Header=BB4_6312 Depth=3
	s_or_b32 exec_lo, exec_lo, s75
	v_lshlrev_b32_e32 v2, 24, v74
	s_delay_alu instid0(VALU_DEP_2) | instskip(NEXT) | instid1(VALU_DEP_3)
	v_lshlrev_b32_e32 v14, 20, v14
	v_lshl_add_u32 v15, v17, 23, 0x3c000000
	s_delay_alu instid0(VALU_DEP_3) | instskip(NEXT) | instid1(VALU_DEP_1)
	v_and_b32_e32 v2, 0x80000000, v2
	v_or3_b32 v17, v14, v2, v15
.LBB4_6714:                             ;   in Loop: Header=BB4_6312 Depth=3
	s_or_b32 exec_lo, exec_lo, s74
.LBB4_6715:                             ;   in Loop: Header=BB4_6312 Depth=3
	s_delay_alu instid0(SALU_CYCLE_1)
	s_or_b32 exec_lo, exec_lo, s45
.LBB4_6716:                             ;   in Loop: Header=BB4_6312 Depth=3
	s_delay_alu instid0(SALU_CYCLE_1) | instskip(SKIP_3) | instid1(VALU_DEP_1)
	s_or_b32 exec_lo, exec_lo, s13
	s_wait_loadcnt_dscnt 0x404
	v_and_b32_e32 v2, 0xff, v72
	s_mov_b32 s13, exec_lo
	v_cmpx_ne_u16_e32 0, v2
	s_cbranch_execz .LBB4_6724
; %bb.6717:                             ;   in Loop: Header=BB4_6312 Depth=3
	v_bfrev_b32_e32 v16, 1
	s_mov_b32 s45, exec_lo
	v_cmpx_ne_u16_e32 0x80, v2
	s_cbranch_execz .LBB4_6723
; %bb.6718:                             ;   in Loop: Header=BB4_6312 Depth=3
	v_and_b32_e32 v14, 0x7f, v72
	v_mov_b32_e32 v16, 0x7f800001
	s_mov_b32 s74, exec_lo
	s_delay_alu instid0(VALU_DEP_2)
	v_cmpx_ne_u32_e32 0x7f, v14
	s_cbranch_execz .LBB4_6722
; %bb.6719:                             ;   in Loop: Header=BB4_6312 Depth=3
	v_and_b32_e32 v2, 7, v2
	v_lshrrev_b32_e32 v16, 3, v14
	v_cmp_gt_u32_e32 vcc_lo, 8, v14
	s_delay_alu instid0(VALU_DEP_3)
	v_mov_b64_e32 v[14:15], v[2:3]
	s_and_saveexec_b32 s75, vcc_lo
; %bb.6720:                             ;   in Loop: Header=BB4_6312 Depth=3
	v_clz_i32_u32_e32 v14, v2
	s_delay_alu instid0(VALU_DEP_1) | instskip(NEXT) | instid1(VALU_DEP_1)
	v_min_u32_e32 v16, 32, v14
	v_subrev_nc_u32_e32 v14, 28, v16
	s_delay_alu instid0(VALU_DEP_1) | instskip(NEXT) | instid1(VALU_DEP_1)
	v_lshlrev_b64_e32 v[14:15], v14, v[2:3]
	v_dual_sub_nc_u32 v16, 29, v16 :: v_dual_bitop2_b32 v14, 7, v14 bitop3:0x40
; %bb.6721:                             ;   in Loop: Header=BB4_6312 Depth=3
	s_or_b32 exec_lo, exec_lo, s75
	s_delay_alu instid0(VALU_DEP_1) | instskip(NEXT) | instid1(VALU_DEP_2)
	v_dual_lshlrev_b32 v2, 24, v72 :: v_dual_lshlrev_b32 v14, 20, v14
	v_lshl_add_u32 v15, v16, 23, 0x3c000000
	s_delay_alu instid0(VALU_DEP_2) | instskip(NEXT) | instid1(VALU_DEP_1)
	v_and_b32_e32 v2, 0x80000000, v2
	v_or3_b32 v16, v14, v2, v15
.LBB4_6722:                             ;   in Loop: Header=BB4_6312 Depth=3
	s_or_b32 exec_lo, exec_lo, s74
.LBB4_6723:                             ;   in Loop: Header=BB4_6312 Depth=3
	s_delay_alu instid0(SALU_CYCLE_1)
	s_or_b32 exec_lo, exec_lo, s45
.LBB4_6724:                             ;   in Loop: Header=BB4_6312 Depth=3
	s_delay_alu instid0(SALU_CYCLE_1) | instskip(NEXT) | instid1(VALU_DEP_1)
	s_or_b32 exec_lo, exec_lo, s13
	v_add_f32_e32 v14, v17, v16
                                        ; implicit-def: $vgpr27
	s_mov_b32 s13, exec_lo
	s_delay_alu instid0(VALU_DEP_1) | instskip(NEXT) | instid1(VALU_DEP_1)
	v_and_b32_e32 v2, 0x7f800000, v14
	v_cmpx_ne_u64_e32 0x7f800000, v[2:3]
	s_xor_b32 s45, exec_lo, s13
	s_cbranch_execz .LBB4_6742
; %bb.6725:                             ;   in Loop: Header=BB4_6312 Depth=3
	v_lshrrev_b32_e32 v15, 24, v14
	v_and_b32_e32 v2, 0x7fffffff, v14
                                        ; implicit-def: $vgpr27
	s_mov_b32 s13, exec_lo
	s_delay_alu instid0(VALU_DEP_2) | instskip(NEXT) | instid1(VALU_DEP_2)
	v_and_b32_e32 v28, 0x80, v15
	v_cmpx_gt_u64_e32 0x43e00001, v[2:3]
	s_xor_b32 s74, exec_lo, s13
	s_cbranch_execz .LBB4_6739
; %bb.6726:                             ;   in Loop: Header=BB4_6312 Depth=3
	v_mov_b32_e32 v27, 0
	s_mov_b32 s75, exec_lo
	v_cmpx_ne_u32_e32 0, v14
	s_cbranch_execz .LBB4_6738
; %bb.6727:                             ;   in Loop: Header=BB4_6312 Depth=3
	v_bfe_u32 v24, v14, 23, 8
	s_delay_alu instid0(VALU_DEP_1) | instskip(SKIP_1) | instid1(VALU_DEP_2)
	v_sub_nc_u32_e32 v2, 0x79, v24
	v_cmp_gt_u32_e32 vcc_lo, 0x7a, v24
	v_cndmask_b32_e32 v2, 0, v2, vcc_lo
	v_cmp_eq_u32_e32 vcc_lo, 0, v24
	s_delay_alu instid0(VALU_DEP_2) | instskip(SKIP_1) | instid1(VALU_DEP_2)
	v_cndmask_b32_e64 v25, v2, 0x78, vcc_lo
	v_and_b32_e32 v2, 0x7fffff, v14
	v_add_nc_u32_e32 v14, 20, v25
	s_delay_alu instid0(VALU_DEP_2) | instskip(SKIP_1) | instid1(VALU_DEP_3)
	v_or_b32_e32 v16, 0x800000, v2
	v_add_nc_u32_e32 v17, 19, v25
	v_lshlrev_b64_e64 v[14:15], v14, -1
	s_delay_alu instid0(VALU_DEP_3) | instskip(NEXT) | instid1(VALU_DEP_3)
	v_cndmask_b32_e32 v2, v16, v2, vcc_lo
	v_lshlrev_b64_e64 v[16:17], v17, 1
	s_delay_alu instid0(VALU_DEP_3) | instskip(NEXT) | instid1(VALU_DEP_3)
	v_bfi_b32 v75, v15, 0, 0
	v_bfi_b32 v74, v14, 0, v2
	v_lshrrev_b64 v[14:15], v25, v[2:3]
	s_delay_alu instid0(VALU_DEP_2) | instskip(NEXT) | instid1(VALU_DEP_2)
	v_cmp_eq_u64_e64 s13, v[74:75], v[16:17]
	v_mov_b64_e32 v[16:17], v[14:15]
	s_and_saveexec_b32 s76, s13
; %bb.6728:                             ;   in Loop: Header=BB4_6312 Depth=3
	v_bfe_u32 v2, v14, 20, 1
	s_delay_alu instid0(VALU_DEP_1) | instskip(NEXT) | instid1(VALU_DEP_1)
	v_add_nc_u64_e32 v[16:17], v[14:15], v[2:3]
	v_add_nc_u64_e32 v[16:17], -1, v[16:17]
; %bb.6729:                             ;   in Loop: Header=BB4_6312 Depth=3
	s_or_b32 exec_lo, exec_lo, s76
	v_add_nc_u32_e32 v2, 0xffffff81, v24
	v_lshrrev_b32_e32 v15, 23, v14
	s_mov_b32 s13, exec_lo
	s_delay_alu instid0(VALU_DEP_2) | instskip(NEXT) | instid1(VALU_DEP_1)
	v_cndmask_b32_e64 v2, v2, 0xffffff82, vcc_lo
	v_add3_u32 v17, v25, v2, v15
	v_and_b32_e32 v2, 0xfffff, v16
                                        ; implicit-def: $vgpr16
	s_delay_alu instid0(VALU_DEP_1) | instskip(NEXT) | instid1(VALU_DEP_1)
	v_dual_add_nc_u32 v24, 6, v17 :: v_dual_add_nc_u32 v2, v2, v14
                                        ; implicit-def: $vgpr14_vgpr15
	v_cmpx_ne_u32_e32 0, v24
	s_xor_b32 s13, exec_lo, s13
; %bb.6730:                             ;   in Loop: Header=BB4_6312 Depth=3
	s_delay_alu instid0(VALU_DEP_2) | instskip(SKIP_1) | instid1(VALU_DEP_1)
	v_cmp_lt_u64_e32 vcc_lo, 0xffffff, v[2:3]
	v_add_nc_u32_e32 v14, 7, v17
	v_cndmask_b32_e32 v16, v24, v14, vcc_lo
	v_cndmask_b32_e64 v14, 0, 1, vcc_lo
	s_delay_alu instid0(VALU_DEP_1)
	v_lshrrev_b64 v[14:15], v14, v[2:3]
; %bb.6731:                             ;   in Loop: Header=BB4_6312 Depth=3
	s_and_not1_saveexec_b32 s13, s13
; %bb.6732:                             ;   in Loop: Header=BB4_6312 Depth=3
	v_mov_b64_e32 v[14:15], v[2:3]
	v_bfe_u32 v16, v2, 23, 1
; %bb.6733:                             ;   in Loop: Header=BB4_6312 Depth=3
	s_or_b32 exec_lo, exec_lo, s13
	s_delay_alu instid0(VALU_DEP_2) | instskip(NEXT) | instid1(VALU_DEP_2)
	v_lshrrev_b64 v[14:15], 20, v[14:15]
	v_cmp_gt_i32_e32 vcc_lo, 16, v16
	v_cmp_ne_u32_e64 s13, 0, v16
                                        ; implicit-def: $vgpr27
	s_delay_alu instid0(VALU_DEP_3) | instskip(NEXT) | instid1(VALU_DEP_1)
	v_dual_cndmask_b32 v15, 0, v15 :: v_dual_cndmask_b32 v14, 7, v14
	v_cmp_ne_u64_e32 vcc_lo, 0, v[14:15]
	s_or_b32 s13, s13, vcc_lo
	s_delay_alu instid0(SALU_CYCLE_1) | instskip(NEXT) | instid1(SALU_CYCLE_1)
	s_and_saveexec_b32 s76, s13
	s_xor_b32 s13, exec_lo, s76
; %bb.6734:                             ;   in Loop: Header=BB4_6312 Depth=3
	v_min_i32_e32 v2, 15, v16
	s_delay_alu instid0(VALU_DEP_1) | instskip(NEXT) | instid1(VALU_DEP_1)
	v_lshl_or_b32 v2, v2, 3, v28
                                        ; implicit-def: $vgpr28
	v_and_or_b32 v27, v14, 7, v2
; %bb.6735:                             ;   in Loop: Header=BB4_6312 Depth=3
	s_and_not1_saveexec_b32 s13, s13
; %bb.6736:                             ;   in Loop: Header=BB4_6312 Depth=3
	v_mov_b32_e32 v27, v28
; %bb.6737:                             ;   in Loop: Header=BB4_6312 Depth=3
	s_or_b32 exec_lo, exec_lo, s13
.LBB4_6738:                             ;   in Loop: Header=BB4_6312 Depth=3
	s_delay_alu instid0(SALU_CYCLE_1)
	s_or_b32 exec_lo, exec_lo, s75
                                        ; implicit-def: $vgpr28
.LBB4_6739:                             ;   in Loop: Header=BB4_6312 Depth=3
	s_and_not1_saveexec_b32 s13, s74
; %bb.6740:                             ;   in Loop: Header=BB4_6312 Depth=3
	v_or_b32_e32 v27, 0x7e, v28
; %bb.6741:                             ;   in Loop: Header=BB4_6312 Depth=3
	s_or_b32 exec_lo, exec_lo, s13
                                        ; implicit-def: $vgpr14
.LBB4_6742:                             ;   in Loop: Header=BB4_6312 Depth=3
	s_and_not1_saveexec_b32 s13, s45
; %bb.6743:                             ;   in Loop: Header=BB4_6312 Depth=3
	v_lshrrev_b32_e32 v2, 24, v14
	s_delay_alu instid0(VALU_DEP_1)
	v_or_b32_e32 v27, 0x7f, v2
; %bb.6744:                             ;   in Loop: Header=BB4_6312 Depth=3
	s_or_b32 exec_lo, exec_lo, s13
	v_and_b32_e32 v2, 0xff, v63
	v_dual_mov_b32 v16, 0 :: v_dual_mov_b32 v17, 0
	s_mov_b32 s13, exec_lo
	s_delay_alu instid0(VALU_DEP_2)
	v_cmpx_ne_u16_e32 0, v2
	s_cbranch_execz .LBB4_6752
; %bb.6745:                             ;   in Loop: Header=BB4_6312 Depth=3
	v_bfrev_b32_e32 v17, 1
	s_mov_b32 s45, exec_lo
	v_cmpx_ne_u16_e32 0x80, v2
	s_cbranch_execz .LBB4_6751
; %bb.6746:                             ;   in Loop: Header=BB4_6312 Depth=3
	v_and_b32_e32 v14, 0x7f, v63
	v_mov_b32_e32 v17, 0x7f800001
	s_mov_b32 s74, exec_lo
	s_delay_alu instid0(VALU_DEP_2)
	v_cmpx_ne_u32_e32 0x7f, v14
	s_cbranch_execz .LBB4_6750
; %bb.6747:                             ;   in Loop: Header=BB4_6312 Depth=3
	v_and_b32_e32 v2, 7, v2
	v_lshrrev_b32_e32 v17, 3, v14
	v_cmp_gt_u32_e32 vcc_lo, 8, v14
	s_delay_alu instid0(VALU_DEP_3)
	v_mov_b64_e32 v[14:15], v[2:3]
	s_and_saveexec_b32 s75, vcc_lo
; %bb.6748:                             ;   in Loop: Header=BB4_6312 Depth=3
	v_clz_i32_u32_e32 v14, v2
	s_delay_alu instid0(VALU_DEP_1) | instskip(NEXT) | instid1(VALU_DEP_1)
	v_min_u32_e32 v17, 32, v14
	v_subrev_nc_u32_e32 v14, 28, v17
	s_delay_alu instid0(VALU_DEP_1) | instskip(NEXT) | instid1(VALU_DEP_1)
	v_lshlrev_b64_e32 v[14:15], v14, v[2:3]
	v_dual_sub_nc_u32 v17, 29, v17 :: v_dual_bitop2_b32 v14, 7, v14 bitop3:0x40
; %bb.6749:                             ;   in Loop: Header=BB4_6312 Depth=3
	s_or_b32 exec_lo, exec_lo, s75
	s_delay_alu instid0(VALU_DEP_1) | instskip(NEXT) | instid1(VALU_DEP_2)
	v_dual_lshlrev_b32 v2, 24, v63 :: v_dual_lshlrev_b32 v14, 20, v14
	v_lshl_add_u32 v15, v17, 23, 0x3c000000
	s_delay_alu instid0(VALU_DEP_2) | instskip(NEXT) | instid1(VALU_DEP_1)
	v_and_b32_e32 v2, 0x80000000, v2
	v_or3_b32 v17, v14, v2, v15
.LBB4_6750:                             ;   in Loop: Header=BB4_6312 Depth=3
	s_or_b32 exec_lo, exec_lo, s74
.LBB4_6751:                             ;   in Loop: Header=BB4_6312 Depth=3
	s_delay_alu instid0(SALU_CYCLE_1)
	s_or_b32 exec_lo, exec_lo, s45
.LBB4_6752:                             ;   in Loop: Header=BB4_6312 Depth=3
	s_delay_alu instid0(SALU_CYCLE_1) | instskip(SKIP_3) | instid1(VALU_DEP_1)
	s_or_b32 exec_lo, exec_lo, s13
	s_wait_loadcnt_dscnt 0x303
	v_and_b32_e32 v2, 0xff, v61
	s_mov_b32 s13, exec_lo
	v_cmpx_ne_u16_e32 0, v2
	s_cbranch_execz .LBB4_6760
; %bb.6753:                             ;   in Loop: Header=BB4_6312 Depth=3
	v_bfrev_b32_e32 v16, 1
	s_mov_b32 s45, exec_lo
	v_cmpx_ne_u16_e32 0x80, v2
	s_cbranch_execz .LBB4_6759
; %bb.6754:                             ;   in Loop: Header=BB4_6312 Depth=3
	v_and_b32_e32 v14, 0x7f, v61
	v_mov_b32_e32 v16, 0x7f800001
	s_mov_b32 s74, exec_lo
	s_delay_alu instid0(VALU_DEP_2)
	v_cmpx_ne_u32_e32 0x7f, v14
	s_cbranch_execz .LBB4_6758
; %bb.6755:                             ;   in Loop: Header=BB4_6312 Depth=3
	v_and_b32_e32 v2, 7, v2
	v_lshrrev_b32_e32 v16, 3, v14
	v_cmp_gt_u32_e32 vcc_lo, 8, v14
	s_delay_alu instid0(VALU_DEP_3)
	v_mov_b64_e32 v[14:15], v[2:3]
	s_and_saveexec_b32 s75, vcc_lo
; %bb.6756:                             ;   in Loop: Header=BB4_6312 Depth=3
	v_clz_i32_u32_e32 v14, v2
	s_delay_alu instid0(VALU_DEP_1) | instskip(NEXT) | instid1(VALU_DEP_1)
	v_min_u32_e32 v16, 32, v14
	v_subrev_nc_u32_e32 v14, 28, v16
	s_delay_alu instid0(VALU_DEP_1) | instskip(NEXT) | instid1(VALU_DEP_1)
	v_lshlrev_b64_e32 v[14:15], v14, v[2:3]
	v_dual_sub_nc_u32 v16, 29, v16 :: v_dual_bitop2_b32 v14, 7, v14 bitop3:0x40
; %bb.6757:                             ;   in Loop: Header=BB4_6312 Depth=3
	s_or_b32 exec_lo, exec_lo, s75
	s_delay_alu instid0(VALU_DEP_1) | instskip(NEXT) | instid1(VALU_DEP_2)
	v_dual_lshlrev_b32 v2, 24, v61 :: v_dual_lshlrev_b32 v14, 20, v14
	v_lshl_add_u32 v15, v16, 23, 0x3c000000
	s_delay_alu instid0(VALU_DEP_2) | instskip(NEXT) | instid1(VALU_DEP_1)
	v_and_b32_e32 v2, 0x80000000, v2
	v_or3_b32 v16, v14, v2, v15
.LBB4_6758:                             ;   in Loop: Header=BB4_6312 Depth=3
	s_or_b32 exec_lo, exec_lo, s74
.LBB4_6759:                             ;   in Loop: Header=BB4_6312 Depth=3
	s_delay_alu instid0(SALU_CYCLE_1)
	s_or_b32 exec_lo, exec_lo, s45
.LBB4_6760:                             ;   in Loop: Header=BB4_6312 Depth=3
	s_delay_alu instid0(SALU_CYCLE_1) | instskip(NEXT) | instid1(VALU_DEP_1)
	s_or_b32 exec_lo, exec_lo, s13
	v_add_f32_e32 v14, v17, v16
                                        ; implicit-def: $vgpr61
	s_mov_b32 s13, exec_lo
	s_delay_alu instid0(VALU_DEP_1) | instskip(NEXT) | instid1(VALU_DEP_1)
	v_and_b32_e32 v2, 0x7f800000, v14
	v_cmpx_ne_u64_e32 0x7f800000, v[2:3]
	s_xor_b32 s45, exec_lo, s13
	s_cbranch_execz .LBB4_6778
; %bb.6761:                             ;   in Loop: Header=BB4_6312 Depth=3
	v_lshrrev_b32_e32 v15, 24, v14
	v_and_b32_e32 v2, 0x7fffffff, v14
                                        ; implicit-def: $vgpr61
	s_mov_b32 s13, exec_lo
	s_delay_alu instid0(VALU_DEP_2) | instskip(NEXT) | instid1(VALU_DEP_2)
	v_and_b32_e32 v28, 0x80, v15
	v_cmpx_gt_u64_e32 0x43e00001, v[2:3]
	s_xor_b32 s74, exec_lo, s13
	s_cbranch_execz .LBB4_6775
; %bb.6762:                             ;   in Loop: Header=BB4_6312 Depth=3
	v_mov_b32_e32 v61, 0
	s_mov_b32 s75, exec_lo
	v_cmpx_ne_u32_e32 0, v14
	s_cbranch_execz .LBB4_6774
; %bb.6763:                             ;   in Loop: Header=BB4_6312 Depth=3
	v_bfe_u32 v24, v14, 23, 8
	s_delay_alu instid0(VALU_DEP_1) | instskip(SKIP_1) | instid1(VALU_DEP_2)
	v_sub_nc_u32_e32 v2, 0x79, v24
	v_cmp_gt_u32_e32 vcc_lo, 0x7a, v24
	v_cndmask_b32_e32 v2, 0, v2, vcc_lo
	v_cmp_eq_u32_e32 vcc_lo, 0, v24
	s_delay_alu instid0(VALU_DEP_2) | instskip(SKIP_1) | instid1(VALU_DEP_2)
	v_cndmask_b32_e64 v25, v2, 0x78, vcc_lo
	v_and_b32_e32 v2, 0x7fffff, v14
	v_add_nc_u32_e32 v14, 20, v25
	s_delay_alu instid0(VALU_DEP_2) | instskip(SKIP_1) | instid1(VALU_DEP_3)
	v_or_b32_e32 v16, 0x800000, v2
	v_add_nc_u32_e32 v17, 19, v25
	v_lshlrev_b64_e64 v[14:15], v14, -1
	s_delay_alu instid0(VALU_DEP_3) | instskip(NEXT) | instid1(VALU_DEP_3)
	v_cndmask_b32_e32 v2, v16, v2, vcc_lo
	v_lshlrev_b64_e64 v[16:17], v17, 1
	s_delay_alu instid0(VALU_DEP_3) | instskip(NEXT) | instid1(VALU_DEP_3)
	v_bfi_b32 v75, v15, 0, 0
	v_bfi_b32 v74, v14, 0, v2
	v_lshrrev_b64 v[14:15], v25, v[2:3]
	s_delay_alu instid0(VALU_DEP_2) | instskip(NEXT) | instid1(VALU_DEP_2)
	v_cmp_eq_u64_e64 s13, v[74:75], v[16:17]
	v_mov_b64_e32 v[16:17], v[14:15]
	s_and_saveexec_b32 s76, s13
; %bb.6764:                             ;   in Loop: Header=BB4_6312 Depth=3
	v_bfe_u32 v2, v14, 20, 1
	s_delay_alu instid0(VALU_DEP_1) | instskip(NEXT) | instid1(VALU_DEP_1)
	v_add_nc_u64_e32 v[16:17], v[14:15], v[2:3]
	v_add_nc_u64_e32 v[16:17], -1, v[16:17]
; %bb.6765:                             ;   in Loop: Header=BB4_6312 Depth=3
	s_or_b32 exec_lo, exec_lo, s76
	v_add_nc_u32_e32 v2, 0xffffff81, v24
	v_lshrrev_b32_e32 v15, 23, v14
	s_mov_b32 s13, exec_lo
	s_delay_alu instid0(VALU_DEP_2) | instskip(NEXT) | instid1(VALU_DEP_1)
	v_cndmask_b32_e64 v2, v2, 0xffffff82, vcc_lo
	v_add3_u32 v17, v25, v2, v15
	v_and_b32_e32 v2, 0xfffff, v16
                                        ; implicit-def: $vgpr16
	s_delay_alu instid0(VALU_DEP_1) | instskip(NEXT) | instid1(VALU_DEP_1)
	v_dual_add_nc_u32 v24, 6, v17 :: v_dual_add_nc_u32 v2, v2, v14
                                        ; implicit-def: $vgpr14_vgpr15
	v_cmpx_ne_u32_e32 0, v24
	s_xor_b32 s13, exec_lo, s13
; %bb.6766:                             ;   in Loop: Header=BB4_6312 Depth=3
	s_delay_alu instid0(VALU_DEP_2) | instskip(SKIP_1) | instid1(VALU_DEP_1)
	v_cmp_lt_u64_e32 vcc_lo, 0xffffff, v[2:3]
	v_add_nc_u32_e32 v14, 7, v17
	v_cndmask_b32_e32 v16, v24, v14, vcc_lo
	v_cndmask_b32_e64 v14, 0, 1, vcc_lo
	s_delay_alu instid0(VALU_DEP_1)
	v_lshrrev_b64 v[14:15], v14, v[2:3]
; %bb.6767:                             ;   in Loop: Header=BB4_6312 Depth=3
	s_and_not1_saveexec_b32 s13, s13
; %bb.6768:                             ;   in Loop: Header=BB4_6312 Depth=3
	v_mov_b64_e32 v[14:15], v[2:3]
	v_bfe_u32 v16, v2, 23, 1
; %bb.6769:                             ;   in Loop: Header=BB4_6312 Depth=3
	s_or_b32 exec_lo, exec_lo, s13
	s_delay_alu instid0(VALU_DEP_2) | instskip(NEXT) | instid1(VALU_DEP_2)
	v_lshrrev_b64 v[14:15], 20, v[14:15]
	v_cmp_gt_i32_e32 vcc_lo, 16, v16
	v_cmp_ne_u32_e64 s13, 0, v16
                                        ; implicit-def: $vgpr61
	s_delay_alu instid0(VALU_DEP_3) | instskip(NEXT) | instid1(VALU_DEP_1)
	v_dual_cndmask_b32 v15, 0, v15 :: v_dual_cndmask_b32 v14, 7, v14
	v_cmp_ne_u64_e32 vcc_lo, 0, v[14:15]
	s_or_b32 s13, s13, vcc_lo
	s_delay_alu instid0(SALU_CYCLE_1) | instskip(NEXT) | instid1(SALU_CYCLE_1)
	s_and_saveexec_b32 s76, s13
	s_xor_b32 s13, exec_lo, s76
; %bb.6770:                             ;   in Loop: Header=BB4_6312 Depth=3
	v_min_i32_e32 v2, 15, v16
	s_delay_alu instid0(VALU_DEP_1) | instskip(NEXT) | instid1(VALU_DEP_1)
	v_lshl_or_b32 v2, v2, 3, v28
                                        ; implicit-def: $vgpr28
	v_and_or_b32 v61, v14, 7, v2
; %bb.6771:                             ;   in Loop: Header=BB4_6312 Depth=3
	s_and_not1_saveexec_b32 s13, s13
; %bb.6772:                             ;   in Loop: Header=BB4_6312 Depth=3
	v_mov_b32_e32 v61, v28
; %bb.6773:                             ;   in Loop: Header=BB4_6312 Depth=3
	s_or_b32 exec_lo, exec_lo, s13
.LBB4_6774:                             ;   in Loop: Header=BB4_6312 Depth=3
	s_delay_alu instid0(SALU_CYCLE_1)
	s_or_b32 exec_lo, exec_lo, s75
                                        ; implicit-def: $vgpr28
.LBB4_6775:                             ;   in Loop: Header=BB4_6312 Depth=3
	s_and_not1_saveexec_b32 s13, s74
; %bb.6776:                             ;   in Loop: Header=BB4_6312 Depth=3
	v_or_b32_e32 v61, 0x7e, v28
; %bb.6777:                             ;   in Loop: Header=BB4_6312 Depth=3
	s_or_b32 exec_lo, exec_lo, s13
                                        ; implicit-def: $vgpr14
.LBB4_6778:                             ;   in Loop: Header=BB4_6312 Depth=3
	s_and_not1_saveexec_b32 s13, s45
; %bb.6779:                             ;   in Loop: Header=BB4_6312 Depth=3
	v_lshrrev_b32_e32 v2, 24, v14
	s_delay_alu instid0(VALU_DEP_1)
	v_or_b32_e32 v61, 0x7f, v2
; %bb.6780:                             ;   in Loop: Header=BB4_6312 Depth=3
	s_or_b32 exec_lo, exec_lo, s13
	v_and_b32_e32 v2, 0xff, v60
	v_dual_mov_b32 v16, 0 :: v_dual_mov_b32 v17, 0
	s_mov_b32 s13, exec_lo
	s_delay_alu instid0(VALU_DEP_2)
	v_cmpx_ne_u16_e32 0, v2
	s_cbranch_execz .LBB4_6788
; %bb.6781:                             ;   in Loop: Header=BB4_6312 Depth=3
	v_bfrev_b32_e32 v17, 1
	s_mov_b32 s45, exec_lo
	v_cmpx_ne_u16_e32 0x80, v2
	s_cbranch_execz .LBB4_6787
; %bb.6782:                             ;   in Loop: Header=BB4_6312 Depth=3
	v_and_b32_e32 v14, 0x7f, v60
	v_mov_b32_e32 v17, 0x7f800001
	s_mov_b32 s74, exec_lo
	s_delay_alu instid0(VALU_DEP_2)
	v_cmpx_ne_u32_e32 0x7f, v14
	s_cbranch_execz .LBB4_6786
; %bb.6783:                             ;   in Loop: Header=BB4_6312 Depth=3
	v_and_b32_e32 v2, 7, v2
	v_lshrrev_b32_e32 v17, 3, v14
	v_cmp_gt_u32_e32 vcc_lo, 8, v14
	s_delay_alu instid0(VALU_DEP_3)
	v_mov_b64_e32 v[14:15], v[2:3]
	s_and_saveexec_b32 s75, vcc_lo
; %bb.6784:                             ;   in Loop: Header=BB4_6312 Depth=3
	v_clz_i32_u32_e32 v14, v2
	s_delay_alu instid0(VALU_DEP_1) | instskip(NEXT) | instid1(VALU_DEP_1)
	v_min_u32_e32 v17, 32, v14
	v_subrev_nc_u32_e32 v14, 28, v17
	s_delay_alu instid0(VALU_DEP_1) | instskip(NEXT) | instid1(VALU_DEP_1)
	v_lshlrev_b64_e32 v[14:15], v14, v[2:3]
	v_dual_sub_nc_u32 v17, 29, v17 :: v_dual_bitop2_b32 v14, 7, v14 bitop3:0x40
; %bb.6785:                             ;   in Loop: Header=BB4_6312 Depth=3
	s_or_b32 exec_lo, exec_lo, s75
	s_delay_alu instid0(VALU_DEP_1) | instskip(NEXT) | instid1(VALU_DEP_2)
	v_dual_lshlrev_b32 v2, 24, v60 :: v_dual_lshlrev_b32 v14, 20, v14
	v_lshl_add_u32 v15, v17, 23, 0x3c000000
	s_delay_alu instid0(VALU_DEP_2) | instskip(NEXT) | instid1(VALU_DEP_1)
	v_and_b32_e32 v2, 0x80000000, v2
	v_or3_b32 v17, v14, v2, v15
.LBB4_6786:                             ;   in Loop: Header=BB4_6312 Depth=3
	s_or_b32 exec_lo, exec_lo, s74
.LBB4_6787:                             ;   in Loop: Header=BB4_6312 Depth=3
	s_delay_alu instid0(SALU_CYCLE_1)
	s_or_b32 exec_lo, exec_lo, s45
.LBB4_6788:                             ;   in Loop: Header=BB4_6312 Depth=3
	s_delay_alu instid0(SALU_CYCLE_1) | instskip(SKIP_3) | instid1(VALU_DEP_1)
	s_or_b32 exec_lo, exec_lo, s13
	s_wait_loadcnt_dscnt 0x202
	v_and_b32_e32 v2, 0xff, v58
	s_mov_b32 s13, exec_lo
	v_cmpx_ne_u16_e32 0, v2
	s_cbranch_execz .LBB4_6796
; %bb.6789:                             ;   in Loop: Header=BB4_6312 Depth=3
	v_bfrev_b32_e32 v16, 1
	s_mov_b32 s45, exec_lo
	v_cmpx_ne_u16_e32 0x80, v2
	s_cbranch_execz .LBB4_6795
; %bb.6790:                             ;   in Loop: Header=BB4_6312 Depth=3
	v_and_b32_e32 v14, 0x7f, v58
	v_mov_b32_e32 v16, 0x7f800001
	s_mov_b32 s74, exec_lo
	s_delay_alu instid0(VALU_DEP_2)
	v_cmpx_ne_u32_e32 0x7f, v14
	s_cbranch_execz .LBB4_6794
; %bb.6791:                             ;   in Loop: Header=BB4_6312 Depth=3
	v_and_b32_e32 v2, 7, v2
	v_lshrrev_b32_e32 v16, 3, v14
	v_cmp_gt_u32_e32 vcc_lo, 8, v14
	s_delay_alu instid0(VALU_DEP_3)
	v_mov_b64_e32 v[14:15], v[2:3]
	s_and_saveexec_b32 s75, vcc_lo
; %bb.6792:                             ;   in Loop: Header=BB4_6312 Depth=3
	v_clz_i32_u32_e32 v14, v2
	s_delay_alu instid0(VALU_DEP_1) | instskip(NEXT) | instid1(VALU_DEP_1)
	v_min_u32_e32 v16, 32, v14
	v_subrev_nc_u32_e32 v14, 28, v16
	s_delay_alu instid0(VALU_DEP_1) | instskip(NEXT) | instid1(VALU_DEP_1)
	v_lshlrev_b64_e32 v[14:15], v14, v[2:3]
	v_dual_sub_nc_u32 v16, 29, v16 :: v_dual_bitop2_b32 v14, 7, v14 bitop3:0x40
; %bb.6793:                             ;   in Loop: Header=BB4_6312 Depth=3
	s_or_b32 exec_lo, exec_lo, s75
	v_lshlrev_b32_e32 v2, 24, v58
	s_delay_alu instid0(VALU_DEP_2) | instskip(NEXT) | instid1(VALU_DEP_3)
	v_lshlrev_b32_e32 v14, 20, v14
	v_lshl_add_u32 v15, v16, 23, 0x3c000000
	s_delay_alu instid0(VALU_DEP_3) | instskip(NEXT) | instid1(VALU_DEP_1)
	v_and_b32_e32 v2, 0x80000000, v2
	v_or3_b32 v16, v14, v2, v15
.LBB4_6794:                             ;   in Loop: Header=BB4_6312 Depth=3
	s_or_b32 exec_lo, exec_lo, s74
.LBB4_6795:                             ;   in Loop: Header=BB4_6312 Depth=3
	s_delay_alu instid0(SALU_CYCLE_1)
	s_or_b32 exec_lo, exec_lo, s45
.LBB4_6796:                             ;   in Loop: Header=BB4_6312 Depth=3
	s_delay_alu instid0(SALU_CYCLE_1) | instskip(NEXT) | instid1(VALU_DEP_1)
	s_or_b32 exec_lo, exec_lo, s13
	v_add_f32_e32 v14, v17, v16
                                        ; implicit-def: $vgpr28
	s_mov_b32 s13, exec_lo
	s_delay_alu instid0(VALU_DEP_1) | instskip(NEXT) | instid1(VALU_DEP_1)
	v_and_b32_e32 v2, 0x7f800000, v14
	v_cmpx_ne_u64_e32 0x7f800000, v[2:3]
	s_xor_b32 s45, exec_lo, s13
	s_cbranch_execz .LBB4_6814
; %bb.6797:                             ;   in Loop: Header=BB4_6312 Depth=3
	v_lshrrev_b32_e32 v15, 24, v14
	v_and_b32_e32 v2, 0x7fffffff, v14
                                        ; implicit-def: $vgpr28
	s_mov_b32 s13, exec_lo
	s_delay_alu instid0(VALU_DEP_2) | instskip(NEXT) | instid1(VALU_DEP_2)
	v_and_b32_e32 v29, 0x80, v15
	v_cmpx_gt_u64_e32 0x43e00001, v[2:3]
	s_xor_b32 s74, exec_lo, s13
	s_cbranch_execz .LBB4_6811
; %bb.6798:                             ;   in Loop: Header=BB4_6312 Depth=3
	v_mov_b32_e32 v28, 0
	s_mov_b32 s75, exec_lo
	v_cmpx_ne_u32_e32 0, v14
	s_cbranch_execz .LBB4_6810
; %bb.6799:                             ;   in Loop: Header=BB4_6312 Depth=3
	v_bfe_u32 v24, v14, 23, 8
	s_delay_alu instid0(VALU_DEP_1) | instskip(SKIP_1) | instid1(VALU_DEP_2)
	v_sub_nc_u32_e32 v2, 0x79, v24
	v_cmp_gt_u32_e32 vcc_lo, 0x7a, v24
	v_cndmask_b32_e32 v2, 0, v2, vcc_lo
	v_cmp_eq_u32_e32 vcc_lo, 0, v24
	s_delay_alu instid0(VALU_DEP_2) | instskip(SKIP_1) | instid1(VALU_DEP_2)
	v_cndmask_b32_e64 v25, v2, 0x78, vcc_lo
	v_and_b32_e32 v2, 0x7fffff, v14
	v_add_nc_u32_e32 v14, 20, v25
	s_delay_alu instid0(VALU_DEP_2) | instskip(SKIP_1) | instid1(VALU_DEP_3)
	v_or_b32_e32 v16, 0x800000, v2
	v_add_nc_u32_e32 v17, 19, v25
	v_lshlrev_b64_e64 v[14:15], v14, -1
	s_delay_alu instid0(VALU_DEP_3) | instskip(NEXT) | instid1(VALU_DEP_3)
	v_cndmask_b32_e32 v2, v16, v2, vcc_lo
	v_lshlrev_b64_e64 v[16:17], v17, 1
	s_delay_alu instid0(VALU_DEP_3) | instskip(NEXT) | instid1(VALU_DEP_3)
	v_bfi_b32 v75, v15, 0, 0
	v_bfi_b32 v74, v14, 0, v2
	v_lshrrev_b64 v[14:15], v25, v[2:3]
	s_delay_alu instid0(VALU_DEP_2) | instskip(NEXT) | instid1(VALU_DEP_2)
	v_cmp_eq_u64_e64 s13, v[74:75], v[16:17]
	v_mov_b64_e32 v[16:17], v[14:15]
	s_and_saveexec_b32 s76, s13
; %bb.6800:                             ;   in Loop: Header=BB4_6312 Depth=3
	v_bfe_u32 v2, v14, 20, 1
	s_delay_alu instid0(VALU_DEP_1) | instskip(NEXT) | instid1(VALU_DEP_1)
	v_add_nc_u64_e32 v[16:17], v[14:15], v[2:3]
	v_add_nc_u64_e32 v[16:17], -1, v[16:17]
; %bb.6801:                             ;   in Loop: Header=BB4_6312 Depth=3
	s_or_b32 exec_lo, exec_lo, s76
	v_add_nc_u32_e32 v2, 0xffffff81, v24
	v_lshrrev_b32_e32 v15, 23, v14
	s_mov_b32 s13, exec_lo
	s_delay_alu instid0(VALU_DEP_2) | instskip(NEXT) | instid1(VALU_DEP_1)
	v_cndmask_b32_e64 v2, v2, 0xffffff82, vcc_lo
	v_add3_u32 v17, v25, v2, v15
	v_and_b32_e32 v2, 0xfffff, v16
                                        ; implicit-def: $vgpr16
	s_delay_alu instid0(VALU_DEP_1) | instskip(NEXT) | instid1(VALU_DEP_1)
	v_dual_add_nc_u32 v24, 6, v17 :: v_dual_add_nc_u32 v2, v2, v14
                                        ; implicit-def: $vgpr14_vgpr15
	v_cmpx_ne_u32_e32 0, v24
	s_xor_b32 s13, exec_lo, s13
; %bb.6802:                             ;   in Loop: Header=BB4_6312 Depth=3
	s_delay_alu instid0(VALU_DEP_2) | instskip(SKIP_1) | instid1(VALU_DEP_1)
	v_cmp_lt_u64_e32 vcc_lo, 0xffffff, v[2:3]
	v_add_nc_u32_e32 v14, 7, v17
	v_cndmask_b32_e32 v16, v24, v14, vcc_lo
	v_cndmask_b32_e64 v14, 0, 1, vcc_lo
	s_delay_alu instid0(VALU_DEP_1)
	v_lshrrev_b64 v[14:15], v14, v[2:3]
; %bb.6803:                             ;   in Loop: Header=BB4_6312 Depth=3
	s_and_not1_saveexec_b32 s13, s13
; %bb.6804:                             ;   in Loop: Header=BB4_6312 Depth=3
	v_mov_b64_e32 v[14:15], v[2:3]
	v_bfe_u32 v16, v2, 23, 1
; %bb.6805:                             ;   in Loop: Header=BB4_6312 Depth=3
	s_or_b32 exec_lo, exec_lo, s13
	s_delay_alu instid0(VALU_DEP_2) | instskip(NEXT) | instid1(VALU_DEP_2)
	v_lshrrev_b64 v[14:15], 20, v[14:15]
	v_cmp_gt_i32_e32 vcc_lo, 16, v16
	v_cmp_ne_u32_e64 s13, 0, v16
                                        ; implicit-def: $vgpr28
	s_delay_alu instid0(VALU_DEP_3) | instskip(NEXT) | instid1(VALU_DEP_1)
	v_dual_cndmask_b32 v15, 0, v15 :: v_dual_cndmask_b32 v14, 7, v14
	v_cmp_ne_u64_e32 vcc_lo, 0, v[14:15]
	s_or_b32 s13, s13, vcc_lo
	s_delay_alu instid0(SALU_CYCLE_1) | instskip(NEXT) | instid1(SALU_CYCLE_1)
	s_and_saveexec_b32 s76, s13
	s_xor_b32 s13, exec_lo, s76
; %bb.6806:                             ;   in Loop: Header=BB4_6312 Depth=3
	v_min_i32_e32 v2, 15, v16
	s_delay_alu instid0(VALU_DEP_1) | instskip(NEXT) | instid1(VALU_DEP_1)
	v_lshl_or_b32 v2, v2, 3, v29
                                        ; implicit-def: $vgpr29
	v_and_or_b32 v28, v14, 7, v2
; %bb.6807:                             ;   in Loop: Header=BB4_6312 Depth=3
	s_and_not1_saveexec_b32 s13, s13
; %bb.6808:                             ;   in Loop: Header=BB4_6312 Depth=3
	v_mov_b32_e32 v28, v29
; %bb.6809:                             ;   in Loop: Header=BB4_6312 Depth=3
	s_or_b32 exec_lo, exec_lo, s13
.LBB4_6810:                             ;   in Loop: Header=BB4_6312 Depth=3
	s_delay_alu instid0(SALU_CYCLE_1)
	s_or_b32 exec_lo, exec_lo, s75
                                        ; implicit-def: $vgpr29
.LBB4_6811:                             ;   in Loop: Header=BB4_6312 Depth=3
	s_and_not1_saveexec_b32 s13, s74
; %bb.6812:                             ;   in Loop: Header=BB4_6312 Depth=3
	v_or_b32_e32 v28, 0x7e, v29
; %bb.6813:                             ;   in Loop: Header=BB4_6312 Depth=3
	s_or_b32 exec_lo, exec_lo, s13
                                        ; implicit-def: $vgpr14
.LBB4_6814:                             ;   in Loop: Header=BB4_6312 Depth=3
	s_and_not1_saveexec_b32 s13, s45
; %bb.6815:                             ;   in Loop: Header=BB4_6312 Depth=3
	v_lshrrev_b32_e32 v2, 24, v14
	s_delay_alu instid0(VALU_DEP_1)
	v_or_b32_e32 v28, 0x7f, v2
; %bb.6816:                             ;   in Loop: Header=BB4_6312 Depth=3
	s_or_b32 exec_lo, exec_lo, s13
	v_and_b32_e32 v2, 0xff, v57
	v_dual_mov_b32 v16, 0 :: v_dual_mov_b32 v17, 0
	s_mov_b32 s13, exec_lo
	s_delay_alu instid0(VALU_DEP_2)
	v_cmpx_ne_u16_e32 0, v2
	s_cbranch_execz .LBB4_6824
; %bb.6817:                             ;   in Loop: Header=BB4_6312 Depth=3
	v_bfrev_b32_e32 v17, 1
	s_mov_b32 s45, exec_lo
	v_cmpx_ne_u16_e32 0x80, v2
	s_cbranch_execz .LBB4_6823
; %bb.6818:                             ;   in Loop: Header=BB4_6312 Depth=3
	v_and_b32_e32 v14, 0x7f, v57
	v_mov_b32_e32 v17, 0x7f800001
	s_mov_b32 s74, exec_lo
	s_delay_alu instid0(VALU_DEP_2)
	v_cmpx_ne_u32_e32 0x7f, v14
	s_cbranch_execz .LBB4_6822
; %bb.6819:                             ;   in Loop: Header=BB4_6312 Depth=3
	v_and_b32_e32 v2, 7, v2
	v_lshrrev_b32_e32 v17, 3, v14
	v_cmp_gt_u32_e32 vcc_lo, 8, v14
	s_delay_alu instid0(VALU_DEP_3)
	v_mov_b64_e32 v[14:15], v[2:3]
	s_and_saveexec_b32 s75, vcc_lo
; %bb.6820:                             ;   in Loop: Header=BB4_6312 Depth=3
	v_clz_i32_u32_e32 v14, v2
	s_delay_alu instid0(VALU_DEP_1) | instskip(NEXT) | instid1(VALU_DEP_1)
	v_min_u32_e32 v17, 32, v14
	v_subrev_nc_u32_e32 v14, 28, v17
	s_delay_alu instid0(VALU_DEP_1) | instskip(NEXT) | instid1(VALU_DEP_1)
	v_lshlrev_b64_e32 v[14:15], v14, v[2:3]
	v_dual_sub_nc_u32 v17, 29, v17 :: v_dual_bitop2_b32 v14, 7, v14 bitop3:0x40
; %bb.6821:                             ;   in Loop: Header=BB4_6312 Depth=3
	s_or_b32 exec_lo, exec_lo, s75
	s_delay_alu instid0(VALU_DEP_1) | instskip(NEXT) | instid1(VALU_DEP_2)
	v_dual_lshlrev_b32 v2, 24, v57 :: v_dual_lshlrev_b32 v14, 20, v14
	v_lshl_add_u32 v15, v17, 23, 0x3c000000
	s_delay_alu instid0(VALU_DEP_2) | instskip(NEXT) | instid1(VALU_DEP_1)
	v_and_b32_e32 v2, 0x80000000, v2
	v_or3_b32 v17, v14, v2, v15
.LBB4_6822:                             ;   in Loop: Header=BB4_6312 Depth=3
	s_or_b32 exec_lo, exec_lo, s74
.LBB4_6823:                             ;   in Loop: Header=BB4_6312 Depth=3
	s_delay_alu instid0(SALU_CYCLE_1)
	s_or_b32 exec_lo, exec_lo, s45
.LBB4_6824:                             ;   in Loop: Header=BB4_6312 Depth=3
	s_delay_alu instid0(SALU_CYCLE_1) | instskip(SKIP_3) | instid1(VALU_DEP_1)
	s_or_b32 exec_lo, exec_lo, s13
	s_wait_loadcnt_dscnt 0x101
	v_and_b32_e32 v2, 0xff, v47
	s_mov_b32 s13, exec_lo
	v_cmpx_ne_u16_e32 0, v2
	s_cbranch_execz .LBB4_6832
; %bb.6825:                             ;   in Loop: Header=BB4_6312 Depth=3
	v_bfrev_b32_e32 v16, 1
	s_mov_b32 s45, exec_lo
	v_cmpx_ne_u16_e32 0x80, v2
	s_cbranch_execz .LBB4_6831
; %bb.6826:                             ;   in Loop: Header=BB4_6312 Depth=3
	v_and_b32_e32 v14, 0x7f, v47
	v_mov_b32_e32 v16, 0x7f800001
	s_mov_b32 s74, exec_lo
	s_delay_alu instid0(VALU_DEP_2)
	v_cmpx_ne_u32_e32 0x7f, v14
	s_cbranch_execz .LBB4_6830
; %bb.6827:                             ;   in Loop: Header=BB4_6312 Depth=3
	v_and_b32_e32 v2, 7, v2
	v_lshrrev_b32_e32 v16, 3, v14
	v_cmp_gt_u32_e32 vcc_lo, 8, v14
	s_delay_alu instid0(VALU_DEP_3)
	v_mov_b64_e32 v[14:15], v[2:3]
	s_and_saveexec_b32 s75, vcc_lo
; %bb.6828:                             ;   in Loop: Header=BB4_6312 Depth=3
	v_clz_i32_u32_e32 v14, v2
	s_delay_alu instid0(VALU_DEP_1) | instskip(NEXT) | instid1(VALU_DEP_1)
	v_min_u32_e32 v16, 32, v14
	v_subrev_nc_u32_e32 v14, 28, v16
	s_delay_alu instid0(VALU_DEP_1) | instskip(NEXT) | instid1(VALU_DEP_1)
	v_lshlrev_b64_e32 v[14:15], v14, v[2:3]
	v_dual_sub_nc_u32 v16, 29, v16 :: v_dual_bitop2_b32 v14, 7, v14 bitop3:0x40
; %bb.6829:                             ;   in Loop: Header=BB4_6312 Depth=3
	s_or_b32 exec_lo, exec_lo, s75
	s_delay_alu instid0(VALU_DEP_1) | instskip(NEXT) | instid1(VALU_DEP_2)
	v_dual_lshlrev_b32 v2, 24, v47 :: v_dual_lshlrev_b32 v14, 20, v14
	v_lshl_add_u32 v15, v16, 23, 0x3c000000
	s_delay_alu instid0(VALU_DEP_2) | instskip(NEXT) | instid1(VALU_DEP_1)
	v_and_b32_e32 v2, 0x80000000, v2
	v_or3_b32 v16, v14, v2, v15
.LBB4_6830:                             ;   in Loop: Header=BB4_6312 Depth=3
	s_or_b32 exec_lo, exec_lo, s74
.LBB4_6831:                             ;   in Loop: Header=BB4_6312 Depth=3
	s_delay_alu instid0(SALU_CYCLE_1)
	s_or_b32 exec_lo, exec_lo, s45
.LBB4_6832:                             ;   in Loop: Header=BB4_6312 Depth=3
	s_delay_alu instid0(SALU_CYCLE_1) | instskip(NEXT) | instid1(VALU_DEP_1)
	s_or_b32 exec_lo, exec_lo, s13
	v_add_f32_e32 v14, v17, v16
                                        ; implicit-def: $vgpr29
	s_mov_b32 s13, exec_lo
	s_delay_alu instid0(VALU_DEP_1) | instskip(NEXT) | instid1(VALU_DEP_1)
	v_and_b32_e32 v2, 0x7f800000, v14
	v_cmpx_ne_u64_e32 0x7f800000, v[2:3]
	s_xor_b32 s45, exec_lo, s13
	s_cbranch_execz .LBB4_6850
; %bb.6833:                             ;   in Loop: Header=BB4_6312 Depth=3
	v_lshrrev_b32_e32 v15, 24, v14
	v_and_b32_e32 v2, 0x7fffffff, v14
                                        ; implicit-def: $vgpr29
	s_mov_b32 s13, exec_lo
	s_delay_alu instid0(VALU_DEP_2) | instskip(NEXT) | instid1(VALU_DEP_2)
	v_and_b32_e32 v47, 0x80, v15
	v_cmpx_gt_u64_e32 0x43e00001, v[2:3]
	s_xor_b32 s74, exec_lo, s13
	s_cbranch_execz .LBB4_6847
; %bb.6834:                             ;   in Loop: Header=BB4_6312 Depth=3
	v_mov_b32_e32 v29, 0
	s_mov_b32 s75, exec_lo
	v_cmpx_ne_u32_e32 0, v14
	s_cbranch_execz .LBB4_6846
; %bb.6835:                             ;   in Loop: Header=BB4_6312 Depth=3
	v_bfe_u32 v24, v14, 23, 8
	s_delay_alu instid0(VALU_DEP_1) | instskip(SKIP_1) | instid1(VALU_DEP_2)
	v_sub_nc_u32_e32 v2, 0x79, v24
	v_cmp_gt_u32_e32 vcc_lo, 0x7a, v24
	v_cndmask_b32_e32 v2, 0, v2, vcc_lo
	v_cmp_eq_u32_e32 vcc_lo, 0, v24
	s_delay_alu instid0(VALU_DEP_2) | instskip(SKIP_1) | instid1(VALU_DEP_2)
	v_cndmask_b32_e64 v25, v2, 0x78, vcc_lo
	v_and_b32_e32 v2, 0x7fffff, v14
	v_add_nc_u32_e32 v14, 20, v25
	s_delay_alu instid0(VALU_DEP_2) | instskip(SKIP_1) | instid1(VALU_DEP_3)
	v_or_b32_e32 v16, 0x800000, v2
	v_add_nc_u32_e32 v17, 19, v25
	v_lshlrev_b64_e64 v[14:15], v14, -1
	s_delay_alu instid0(VALU_DEP_3) | instskip(NEXT) | instid1(VALU_DEP_3)
	v_cndmask_b32_e32 v2, v16, v2, vcc_lo
	v_lshlrev_b64_e64 v[16:17], v17, 1
	s_delay_alu instid0(VALU_DEP_3) | instskip(NEXT) | instid1(VALU_DEP_3)
	v_bfi_b32 v75, v15, 0, 0
	v_bfi_b32 v74, v14, 0, v2
	v_lshrrev_b64 v[14:15], v25, v[2:3]
	s_delay_alu instid0(VALU_DEP_2) | instskip(NEXT) | instid1(VALU_DEP_2)
	v_cmp_eq_u64_e64 s13, v[74:75], v[16:17]
	v_mov_b64_e32 v[16:17], v[14:15]
	s_and_saveexec_b32 s76, s13
; %bb.6836:                             ;   in Loop: Header=BB4_6312 Depth=3
	v_bfe_u32 v2, v14, 20, 1
	s_delay_alu instid0(VALU_DEP_1) | instskip(NEXT) | instid1(VALU_DEP_1)
	v_add_nc_u64_e32 v[16:17], v[14:15], v[2:3]
	v_add_nc_u64_e32 v[16:17], -1, v[16:17]
; %bb.6837:                             ;   in Loop: Header=BB4_6312 Depth=3
	s_or_b32 exec_lo, exec_lo, s76
	v_add_nc_u32_e32 v2, 0xffffff81, v24
	v_lshrrev_b32_e32 v15, 23, v14
	s_mov_b32 s13, exec_lo
	s_delay_alu instid0(VALU_DEP_2) | instskip(NEXT) | instid1(VALU_DEP_1)
	v_cndmask_b32_e64 v2, v2, 0xffffff82, vcc_lo
	v_add3_u32 v17, v25, v2, v15
	v_and_b32_e32 v2, 0xfffff, v16
                                        ; implicit-def: $vgpr16
	s_delay_alu instid0(VALU_DEP_1) | instskip(NEXT) | instid1(VALU_DEP_1)
	v_dual_add_nc_u32 v24, 6, v17 :: v_dual_add_nc_u32 v2, v2, v14
                                        ; implicit-def: $vgpr14_vgpr15
	v_cmpx_ne_u32_e32 0, v24
	s_xor_b32 s13, exec_lo, s13
; %bb.6838:                             ;   in Loop: Header=BB4_6312 Depth=3
	s_delay_alu instid0(VALU_DEP_2) | instskip(SKIP_1) | instid1(VALU_DEP_1)
	v_cmp_lt_u64_e32 vcc_lo, 0xffffff, v[2:3]
	v_add_nc_u32_e32 v14, 7, v17
	v_cndmask_b32_e32 v16, v24, v14, vcc_lo
	v_cndmask_b32_e64 v14, 0, 1, vcc_lo
	s_delay_alu instid0(VALU_DEP_1)
	v_lshrrev_b64 v[14:15], v14, v[2:3]
; %bb.6839:                             ;   in Loop: Header=BB4_6312 Depth=3
	s_and_not1_saveexec_b32 s13, s13
; %bb.6840:                             ;   in Loop: Header=BB4_6312 Depth=3
	v_mov_b64_e32 v[14:15], v[2:3]
	v_bfe_u32 v16, v2, 23, 1
; %bb.6841:                             ;   in Loop: Header=BB4_6312 Depth=3
	s_or_b32 exec_lo, exec_lo, s13
	s_delay_alu instid0(VALU_DEP_2) | instskip(NEXT) | instid1(VALU_DEP_2)
	v_lshrrev_b64 v[14:15], 20, v[14:15]
	v_cmp_gt_i32_e32 vcc_lo, 16, v16
	v_cmp_ne_u32_e64 s13, 0, v16
                                        ; implicit-def: $vgpr29
	s_delay_alu instid0(VALU_DEP_3) | instskip(NEXT) | instid1(VALU_DEP_1)
	v_dual_cndmask_b32 v15, 0, v15 :: v_dual_cndmask_b32 v14, 7, v14
	v_cmp_ne_u64_e32 vcc_lo, 0, v[14:15]
	s_or_b32 s13, s13, vcc_lo
	s_delay_alu instid0(SALU_CYCLE_1) | instskip(NEXT) | instid1(SALU_CYCLE_1)
	s_and_saveexec_b32 s76, s13
	s_xor_b32 s13, exec_lo, s76
; %bb.6842:                             ;   in Loop: Header=BB4_6312 Depth=3
	v_min_i32_e32 v2, 15, v16
	s_delay_alu instid0(VALU_DEP_1) | instskip(NEXT) | instid1(VALU_DEP_1)
	v_lshl_or_b32 v2, v2, 3, v47
                                        ; implicit-def: $vgpr47
	v_and_or_b32 v29, v14, 7, v2
; %bb.6843:                             ;   in Loop: Header=BB4_6312 Depth=3
	s_and_not1_saveexec_b32 s13, s13
; %bb.6844:                             ;   in Loop: Header=BB4_6312 Depth=3
	v_mov_b32_e32 v29, v47
; %bb.6845:                             ;   in Loop: Header=BB4_6312 Depth=3
	s_or_b32 exec_lo, exec_lo, s13
.LBB4_6846:                             ;   in Loop: Header=BB4_6312 Depth=3
	s_delay_alu instid0(SALU_CYCLE_1)
	s_or_b32 exec_lo, exec_lo, s75
                                        ; implicit-def: $vgpr47
.LBB4_6847:                             ;   in Loop: Header=BB4_6312 Depth=3
	s_and_not1_saveexec_b32 s13, s74
; %bb.6848:                             ;   in Loop: Header=BB4_6312 Depth=3
	v_or_b32_e32 v29, 0x7e, v47
; %bb.6849:                             ;   in Loop: Header=BB4_6312 Depth=3
	s_or_b32 exec_lo, exec_lo, s13
                                        ; implicit-def: $vgpr14
.LBB4_6850:                             ;   in Loop: Header=BB4_6312 Depth=3
	s_and_not1_saveexec_b32 s13, s45
; %bb.6851:                             ;   in Loop: Header=BB4_6312 Depth=3
	v_lshrrev_b32_e32 v2, 24, v14
	s_delay_alu instid0(VALU_DEP_1)
	v_or_b32_e32 v29, 0x7f, v2
; %bb.6852:                             ;   in Loop: Header=BB4_6312 Depth=3
	s_or_b32 exec_lo, exec_lo, s13
	v_and_b32_e32 v2, 0xff, v46
	v_dual_mov_b32 v16, 0 :: v_dual_mov_b32 v17, 0
	s_mov_b32 s13, exec_lo
	s_delay_alu instid0(VALU_DEP_2)
	v_cmpx_ne_u16_e32 0, v2
	s_cbranch_execz .LBB4_6860
; %bb.6853:                             ;   in Loop: Header=BB4_6312 Depth=3
	v_bfrev_b32_e32 v17, 1
	s_mov_b32 s45, exec_lo
	v_cmpx_ne_u16_e32 0x80, v2
	s_cbranch_execz .LBB4_6859
; %bb.6854:                             ;   in Loop: Header=BB4_6312 Depth=3
	v_and_b32_e32 v14, 0x7f, v46
	v_mov_b32_e32 v17, 0x7f800001
	s_mov_b32 s74, exec_lo
	s_delay_alu instid0(VALU_DEP_2)
	v_cmpx_ne_u32_e32 0x7f, v14
	s_cbranch_execz .LBB4_6858
; %bb.6855:                             ;   in Loop: Header=BB4_6312 Depth=3
	v_and_b32_e32 v2, 7, v2
	v_lshrrev_b32_e32 v17, 3, v14
	v_cmp_gt_u32_e32 vcc_lo, 8, v14
	s_delay_alu instid0(VALU_DEP_3)
	v_mov_b64_e32 v[14:15], v[2:3]
	s_and_saveexec_b32 s75, vcc_lo
; %bb.6856:                             ;   in Loop: Header=BB4_6312 Depth=3
	v_clz_i32_u32_e32 v14, v2
	s_delay_alu instid0(VALU_DEP_1) | instskip(NEXT) | instid1(VALU_DEP_1)
	v_min_u32_e32 v17, 32, v14
	v_subrev_nc_u32_e32 v14, 28, v17
	s_delay_alu instid0(VALU_DEP_1) | instskip(NEXT) | instid1(VALU_DEP_1)
	v_lshlrev_b64_e32 v[14:15], v14, v[2:3]
	v_dual_sub_nc_u32 v17, 29, v17 :: v_dual_bitop2_b32 v14, 7, v14 bitop3:0x40
; %bb.6857:                             ;   in Loop: Header=BB4_6312 Depth=3
	s_or_b32 exec_lo, exec_lo, s75
	v_lshlrev_b32_e32 v2, 24, v46
	s_delay_alu instid0(VALU_DEP_2) | instskip(NEXT) | instid1(VALU_DEP_3)
	v_lshlrev_b32_e32 v14, 20, v14
	v_lshl_add_u32 v15, v17, 23, 0x3c000000
	s_delay_alu instid0(VALU_DEP_3) | instskip(NEXT) | instid1(VALU_DEP_1)
	v_and_b32_e32 v2, 0x80000000, v2
	v_or3_b32 v17, v14, v2, v15
.LBB4_6858:                             ;   in Loop: Header=BB4_6312 Depth=3
	s_or_b32 exec_lo, exec_lo, s74
.LBB4_6859:                             ;   in Loop: Header=BB4_6312 Depth=3
	s_delay_alu instid0(SALU_CYCLE_1)
	s_or_b32 exec_lo, exec_lo, s45
.LBB4_6860:                             ;   in Loop: Header=BB4_6312 Depth=3
	s_delay_alu instid0(SALU_CYCLE_1) | instskip(SKIP_3) | instid1(VALU_DEP_1)
	s_or_b32 exec_lo, exec_lo, s13
	s_wait_loadcnt_dscnt 0x0
	v_and_b32_e32 v2, 0xff, v23
	s_mov_b32 s13, exec_lo
	v_cmpx_ne_u16_e32 0, v2
	s_cbranch_execz .LBB4_6868
; %bb.6861:                             ;   in Loop: Header=BB4_6312 Depth=3
	v_bfrev_b32_e32 v16, 1
	s_mov_b32 s45, exec_lo
	v_cmpx_ne_u16_e32 0x80, v2
	s_cbranch_execz .LBB4_6867
; %bb.6862:                             ;   in Loop: Header=BB4_6312 Depth=3
	v_and_b32_e32 v14, 0x7f, v23
	v_mov_b32_e32 v16, 0x7f800001
	s_mov_b32 s74, exec_lo
	s_delay_alu instid0(VALU_DEP_2)
	v_cmpx_ne_u32_e32 0x7f, v14
	s_cbranch_execz .LBB4_6866
; %bb.6863:                             ;   in Loop: Header=BB4_6312 Depth=3
	v_and_b32_e32 v2, 7, v2
	v_lshrrev_b32_e32 v16, 3, v14
	v_cmp_gt_u32_e32 vcc_lo, 8, v14
	s_delay_alu instid0(VALU_DEP_3)
	v_mov_b64_e32 v[14:15], v[2:3]
	s_and_saveexec_b32 s75, vcc_lo
; %bb.6864:                             ;   in Loop: Header=BB4_6312 Depth=3
	v_clz_i32_u32_e32 v14, v2
	s_delay_alu instid0(VALU_DEP_1) | instskip(NEXT) | instid1(VALU_DEP_1)
	v_min_u32_e32 v16, 32, v14
	v_subrev_nc_u32_e32 v14, 28, v16
	s_delay_alu instid0(VALU_DEP_1) | instskip(NEXT) | instid1(VALU_DEP_1)
	v_lshlrev_b64_e32 v[14:15], v14, v[2:3]
	v_dual_sub_nc_u32 v16, 29, v16 :: v_dual_bitop2_b32 v14, 7, v14 bitop3:0x40
; %bb.6865:                             ;   in Loop: Header=BB4_6312 Depth=3
	s_or_b32 exec_lo, exec_lo, s75
	s_delay_alu instid0(VALU_DEP_1) | instskip(NEXT) | instid1(VALU_DEP_2)
	v_dual_lshlrev_b32 v2, 24, v23 :: v_dual_lshlrev_b32 v14, 20, v14
	v_lshl_add_u32 v15, v16, 23, 0x3c000000
	s_delay_alu instid0(VALU_DEP_2) | instskip(NEXT) | instid1(VALU_DEP_1)
	v_and_b32_e32 v2, 0x80000000, v2
	v_or3_b32 v16, v14, v2, v15
.LBB4_6866:                             ;   in Loop: Header=BB4_6312 Depth=3
	s_or_b32 exec_lo, exec_lo, s74
.LBB4_6867:                             ;   in Loop: Header=BB4_6312 Depth=3
	s_delay_alu instid0(SALU_CYCLE_1)
	s_or_b32 exec_lo, exec_lo, s45
.LBB4_6868:                             ;   in Loop: Header=BB4_6312 Depth=3
	s_delay_alu instid0(SALU_CYCLE_1) | instskip(NEXT) | instid1(VALU_DEP_1)
	s_or_b32 exec_lo, exec_lo, s13
	v_add_f32_e32 v14, v17, v16
	s_delay_alu instid0(VALU_DEP_1) | instskip(NEXT) | instid1(VALU_DEP_1)
	v_and_b32_e32 v2, 0x7f800000, v14
	v_cmp_ne_u64_e32 vcc_lo, 0x7f800000, v[2:3]
                                        ; implicit-def: $vgpr2
	s_and_saveexec_b32 s13, vcc_lo
	s_delay_alu instid0(SALU_CYCLE_1)
	s_xor_b32 s45, exec_lo, s13
	s_cbranch_execz .LBB4_6886
; %bb.6869:                             ;   in Loop: Header=BB4_6312 Depth=3
	v_and_b32_e32 v2, 0x7fffffff, v14
	v_lshrrev_b32_e32 v15, 24, v14
	s_delay_alu instid0(VALU_DEP_2) | instskip(NEXT) | instid1(VALU_DEP_2)
	v_cmp_gt_u64_e32 vcc_lo, 0x43e00001, v[2:3]
	v_and_b32_e32 v23, 0x80, v15
                                        ; implicit-def: $vgpr2
	s_and_saveexec_b32 s13, vcc_lo
	s_delay_alu instid0(SALU_CYCLE_1)
	s_xor_b32 s74, exec_lo, s13
	s_cbranch_execz .LBB4_6883
; %bb.6870:                             ;   in Loop: Header=BB4_6312 Depth=3
	v_mov_b32_e32 v2, 0
	s_mov_b32 s75, exec_lo
	v_cmpx_ne_u32_e32 0, v14
	s_cbranch_execz .LBB4_6882
; %bb.6871:                             ;   in Loop: Header=BB4_6312 Depth=3
	v_bfe_u32 v24, v14, 23, 8
	s_delay_alu instid0(VALU_DEP_1) | instskip(SKIP_1) | instid1(VALU_DEP_2)
	v_sub_nc_u32_e32 v2, 0x79, v24
	v_cmp_gt_u32_e32 vcc_lo, 0x7a, v24
	v_cndmask_b32_e32 v2, 0, v2, vcc_lo
	v_cmp_eq_u32_e32 vcc_lo, 0, v24
	s_delay_alu instid0(VALU_DEP_2) | instskip(SKIP_1) | instid1(VALU_DEP_2)
	v_cndmask_b32_e64 v25, v2, 0x78, vcc_lo
	v_and_b32_e32 v2, 0x7fffff, v14
	v_add_nc_u32_e32 v14, 20, v25
	s_delay_alu instid0(VALU_DEP_2) | instskip(SKIP_1) | instid1(VALU_DEP_3)
	v_or_b32_e32 v16, 0x800000, v2
	v_add_nc_u32_e32 v17, 19, v25
	v_lshlrev_b64_e64 v[14:15], v14, -1
	s_delay_alu instid0(VALU_DEP_3) | instskip(NEXT) | instid1(VALU_DEP_3)
	v_cndmask_b32_e32 v2, v16, v2, vcc_lo
	v_lshlrev_b64_e64 v[16:17], v17, 1
	s_delay_alu instid0(VALU_DEP_3) | instskip(NEXT) | instid1(VALU_DEP_3)
	v_bfi_b32 v47, v15, 0, 0
	v_bfi_b32 v46, v14, 0, v2
	v_lshrrev_b64 v[14:15], v25, v[2:3]
	s_delay_alu instid0(VALU_DEP_2) | instskip(NEXT) | instid1(VALU_DEP_2)
	v_cmp_eq_u64_e64 s13, v[46:47], v[16:17]
	v_mov_b64_e32 v[16:17], v[14:15]
	s_and_saveexec_b32 s76, s13
; %bb.6872:                             ;   in Loop: Header=BB4_6312 Depth=3
	v_bfe_u32 v2, v14, 20, 1
	s_delay_alu instid0(VALU_DEP_1) | instskip(NEXT) | instid1(VALU_DEP_1)
	v_add_nc_u64_e32 v[16:17], v[14:15], v[2:3]
	v_add_nc_u64_e32 v[16:17], -1, v[16:17]
; %bb.6873:                             ;   in Loop: Header=BB4_6312 Depth=3
	s_or_b32 exec_lo, exec_lo, s76
	v_add_nc_u32_e32 v2, 0xffffff81, v24
	v_lshrrev_b32_e32 v15, 23, v14
	s_mov_b32 s13, exec_lo
	s_delay_alu instid0(VALU_DEP_2) | instskip(NEXT) | instid1(VALU_DEP_1)
	v_cndmask_b32_e64 v2, v2, 0xffffff82, vcc_lo
	v_add3_u32 v17, v25, v2, v15
	v_and_b32_e32 v2, 0xfffff, v16
                                        ; implicit-def: $vgpr16
	s_delay_alu instid0(VALU_DEP_1) | instskip(NEXT) | instid1(VALU_DEP_1)
	v_dual_add_nc_u32 v24, 6, v17 :: v_dual_add_nc_u32 v2, v2, v14
                                        ; implicit-def: $vgpr14_vgpr15
	v_cmpx_ne_u32_e32 0, v24
	s_xor_b32 s13, exec_lo, s13
; %bb.6874:                             ;   in Loop: Header=BB4_6312 Depth=3
	s_delay_alu instid0(VALU_DEP_2) | instskip(SKIP_1) | instid1(VALU_DEP_1)
	v_cmp_lt_u64_e32 vcc_lo, 0xffffff, v[2:3]
	v_add_nc_u32_e32 v14, 7, v17
	v_cndmask_b32_e32 v16, v24, v14, vcc_lo
	v_cndmask_b32_e64 v14, 0, 1, vcc_lo
	s_delay_alu instid0(VALU_DEP_1)
	v_lshrrev_b64 v[14:15], v14, v[2:3]
; %bb.6875:                             ;   in Loop: Header=BB4_6312 Depth=3
	s_and_not1_saveexec_b32 s13, s13
; %bb.6876:                             ;   in Loop: Header=BB4_6312 Depth=3
	v_mov_b64_e32 v[14:15], v[2:3]
	v_bfe_u32 v16, v2, 23, 1
; %bb.6877:                             ;   in Loop: Header=BB4_6312 Depth=3
	s_or_b32 exec_lo, exec_lo, s13
	s_delay_alu instid0(VALU_DEP_2) | instskip(NEXT) | instid1(VALU_DEP_2)
	v_lshrrev_b64 v[14:15], 20, v[14:15]
	v_cmp_gt_i32_e32 vcc_lo, 16, v16
	v_cmp_ne_u32_e64 s13, 0, v16
                                        ; implicit-def: $vgpr2
	s_delay_alu instid0(VALU_DEP_3) | instskip(NEXT) | instid1(VALU_DEP_1)
	v_dual_cndmask_b32 v15, 0, v15 :: v_dual_cndmask_b32 v14, 7, v14
	v_cmp_ne_u64_e32 vcc_lo, 0, v[14:15]
	s_or_b32 s13, s13, vcc_lo
	s_delay_alu instid0(SALU_CYCLE_1) | instskip(NEXT) | instid1(SALU_CYCLE_1)
	s_and_saveexec_b32 s76, s13
	s_xor_b32 s13, exec_lo, s76
; %bb.6878:                             ;   in Loop: Header=BB4_6312 Depth=3
	v_min_i32_e32 v2, 15, v16
	s_delay_alu instid0(VALU_DEP_1) | instskip(NEXT) | instid1(VALU_DEP_1)
	v_lshl_or_b32 v2, v2, 3, v23
                                        ; implicit-def: $vgpr23
	v_and_or_b32 v2, v14, 7, v2
; %bb.6879:                             ;   in Loop: Header=BB4_6312 Depth=3
	s_and_not1_saveexec_b32 s13, s13
; %bb.6880:                             ;   in Loop: Header=BB4_6312 Depth=3
	v_mov_b32_e32 v2, v23
; %bb.6881:                             ;   in Loop: Header=BB4_6312 Depth=3
	s_or_b32 exec_lo, exec_lo, s13
.LBB4_6882:                             ;   in Loop: Header=BB4_6312 Depth=3
	s_delay_alu instid0(SALU_CYCLE_1)
	s_or_b32 exec_lo, exec_lo, s75
                                        ; implicit-def: $vgpr23
.LBB4_6883:                             ;   in Loop: Header=BB4_6312 Depth=3
	s_and_not1_saveexec_b32 s13, s74
; %bb.6884:                             ;   in Loop: Header=BB4_6312 Depth=3
	v_or_b32_e32 v2, 0x7e, v23
; %bb.6885:                             ;   in Loop: Header=BB4_6312 Depth=3
	s_or_b32 exec_lo, exec_lo, s13
                                        ; implicit-def: $vgpr14
.LBB4_6886:                             ;   in Loop: Header=BB4_6312 Depth=3
	s_and_not1_saveexec_b32 s13, s45
	s_cbranch_execz .LBB4_6311
; %bb.6887:                             ;   in Loop: Header=BB4_6312 Depth=3
	v_lshrrev_b32_e32 v2, 24, v14
	s_delay_alu instid0(VALU_DEP_1)
	v_or_b32_e32 v2, 0x7f, v2
	s_branch .LBB4_6311
.LBB4_6888:                             ;   in Loop: Header=BB4_2595 Depth=2
	s_or_b32 exec_lo, exec_lo, s44
.LBB4_6889:                             ;   in Loop: Header=BB4_2595 Depth=2
	s_delay_alu instid0(SALU_CYCLE_1) | instskip(SKIP_1) | instid1(VALU_DEP_1)
	s_or_b32 exec_lo, exec_lo, s15
	v_lshlrev_b32_e32 v2, 9, v22
	v_cmp_ne_u32_e32 vcc_lo, v19, v2
	s_and_b32 exec_lo, exec_lo, vcc_lo
	s_cbranch_execz .LBB4_6929
; %bb.6890:                             ;   in Loop: Header=BB4_2595 Depth=2
	v_dual_ashrrev_i32 v8, 31, v20 :: v_dual_lshlrev_b32 v9, 5, v21
	s_delay_alu instid0(VALU_DEP_1) | instskip(NEXT) | instid1(VALU_DEP_1)
	v_lshrrev_b32_e32 v8, 27, v8
	v_add_nc_u32_e32 v8, v20, v8
	s_delay_alu instid0(VALU_DEP_1) | instskip(NEXT) | instid1(VALU_DEP_1)
	v_and_b32_e32 v8, 0xffffffe0, v8
	v_sub_nc_u32_e32 v8, v20, v8
	s_delay_alu instid0(VALU_DEP_1) | instskip(NEXT) | instid1(VALU_DEP_1)
	v_sub_nc_u32_e32 v8, v8, v9
	v_add_nc_u32_e32 v2, v2, v8
	s_delay_alu instid0(VALU_DEP_1) | instskip(NEXT) | instid1(VALU_DEP_1)
	v_sub_nc_u32_e32 v19, v19, v2
	v_cmp_lt_i32_e32 vcc_lo, 0, v19
	s_and_b32 exec_lo, exec_lo, vcc_lo
	s_cbranch_execz .LBB4_6929
; %bb.6891:                             ;   in Loop: Header=BB4_2595 Depth=2
	s_trap 2
	ds_load_b128 v[8:11], v0
	ds_load_b64 v[12:13], v0
	v_add_nc_u32_e32 v14, v2, v18
	s_mov_b32 s15, 0
	s_delay_alu instid0(VALU_DEP_1) | instskip(SKIP_1) | instid1(VALU_DEP_1)
	v_ashrrev_i32_e32 v15, 31, v14
	s_wait_dscnt 0x1
	v_add_nc_u64_e32 v[8:9], v[8:9], v[14:15]
	v_add_nc_u64_e32 v[10:11], v[10:11], v[14:15]
	s_wait_dscnt 0x0
	v_add_nc_u64_e32 v[12:13], v[12:13], v[14:15]
	s_branch .LBB4_6893
.LBB4_6892:                             ;   in Loop: Header=BB4_6893 Depth=3
	s_or_b32 exec_lo, exec_lo, s13
	v_sub_nc_u32_e32 v19, v19, v54
	flat_store_b8 v[12:13], v2 th:TH_STORE_NT
	v_add_nc_u64_e32 v[8:9], v[8:9], v[54:55]
	v_add_nc_u64_e32 v[10:11], v[10:11], v[54:55]
	s_wait_xcnt 0x0
	v_add_nc_u64_e32 v[12:13], v[12:13], v[54:55]
	v_cmp_gt_i32_e32 vcc_lo, 1, v19
	s_or_b32 s15, vcc_lo, s15
	s_delay_alu instid0(SALU_CYCLE_1)
	s_and_not1_b32 exec_lo, exec_lo, s15
	s_cbranch_execz .LBB4_6929
.LBB4_6893:                             ;   Parent Loop BB4_47 Depth=1
                                        ;     Parent Loop BB4_2595 Depth=2
                                        ; =>    This Inner Loop Header: Depth=3
	flat_load_u8 v20, v[8:9] th:TH_LOAD_NT
	flat_load_u8 v16, v[10:11] th:TH_LOAD_NT
	v_dual_mov_b32 v17, 0 :: v_dual_mov_b32 v18, 0
	s_mov_b32 s13, exec_lo
	s_wait_loadcnt_dscnt 0x101
	s_wait_xcnt 0x0
	v_cmpx_ne_u16_e32 0, v20
	s_cbranch_execz .LBB4_6901
; %bb.6894:                             ;   in Loop: Header=BB4_6893 Depth=3
	v_bfrev_b32_e32 v18, 1
	s_mov_b32 s44, exec_lo
	v_cmpx_ne_u16_e32 0x80, v20
	s_cbranch_execz .LBB4_6900
; %bb.6895:                             ;   in Loop: Header=BB4_6893 Depth=3
	v_and_b32_e32 v2, 0xffff, v20
	v_mov_b32_e32 v18, 0x7f800001
	s_mov_b32 s45, exec_lo
	s_delay_alu instid0(VALU_DEP_2) | instskip(NEXT) | instid1(VALU_DEP_1)
	v_and_b32_e32 v14, 0x7f, v2
	v_cmpx_ne_u32_e32 0x7f, v14
	s_cbranch_execz .LBB4_6899
; %bb.6896:                             ;   in Loop: Header=BB4_6893 Depth=3
	v_and_b32_e32 v2, 7, v2
	v_lshrrev_b32_e32 v18, 3, v14
	v_cmp_gt_u32_e32 vcc_lo, 8, v14
	s_delay_alu instid0(VALU_DEP_3)
	v_mov_b64_e32 v[14:15], v[2:3]
	s_and_saveexec_b32 s74, vcc_lo
; %bb.6897:                             ;   in Loop: Header=BB4_6893 Depth=3
	v_clz_i32_u32_e32 v14, v2
	s_delay_alu instid0(VALU_DEP_1) | instskip(NEXT) | instid1(VALU_DEP_1)
	v_min_u32_e32 v18, 32, v14
	v_subrev_nc_u32_e32 v14, 28, v18
	v_sub_nc_u32_e32 v18, 29, v18
	s_delay_alu instid0(VALU_DEP_2) | instskip(NEXT) | instid1(VALU_DEP_1)
	v_lshlrev_b64_e32 v[14:15], v14, v[2:3]
	v_and_b32_e32 v14, 7, v14
; %bb.6898:                             ;   in Loop: Header=BB4_6893 Depth=3
	s_or_b32 exec_lo, exec_lo, s74
	s_delay_alu instid0(VALU_DEP_1) | instskip(SKIP_1) | instid1(VALU_DEP_2)
	v_dual_lshlrev_b32 v2, 24, v20 :: v_dual_lshlrev_b32 v14, 20, v14
	v_lshl_add_u32 v15, v18, 23, 0x3c000000
	v_and_b32_e32 v2, 0x80000000, v2
	s_delay_alu instid0(VALU_DEP_1)
	v_or3_b32 v18, v14, v2, v15
.LBB4_6899:                             ;   in Loop: Header=BB4_6893 Depth=3
	s_or_b32 exec_lo, exec_lo, s45
.LBB4_6900:                             ;   in Loop: Header=BB4_6893 Depth=3
	s_delay_alu instid0(SALU_CYCLE_1)
	s_or_b32 exec_lo, exec_lo, s44
.LBB4_6901:                             ;   in Loop: Header=BB4_6893 Depth=3
	s_delay_alu instid0(SALU_CYCLE_1) | instskip(SKIP_3) | instid1(VALU_DEP_1)
	s_or_b32 exec_lo, exec_lo, s13
	s_wait_loadcnt_dscnt 0x0
	v_and_b32_e32 v2, 0xff, v16
	s_mov_b32 s13, exec_lo
	v_cmpx_ne_u16_e32 0, v2
	s_cbranch_execz .LBB4_6909
; %bb.6902:                             ;   in Loop: Header=BB4_6893 Depth=3
	v_bfrev_b32_e32 v17, 1
	s_mov_b32 s44, exec_lo
	v_cmpx_ne_u16_e32 0x80, v2
	s_cbranch_execz .LBB4_6908
; %bb.6903:                             ;   in Loop: Header=BB4_6893 Depth=3
	v_and_b32_e32 v14, 0x7f, v16
	v_mov_b32_e32 v17, 0x7f800001
	s_mov_b32 s45, exec_lo
	s_delay_alu instid0(VALU_DEP_2)
	v_cmpx_ne_u32_e32 0x7f, v14
	s_cbranch_execz .LBB4_6907
; %bb.6904:                             ;   in Loop: Header=BB4_6893 Depth=3
	v_and_b32_e32 v2, 7, v2
	v_lshrrev_b32_e32 v17, 3, v14
	v_cmp_gt_u32_e32 vcc_lo, 8, v14
	s_delay_alu instid0(VALU_DEP_3)
	v_mov_b64_e32 v[14:15], v[2:3]
	s_and_saveexec_b32 s74, vcc_lo
; %bb.6905:                             ;   in Loop: Header=BB4_6893 Depth=3
	v_clz_i32_u32_e32 v14, v2
	s_delay_alu instid0(VALU_DEP_1) | instskip(NEXT) | instid1(VALU_DEP_1)
	v_min_u32_e32 v17, 32, v14
	v_subrev_nc_u32_e32 v14, 28, v17
	s_delay_alu instid0(VALU_DEP_1) | instskip(NEXT) | instid1(VALU_DEP_1)
	v_lshlrev_b64_e32 v[14:15], v14, v[2:3]
	v_dual_sub_nc_u32 v17, 29, v17 :: v_dual_bitop2_b32 v14, 7, v14 bitop3:0x40
; %bb.6906:                             ;   in Loop: Header=BB4_6893 Depth=3
	s_or_b32 exec_lo, exec_lo, s74
	s_delay_alu instid0(VALU_DEP_1) | instskip(NEXT) | instid1(VALU_DEP_2)
	v_dual_lshlrev_b32 v2, 24, v16 :: v_dual_lshlrev_b32 v14, 20, v14
	v_lshl_add_u32 v15, v17, 23, 0x3c000000
	s_delay_alu instid0(VALU_DEP_2) | instskip(NEXT) | instid1(VALU_DEP_1)
	v_and_b32_e32 v2, 0x80000000, v2
	v_or3_b32 v17, v14, v2, v15
.LBB4_6907:                             ;   in Loop: Header=BB4_6893 Depth=3
	s_or_b32 exec_lo, exec_lo, s45
.LBB4_6908:                             ;   in Loop: Header=BB4_6893 Depth=3
	s_delay_alu instid0(SALU_CYCLE_1)
	s_or_b32 exec_lo, exec_lo, s44
.LBB4_6909:                             ;   in Loop: Header=BB4_6893 Depth=3
	s_delay_alu instid0(SALU_CYCLE_1) | instskip(NEXT) | instid1(VALU_DEP_1)
	s_or_b32 exec_lo, exec_lo, s13
	v_add_f32_e32 v14, v18, v17
	s_delay_alu instid0(VALU_DEP_1) | instskip(NEXT) | instid1(VALU_DEP_1)
	v_and_b32_e32 v2, 0x7f800000, v14
	v_cmp_ne_u64_e32 vcc_lo, 0x7f800000, v[2:3]
                                        ; implicit-def: $vgpr2
	s_and_saveexec_b32 s13, vcc_lo
	s_delay_alu instid0(SALU_CYCLE_1)
	s_xor_b32 s44, exec_lo, s13
	s_cbranch_execz .LBB4_6927
; %bb.6910:                             ;   in Loop: Header=BB4_6893 Depth=3
	v_and_b32_e32 v2, 0x7fffffff, v14
	v_lshrrev_b32_e32 v15, 24, v14
	s_delay_alu instid0(VALU_DEP_2) | instskip(NEXT) | instid1(VALU_DEP_2)
	v_cmp_gt_u64_e32 vcc_lo, 0x43e00001, v[2:3]
	v_and_b32_e32 v18, 0x80, v15
                                        ; implicit-def: $vgpr2
	s_and_saveexec_b32 s13, vcc_lo
	s_delay_alu instid0(SALU_CYCLE_1)
	s_xor_b32 s45, exec_lo, s13
	s_cbranch_execz .LBB4_6924
; %bb.6911:                             ;   in Loop: Header=BB4_6893 Depth=3
	v_mov_b32_e32 v2, 0
	s_mov_b32 s74, exec_lo
	v_cmpx_ne_u32_e32 0, v14
	s_cbranch_execz .LBB4_6923
; %bb.6912:                             ;   in Loop: Header=BB4_6893 Depth=3
	v_bfe_u32 v20, v14, 23, 8
	s_delay_alu instid0(VALU_DEP_1) | instskip(SKIP_1) | instid1(VALU_DEP_2)
	v_sub_nc_u32_e32 v2, 0x79, v20
	v_cmp_gt_u32_e32 vcc_lo, 0x7a, v20
	v_cndmask_b32_e32 v2, 0, v2, vcc_lo
	v_cmp_eq_u32_e32 vcc_lo, 0, v20
	s_delay_alu instid0(VALU_DEP_2) | instskip(SKIP_1) | instid1(VALU_DEP_2)
	v_cndmask_b32_e64 v21, v2, 0x78, vcc_lo
	v_and_b32_e32 v2, 0x7fffff, v14
	v_add_nc_u32_e32 v14, 20, v21
	s_delay_alu instid0(VALU_DEP_2) | instskip(SKIP_1) | instid1(VALU_DEP_3)
	v_or_b32_e32 v16, 0x800000, v2
	v_add_nc_u32_e32 v17, 19, v21
	v_lshlrev_b64_e64 v[14:15], v14, -1
	s_delay_alu instid0(VALU_DEP_3) | instskip(NEXT) | instid1(VALU_DEP_3)
	v_cndmask_b32_e32 v2, v16, v2, vcc_lo
	v_lshlrev_b64_e64 v[16:17], v17, 1
	s_delay_alu instid0(VALU_DEP_3) | instskip(NEXT) | instid1(VALU_DEP_3)
	v_bfi_b32 v23, v15, 0, 0
	v_bfi_b32 v22, v14, 0, v2
	v_lshrrev_b64 v[14:15], v21, v[2:3]
	s_delay_alu instid0(VALU_DEP_2) | instskip(NEXT) | instid1(VALU_DEP_2)
	v_cmp_eq_u64_e64 s13, v[22:23], v[16:17]
	v_mov_b64_e32 v[16:17], v[14:15]
	s_and_saveexec_b32 s75, s13
; %bb.6913:                             ;   in Loop: Header=BB4_6893 Depth=3
	v_bfe_u32 v2, v14, 20, 1
	s_delay_alu instid0(VALU_DEP_1) | instskip(NEXT) | instid1(VALU_DEP_1)
	v_add_nc_u64_e32 v[16:17], v[14:15], v[2:3]
	v_add_nc_u64_e32 v[16:17], -1, v[16:17]
; %bb.6914:                             ;   in Loop: Header=BB4_6893 Depth=3
	s_or_b32 exec_lo, exec_lo, s75
	v_add_nc_u32_e32 v2, 0xffffff81, v20
	v_lshrrev_b32_e32 v15, 23, v14
	s_mov_b32 s13, exec_lo
	s_delay_alu instid0(VALU_DEP_2) | instskip(NEXT) | instid1(VALU_DEP_1)
	v_cndmask_b32_e64 v2, v2, 0xffffff82, vcc_lo
	v_add3_u32 v17, v21, v2, v15
	v_and_b32_e32 v2, 0xfffff, v16
                                        ; implicit-def: $vgpr16
	s_delay_alu instid0(VALU_DEP_1) | instskip(NEXT) | instid1(VALU_DEP_1)
	v_dual_add_nc_u32 v20, 6, v17 :: v_dual_add_nc_u32 v2, v2, v14
                                        ; implicit-def: $vgpr14_vgpr15
	v_cmpx_ne_u32_e32 0, v20
	s_xor_b32 s13, exec_lo, s13
; %bb.6915:                             ;   in Loop: Header=BB4_6893 Depth=3
	s_delay_alu instid0(VALU_DEP_2) | instskip(SKIP_1) | instid1(VALU_DEP_1)
	v_cmp_lt_u64_e32 vcc_lo, 0xffffff, v[2:3]
	v_add_nc_u32_e32 v14, 7, v17
	v_cndmask_b32_e32 v16, v20, v14, vcc_lo
	v_cndmask_b32_e64 v14, 0, 1, vcc_lo
	s_delay_alu instid0(VALU_DEP_1)
	v_lshrrev_b64 v[14:15], v14, v[2:3]
; %bb.6916:                             ;   in Loop: Header=BB4_6893 Depth=3
	s_and_not1_saveexec_b32 s13, s13
; %bb.6917:                             ;   in Loop: Header=BB4_6893 Depth=3
	v_mov_b64_e32 v[14:15], v[2:3]
	v_bfe_u32 v16, v2, 23, 1
; %bb.6918:                             ;   in Loop: Header=BB4_6893 Depth=3
	s_or_b32 exec_lo, exec_lo, s13
	s_delay_alu instid0(VALU_DEP_2) | instskip(NEXT) | instid1(VALU_DEP_2)
	v_lshrrev_b64 v[14:15], 20, v[14:15]
	v_cmp_gt_i32_e32 vcc_lo, 16, v16
	v_cmp_ne_u32_e64 s13, 0, v16
                                        ; implicit-def: $vgpr2
	s_delay_alu instid0(VALU_DEP_3) | instskip(NEXT) | instid1(VALU_DEP_1)
	v_dual_cndmask_b32 v15, 0, v15 :: v_dual_cndmask_b32 v14, 7, v14
	v_cmp_ne_u64_e32 vcc_lo, 0, v[14:15]
	s_or_b32 s13, s13, vcc_lo
	s_delay_alu instid0(SALU_CYCLE_1) | instskip(NEXT) | instid1(SALU_CYCLE_1)
	s_and_saveexec_b32 s75, s13
	s_xor_b32 s13, exec_lo, s75
; %bb.6919:                             ;   in Loop: Header=BB4_6893 Depth=3
	v_min_i32_e32 v2, 15, v16
	s_delay_alu instid0(VALU_DEP_1) | instskip(NEXT) | instid1(VALU_DEP_1)
	v_lshl_or_b32 v2, v2, 3, v18
                                        ; implicit-def: $vgpr18
	v_and_or_b32 v2, v14, 7, v2
; %bb.6920:                             ;   in Loop: Header=BB4_6893 Depth=3
	s_and_not1_saveexec_b32 s13, s13
; %bb.6921:                             ;   in Loop: Header=BB4_6893 Depth=3
	v_mov_b32_e32 v2, v18
; %bb.6922:                             ;   in Loop: Header=BB4_6893 Depth=3
	s_or_b32 exec_lo, exec_lo, s13
.LBB4_6923:                             ;   in Loop: Header=BB4_6893 Depth=3
	s_delay_alu instid0(SALU_CYCLE_1)
	s_or_b32 exec_lo, exec_lo, s74
                                        ; implicit-def: $vgpr18
.LBB4_6924:                             ;   in Loop: Header=BB4_6893 Depth=3
	s_and_not1_saveexec_b32 s13, s45
; %bb.6925:                             ;   in Loop: Header=BB4_6893 Depth=3
	v_or_b32_e32 v2, 0x7e, v18
; %bb.6926:                             ;   in Loop: Header=BB4_6893 Depth=3
	s_or_b32 exec_lo, exec_lo, s13
                                        ; implicit-def: $vgpr14
.LBB4_6927:                             ;   in Loop: Header=BB4_6893 Depth=3
	s_and_not1_saveexec_b32 s13, s44
	s_cbranch_execz .LBB4_6892
; %bb.6928:                             ;   in Loop: Header=BB4_6893 Depth=3
	v_lshrrev_b32_e32 v2, 24, v14
	s_delay_alu instid0(VALU_DEP_1)
	v_or_b32_e32 v2, 0x7f, v2
	s_branch .LBB4_6892
.LBB4_6929:                             ;   in Loop: Header=BB4_2595 Depth=2
	s_or_b32 exec_lo, exec_lo, s14
.LBB4_6930:                             ;   in Loop: Header=BB4_2595 Depth=2
	v_cmp_lt_i32_e64 s13, 0, v41
	s_and_saveexec_b32 s14, s2
	s_cbranch_execnz .LBB4_6931
; %bb.7577:                             ;   in Loop: Header=BB4_2595 Depth=2
	s_add_pc_i64 .LBB4_2671-.Lpost_addpc15
.Lpost_addpc15:
.LBB4_6931:                             ;   in Loop: Header=BB4_2595 Depth=2
	s_and_saveexec_b32 s15, s3
	s_delay_alu instid0(SALU_CYCLE_1)
	s_xor_b32 s15, exec_lo, s15
	s_cbranch_execz .LBB4_6946
; %bb.6932:                             ;   in Loop: Header=BB4_2595 Depth=2
	s_and_saveexec_b32 s44, s6
	s_cbranch_execz .LBB4_6945
; %bb.6933:                             ;   in Loop: Header=BB4_2595 Depth=2
	s_mov_b32 s74, exec_lo
	s_mov_b32 s45, exec_lo
	v_mbcnt_lo_u32_b32 v2, s74, 0
	global_wb scope:SCOPE_DEV
	s_wait_storecnt 0x0
	s_wait_loadcnt_dscnt 0x0
	global_inv scope:SCOPE_DEV
	v_cmpx_eq_u32_e32 0, v2
	s_cbranch_execz .LBB4_6935
; %bb.6934:                             ;   in Loop: Header=BB4_2595 Depth=2
	s_bcnt1_i32_b32 s74, s74
	s_delay_alu instid0(SALU_CYCLE_1)
	v_mov_b32_e32 v2, s74
	s_wait_loadcnt 0x0
	ds_add_u64 v0, v[2:3]
	s_trap 2
.LBB4_6935:                             ;   in Loop: Header=BB4_2595 Depth=2
	s_or_b32 exec_lo, exec_lo, s45
	s_trap 2
	ds_load_b64 v[8:9], v0
	s_wait_dscnt 0x0
	v_add_nc_u64_e32 v[48:49], v[48:49], v[52:53]
	s_mov_b32 s45, exec_lo
	s_delay_alu instid0(VALU_DEP_1)
	v_cmpx_lt_u64_e64 v[8:9], v[48:49]
	s_cbranch_execz .LBB4_6944
; %bb.6936:                             ;   in Loop: Header=BB4_2595 Depth=2
	s_mov_b32 s74, 0
	s_mov_b32 s77, 0
                                        ; implicit-def: $sgpr75
                                        ; implicit-def: $sgpr76
	s_branch .LBB4_6938
.LBB4_6937:                             ;   in Loop: Header=BB4_6938 Depth=3
	s_or_b32 exec_lo, exec_lo, s79
	s_delay_alu instid0(SALU_CYCLE_1) | instskip(NEXT) | instid1(SALU_CYCLE_1)
	s_and_b32 s78, exec_lo, s88
	s_or_b32 s74, s78, s74
	s_and_not1_b32 s75, s75, exec_lo
	s_and_b32 s78, s76, exec_lo
	s_delay_alu instid0(SALU_CYCLE_1)
	s_or_b32 s75, s75, s78
	s_and_not1_b32 exec_lo, exec_lo, s74
	s_cbranch_execz .LBB4_6942
.LBB4_6938:                             ;   Parent Loop BB4_47 Depth=1
                                        ;     Parent Loop BB4_2595 Depth=2
                                        ; =>    This Inner Loop Header: Depth=3
	s_add_co_i32 s77, s77, 1
	s_delay_alu instid0(SALU_CYCLE_1) | instskip(SKIP_1) | instid1(SALU_CYCLE_1)
	s_cmp_lg_u32 s77, 0x2710
	s_cselect_b32 s78, -1, 0
	s_and_b32 vcc_lo, exec_lo, s78
	s_cbranch_vccz .LBB4_6940
; %bb.6939:                             ;   in Loop: Header=BB4_6938 Depth=3
	s_mov_b32 s88, -1
	s_or_b32 s76, s76, exec_lo
	s_and_saveexec_b32 s79, s78
	s_cbranch_execz .LBB4_6937
	s_branch .LBB4_6941
.LBB4_6940:                             ;   in Loop: Header=BB4_6938 Depth=3
	s_trap 2
	ds_load_b64 v[8:9], v0
	s_and_not1_b32 s78, s78, exec_lo
	s_mov_b32 s77, 0
	s_wait_loadcnt_dscnt 0x0
	flat_load_b32 v2, v[8:9] scope:SCOPE_SYS
	s_wait_loadcnt_dscnt 0x0
	global_inv scope:SCOPE_SYS
	v_cmp_eq_u32_e32 vcc_lo, 0, v2
	s_and_b32 s79, vcc_lo, exec_lo
	s_delay_alu instid0(SALU_CYCLE_1)
	s_or_b32 s78, s78, s79
	s_mov_b32 s88, -1
	s_or_b32 s76, s76, exec_lo
	s_and_saveexec_b32 s79, s78
	s_cbranch_execz .LBB4_6937
.LBB4_6941:                             ;   in Loop: Header=BB4_6938 Depth=3
	s_sleep 1
	s_trap 2
	ds_load_b64 v[8:9], v0
	s_wait_dscnt 0x0
	s_and_not1_b32 s76, s76, exec_lo
	v_cmp_ge_u64_e32 vcc_lo, v[8:9], v[48:49]
	s_or_not1_b32 s88, vcc_lo, exec_lo
	s_branch .LBB4_6937
.LBB4_6942:                             ;   in Loop: Header=BB4_2595 Depth=2
	s_or_b32 exec_lo, exec_lo, s74
	s_and_saveexec_b32 s74, s75
	s_delay_alu instid0(SALU_CYCLE_1)
	s_xor_b32 s74, exec_lo, s74
	s_cbranch_execz .LBB4_6944
; %bb.6943:                             ;   in Loop: Header=BB4_2595 Depth=2
	ds_store_b32 v0, v89
	s_trap 2
.LBB4_6944:                             ;   in Loop: Header=BB4_2595 Depth=2
	s_or_b32 exec_lo, exec_lo, s45
	;;#ASMSTART
	s_wakeup
	;;#ASMEND
.LBB4_6945:                             ;   in Loop: Header=BB4_2595 Depth=2
	s_or_b32 exec_lo, exec_lo, s44
.LBB4_6946:                             ;   in Loop: Header=BB4_2595 Depth=2
	s_and_not1_saveexec_b32 s15, s15
	s_cbranch_execz .LBB4_6948
; %bb.6947:                             ;   in Loop: Header=BB4_2595 Depth=2
	global_wb scope:SCOPE_DEV
	s_wait_storecnt 0x0
	s_wait_loadcnt_dscnt 0x0
	global_inv scope:SCOPE_DEV
	s_barrier_signal -1
	s_barrier_wait -1
.LBB4_6948:                             ;   in Loop: Header=BB4_2595 Depth=2
	s_or_b32 exec_lo, exec_lo, s15
	s_delay_alu instid0(SALU_CYCLE_1) | instskip(SKIP_1) | instid1(SALU_CYCLE_1)
	s_or_b32 exec_lo, exec_lo, s14
                                        ; implicit-def: $vgpr2
	s_and_saveexec_b32 s14, s10
	s_xor_b32 s14, exec_lo, s14
	s_cbranch_execz .LBB4_6949
; %bb.7579:                             ;   in Loop: Header=BB4_2595 Depth=2
	s_add_pc_i64 .LBB4_2672-.Lpost_addpc16
.Lpost_addpc16:
.LBB4_6949:                             ;   in Loop: Header=BB4_2595 Depth=2
	s_and_not1_saveexec_b32 s13, s14
	s_cbranch_execz .LBB4_6968
.LBB4_6950:                             ;   in Loop: Header=BB4_2595 Depth=2
	s_and_saveexec_b32 s14, s3
	s_delay_alu instid0(SALU_CYCLE_1)
	s_xor_b32 s14, exec_lo, s14
	s_cbranch_execz .LBB4_6965
; %bb.6951:                             ;   in Loop: Header=BB4_2595 Depth=2
	s_and_saveexec_b32 s15, s6
	s_cbranch_execz .LBB4_6964
; %bb.6952:                             ;   in Loop: Header=BB4_2595 Depth=2
	s_mov_b32 s45, exec_lo
	s_mov_b32 s44, exec_lo
	v_mbcnt_lo_u32_b32 v2, s45, 0
	;;#ASMSTART
	s_waitcnt lgkmcnt(0) vmcnt(0)
	;;#ASMEND
	s_delay_alu instid0(VALU_DEP_1)
	v_cmpx_eq_u32_e32 0, v2
	s_cbranch_execz .LBB4_6954
; %bb.6953:                             ;   in Loop: Header=BB4_2595 Depth=2
	s_bcnt1_i32_b32 s45, s45
	s_delay_alu instid0(SALU_CYCLE_1)
	v_mov_b32_e32 v2, s45
	s_wait_storecnt 0x0
	s_wait_loadcnt_dscnt 0x0
	ds_add_u64 v0, v[2:3]
	s_trap 2
.LBB4_6954:                             ;   in Loop: Header=BB4_2595 Depth=2
	s_or_b32 exec_lo, exec_lo, s44
	s_trap 2
	ds_load_b64 v[8:9], v0
	s_wait_dscnt 0x0
	v_add_nc_u64_e32 v[48:49], v[48:49], v[52:53]
	s_mov_b32 s44, exec_lo
	s_delay_alu instid0(VALU_DEP_1)
	v_cmpx_lt_u64_e64 v[8:9], v[48:49]
	s_cbranch_execz .LBB4_6963
; %bb.6955:                             ;   in Loop: Header=BB4_2595 Depth=2
	s_mov_b32 s45, 0
	s_mov_b32 s76, 0
                                        ; implicit-def: $sgpr74
                                        ; implicit-def: $sgpr75
	s_branch .LBB4_6957
.LBB4_6956:                             ;   in Loop: Header=BB4_6957 Depth=3
	s_or_b32 exec_lo, exec_lo, s78
	s_delay_alu instid0(SALU_CYCLE_1) | instskip(NEXT) | instid1(SALU_CYCLE_1)
	s_and_b32 s77, exec_lo, s79
	s_or_b32 s45, s77, s45
	s_and_not1_b32 s74, s74, exec_lo
	s_and_b32 s77, s75, exec_lo
	s_delay_alu instid0(SALU_CYCLE_1)
	s_or_b32 s74, s74, s77
	s_and_not1_b32 exec_lo, exec_lo, s45
	s_cbranch_execz .LBB4_6961
.LBB4_6957:                             ;   Parent Loop BB4_47 Depth=1
                                        ;     Parent Loop BB4_2595 Depth=2
                                        ; =>    This Inner Loop Header: Depth=3
	s_add_co_i32 s76, s76, 1
	s_delay_alu instid0(SALU_CYCLE_1) | instskip(SKIP_1) | instid1(SALU_CYCLE_1)
	s_cmp_lg_u32 s76, 0x2710
	s_cselect_b32 s77, -1, 0
	s_and_b32 vcc_lo, exec_lo, s77
	s_cbranch_vccz .LBB4_6959
; %bb.6958:                             ;   in Loop: Header=BB4_6957 Depth=3
	s_mov_b32 s79, -1
	s_or_b32 s75, s75, exec_lo
	s_and_saveexec_b32 s78, s77
	s_cbranch_execz .LBB4_6956
	s_branch .LBB4_6960
.LBB4_6959:                             ;   in Loop: Header=BB4_6957 Depth=3
	s_trap 2
	ds_load_b64 v[8:9], v0
	s_and_not1_b32 s77, s77, exec_lo
	s_mov_b32 s76, 0
	s_wait_storecnt 0x0
	s_wait_loadcnt_dscnt 0x0
	flat_load_b32 v2, v[8:9] scope:SCOPE_SYS
	s_wait_loadcnt_dscnt 0x0
	global_inv scope:SCOPE_SYS
	v_cmp_eq_u32_e32 vcc_lo, 0, v2
	s_and_b32 s78, vcc_lo, exec_lo
	s_delay_alu instid0(SALU_CYCLE_1)
	s_or_b32 s77, s77, s78
	s_mov_b32 s79, -1
	s_or_b32 s75, s75, exec_lo
	s_and_saveexec_b32 s78, s77
	s_cbranch_execz .LBB4_6956
.LBB4_6960:                             ;   in Loop: Header=BB4_6957 Depth=3
	s_sleep 1
	s_trap 2
	ds_load_b64 v[8:9], v0
	s_wait_dscnt 0x0
	s_and_not1_b32 s75, s75, exec_lo
	v_cmp_ge_u64_e32 vcc_lo, v[8:9], v[48:49]
	s_or_not1_b32 s79, vcc_lo, exec_lo
	s_branch .LBB4_6956
.LBB4_6961:                             ;   in Loop: Header=BB4_2595 Depth=2
	s_or_b32 exec_lo, exec_lo, s45
	s_and_saveexec_b32 s45, s74
	s_delay_alu instid0(SALU_CYCLE_1)
	s_xor_b32 s45, exec_lo, s45
	s_cbranch_execz .LBB4_6963
; %bb.6962:                             ;   in Loop: Header=BB4_2595 Depth=2
	ds_store_b32 v0, v89
	s_trap 2
.LBB4_6963:                             ;   in Loop: Header=BB4_2595 Depth=2
	s_or_b32 exec_lo, exec_lo, s44
	;;#ASMSTART
	s_wakeup
	;;#ASMEND
.LBB4_6964:                             ;   in Loop: Header=BB4_2595 Depth=2
	s_or_b32 exec_lo, exec_lo, s15
.LBB4_6965:                             ;   in Loop: Header=BB4_2595 Depth=2
	s_and_not1_saveexec_b32 s14, s14
	s_cbranch_execz .LBB4_6967
; %bb.6966:                             ;   in Loop: Header=BB4_2595 Depth=2
	;;#ASMSTART
	s_waitcnt lgkmcnt(0) vmcnt(0)
	;;#ASMEND
	s_barrier_signal -1
	s_barrier_wait -1
.LBB4_6967:                             ;   in Loop: Header=BB4_2595 Depth=2
	s_or_b32 exec_lo, exec_lo, s14
	v_and_b32_e32 v2, 16, v30
.LBB4_6968:                             ;   in Loop: Header=BB4_2595 Depth=2
	s_or_b32 exec_lo, exec_lo, s13
	s_delay_alu instid0(VALU_DEP_1) | instskip(SKIP_1) | instid1(SALU_CYCLE_1)
	v_cmp_ne_u32_e32 vcc_lo, 0, v2
	s_xor_b32 s13, s4, -1
	s_and_b32 s14, vcc_lo, s13
	s_delay_alu instid0(SALU_CYCLE_1)
	s_and_saveexec_b32 s13, s14
	s_cbranch_execz .LBB4_6970
; %bb.6969:                             ;   in Loop: Header=BB4_2595 Depth=2
	global_wb scope:SCOPE_SYS
	s_wait_storecnt 0x0
	s_wait_loadcnt_dscnt 0x0
	flat_store_b32 v[38:39], v89 scope:SCOPE_SYS
.LBB4_6970:                             ;   in Loop: Header=BB4_2595 Depth=2
	s_wait_xcnt 0x0
	s_or_b32 exec_lo, exec_lo, s13
	v_and_b32_e32 v2, 48, v30
	s_mov_b32 s13, exec_lo
	s_delay_alu instid0(VALU_DEP_1)
	v_cmpx_ne_u32_e32 0, v2
	s_cbranch_execnz .LBB4_6971
; %bb.7581:                             ;   in Loop: Header=BB4_2595 Depth=2
	s_add_pc_i64 .LBB4_2594-.Lpost_addpc17
.Lpost_addpc17:
.LBB4_6971:                             ;   in Loop: Header=BB4_2595 Depth=2
	v_add_nc_u64_e32 v[114:115], 2, v[114:115]
	global_wb scope:SCOPE_SYS
	s_wait_storecnt 0x0
	s_wait_loadcnt_dscnt 0x0
	flat_store_b64 v[32:33], v[114:115] scope:SCOPE_SYS
; %bb.7559:                             ;   in Loop: Header=BB4_2595 Depth=2
	s_add_pc_i64 .LBB4_2594-.Lpost_addpc6
.Lpost_addpc6:
.LBB4_6972:                             ;   in Loop: Header=BB4_47 Depth=1
	s_or_b32 exec_lo, exec_lo, s41
.LBB4_6973:                             ;   in Loop: Header=BB4_47 Depth=1
	s_delay_alu instid0(SALU_CYCLE_1) | instskip(NEXT) | instid1(SALU_CYCLE_1)
	s_or_b32 exec_lo, exec_lo, s18
	s_mov_b32 s14, exec_lo
	v_cmpx_gt_i32_e32 2, v2
	s_cbranch_execz .LBB4_7049
; %bb.6974:                             ;   in Loop: Header=BB4_47 Depth=1
	v_cmp_eq_u32_e64 s18, 0, v2
	s_mov_b32 s15, 0
	s_branch .LBB4_6976
.LBB4_6975:                             ;   in Loop: Header=BB4_6976 Depth=2
	s_wait_xcnt 0x0
	s_or_b32 exec_lo, exec_lo, s13
	v_add_nc_u32_e32 v42, v40, v42
	s_mov_b32 s18, 0
	s_and_not1_b32 exec_lo, exec_lo, s15
	s_cbranch_execz .LBB4_7048
.LBB4_6976:                             ;   Parent Loop BB4_47 Depth=1
                                        ; =>  This Loop Header: Depth=2
                                        ;       Child Loop BB4_6982 Depth 3
                                        ;       Child Loop BB4_7010 Depth 3
	;; [unrolled: 1-line block ×3, first 2 shown]
	s_delay_alu instid0(VALU_DEP_1) | instskip(SKIP_2) | instid1(VALU_DEP_2)
	v_sub_nc_u32_e32 v2, v95, v42
	v_and_b32_e32 v8, 12, v30
	s_mov_b32 s41, exec_lo
	v_min_i32_e32 v40, v40, v2
	s_delay_alu instid0(VALU_DEP_2)
	v_cmpx_ne_u32_e32 0, v8
	s_cbranch_execz .LBB4_7002
; %bb.6977:                             ;   in Loop: Header=BB4_6976 Depth=2
	v_and_b32_e32 v2, 8, v30
	v_add_nc_u64_e32 v[8:9], 2, v[114:115]
	s_mov_b32 s44, exec_lo
	s_wait_loadcnt_dscnt 0x1
	s_delay_alu instid0(VALU_DEP_2) | instskip(NEXT) | instid1(VALU_DEP_1)
	v_add_nc_u64_e32 v[10:11], v[50:51], v[2:3]
	v_cmpx_lt_u64_e64 v[10:11], v[8:9]
	s_cbranch_execz .LBB4_6989
; %bb.6978:                             ;   in Loop: Header=BB4_6976 Depth=2
	v_and_b32_e32 v10, 64, v30
	s_mov_b32 s45, 0
	s_mov_b32 s75, 0
                                        ; implicit-def: $sgpr72
                                        ; implicit-def: $sgpr73
                                        ; implicit-def: $sgpr74
	s_delay_alu instid0(VALU_DEP_1)
	v_cmp_eq_u32_e32 vcc_lo, 0, v10
	s_branch .LBB4_6982
.LBB4_6979:                             ;   in Loop: Header=BB4_6982 Depth=3
	s_wait_loadcnt_dscnt 0x0
	v_add_nc_u64_e32 v[12:13], v[50:51], v[2:3]
	s_or_b32 s78, s78, exec_lo
	s_delay_alu instid0(VALU_DEP_1)
	v_cmp_ge_u64_e64 s13, v[12:13], v[8:9]
	s_or_not1_b32 s77, s13, exec_lo
.LBB4_6980:                             ;   in Loop: Header=BB4_6982 Depth=3
	s_or_b32 exec_lo, exec_lo, s88
	s_delay_alu instid0(SALU_CYCLE_1)
	s_and_not1_b32 s13, s74, exec_lo
	s_and_b32 s74, s78, exec_lo
	s_and_not1_b32 s73, s73, exec_lo
	s_and_b32 s77, s77, exec_lo
	s_or_b32 s74, s13, s74
	s_or_b32 s73, s73, s77
.LBB4_6981:                             ;   in Loop: Header=BB4_6982 Depth=3
	s_or_b32 exec_lo, exec_lo, s76
	s_delay_alu instid0(SALU_CYCLE_1) | instskip(NEXT) | instid1(SALU_CYCLE_1)
	s_and_b32 s13, exec_lo, s73
	s_or_b32 s45, s13, s45
	s_and_not1_b32 s13, s72, exec_lo
	s_and_b32 s72, s74, exec_lo
	s_delay_alu instid0(SALU_CYCLE_1)
	s_or_b32 s72, s13, s72
	s_and_not1_b32 exec_lo, exec_lo, s45
	s_cbranch_execz .LBB4_6986
.LBB4_6982:                             ;   Parent Loop BB4_47 Depth=1
                                        ;     Parent Loop BB4_6976 Depth=2
                                        ; =>    This Inner Loop Header: Depth=3
	s_sleep 1
	s_wait_loadcnt_dscnt 0x0
	flat_load_b64 v[50:51], v[32:33] scope:SCOPE_SYS
	s_or_b32 s74, s74, exec_lo
	s_or_b32 s73, s73, exec_lo
                                        ; implicit-def: $vgpr10
	s_wait_xcnt 0x0
	s_and_saveexec_b32 s76, vcc_lo
	s_cbranch_execz .LBB4_6981
; %bb.6983:                             ;   in Loop: Header=BB4_6982 Depth=3
	s_cmp_lt_i32 s75, 0x270f
	s_mov_b32 s77, -1
	s_cselect_b32 s79, -1, 0
	s_cmp_gt_i32 s75, 0x270e
	s_cbranch_scc0 .LBB4_6985
; %bb.6984:                             ;   in Loop: Header=BB4_6982 Depth=3
	s_trap 2
	ds_load_b64 v[10:11], v0
	s_and_not1_b32 s75, s79, exec_lo
	s_mov_b32 s78, 0
	s_wait_storecnt 0x0
	s_wait_loadcnt_dscnt 0x0
	flat_load_b32 v10, v[10:11] scope:SCOPE_SYS
	s_wait_loadcnt_dscnt 0x0
	global_inv scope:SCOPE_SYS
	v_cmp_eq_u32_e64 s13, 0, v10
	s_and_b32 s13, s13, exec_lo
	s_delay_alu instid0(SALU_CYCLE_1)
	s_or_b32 s79, s75, s13
	s_mov_b32 s75, 0
	s_and_saveexec_b32 s88, s79
	s_cbranch_execz .LBB4_6980
	s_branch .LBB4_6979
.LBB4_6985:                             ;   in Loop: Header=BB4_6982 Depth=3
	s_add_co_i32 s75, s75, 1
	s_mov_b32 s78, -1
                                        ; implicit-def: $vgpr10
	s_and_saveexec_b32 s88, s79
	s_cbranch_execz .LBB4_6980
	s_branch .LBB4_6979
.LBB4_6986:                             ;   in Loop: Header=BB4_6976 Depth=2
	s_or_b32 exec_lo, exec_lo, s45
	s_xor_b32 s13, s72, -1
	s_delay_alu instid0(SALU_CYCLE_1) | instskip(NEXT) | instid1(SALU_CYCLE_1)
	s_and_saveexec_b32 s45, s13
	s_xor_b32 s13, exec_lo, s45
	s_cbranch_execz .LBB4_6988
; %bb.6987:                             ;   in Loop: Header=BB4_6976 Depth=2
	v_or_b32_e32 v30, 64, v30
	s_wait_storecnt 0x0
	s_wait_loadcnt_dscnt 0x0
	ds_store_b32 v0, v10
	s_trap 2
.LBB4_6988:                             ;   in Loop: Header=BB4_6976 Depth=2
	s_or_b32 exec_lo, exec_lo, s13
.LBB4_6989:                             ;   in Loop: Header=BB4_6976 Depth=2
	s_delay_alu instid0(SALU_CYCLE_1) | instskip(SKIP_2) | instid1(VALU_DEP_1)
	s_or_b32 exec_lo, exec_lo, s44
	v_and_b32_e32 v10, 0x108, v30
	;;#ASMSTART
	s_wakeup
	;;#ASMEND
	v_cmp_ne_u32_e32 vcc_lo, 0x108, v10
                                        ; implicit-def: $vgpr10_vgpr11
	s_and_saveexec_b32 s13, vcc_lo
	s_delay_alu instid0(SALU_CYCLE_1)
	s_xor_b32 s13, exec_lo, s13
; %bb.6990:                             ;   in Loop: Header=BB4_6976 Depth=2
	v_dual_mov_b32 v11, v3 :: v_dual_bitop2_b32 v10, 7, v114 bitop3:0x40
                                        ; implicit-def: $vgpr114_vgpr115
; %bb.6991:                             ;   in Loop: Header=BB4_6976 Depth=2
	s_and_not1_saveexec_b32 s13, s13
	s_cbranch_execz .LBB4_6993
; %bb.6992:                             ;   in Loop: Header=BB4_6976 Depth=2
	v_dual_ashrrev_i32 v41, 31, v40 :: v_dual_bitop2_b32 v10, 7, v114 bitop3:0x40
	v_mov_b32_e32 v11, v3
	s_delay_alu instid0(VALU_DEP_2)
	v_mad_nc_u64_u32 v[12:13], v10, 24, v[6:7]
	flat_store_b64 v[12:13], v[40:41] offset:8
.LBB4_6993:                             ;   in Loop: Header=BB4_6976 Depth=2
	s_wait_xcnt 0x0
	s_or_b32 exec_lo, exec_lo, s13
	v_and_b32_e32 v12, 0x100, v30
	s_mov_b32 s13, -1
	s_delay_alu instid0(VALU_DEP_1)
	v_cmp_ne_u32_e32 vcc_lo, 0, v12
                                        ; implicit-def: $vgpr12_vgpr13
	s_and_saveexec_b32 s44, vcc_lo
	s_cbranch_execz .LBB4_6997
; %bb.6994:                             ;   in Loop: Header=BB4_6976 Depth=2
	v_mad_nc_u64_u32 v[14:15], v10, 24, v[6:7]
	s_delay_alu instid0(VALU_DEP_1)
	v_mad_u32 v15, v11, 24, v15
	flat_load_b32 v12, v[14:15]
	s_wait_loadcnt_dscnt 0x0
	v_cmp_eq_u32_e64 s13, 1, v12
	v_cmp_ne_u32_e32 vcc_lo, 1, v12
                                        ; implicit-def: $vgpr12_vgpr13
	s_wait_xcnt 0x0
	s_and_saveexec_b32 s45, s13
	s_cbranch_execz .LBB4_6996
; %bb.6995:                             ;   in Loop: Header=BB4_6976 Depth=2
	flat_load_b32 v12, v[14:15] offset:4 scope:SCOPE_SYS
	s_wait_loadcnt_dscnt 0x0
	v_ashrrev_i32_e32 v13, 31, v12
.LBB4_6996:                             ;   in Loop: Header=BB4_6976 Depth=2
	s_wait_xcnt 0x0
	s_or_b32 exec_lo, exec_lo, s45
	s_delay_alu instid0(SALU_CYCLE_1)
	s_or_not1_b32 s13, vcc_lo, exec_lo
.LBB4_6997:                             ;   in Loop: Header=BB4_6976 Depth=2
	s_or_b32 exec_lo, exec_lo, s44
	s_and_saveexec_b32 s44, s13
; %bb.6998:                             ;   in Loop: Header=BB4_6976 Depth=2
	v_mul_u64_e32 v[12:13], v[10:11], v[34:35]
; %bb.6999:                             ;   in Loop: Header=BB4_6976 Depth=2
	s_or_b32 exec_lo, exec_lo, s44
	v_cmp_eq_u32_e32 vcc_lo, 0, v2
	s_delay_alu instid0(VALU_DEP_2) | instskip(SKIP_3) | instid1(VALU_DEP_1)
	v_add_nc_u64_e32 v[10:11], v[36:37], v[12:13]
	v_and_b32_e32 v14, 0x2000, v30
	s_mov_b32 s13, exec_lo
	v_cndmask_b32_e32 v2, 0xd0, v90, vcc_lo
	v_add_nc_u32_e32 v2, v0, v2
	ds_store_b64 v2, v[10:11] offset:584
	v_cmpx_ne_u32_e32 0, v14
	s_cbranch_execz .LBB4_7001
; %bb.7000:                             ;   in Loop: Header=BB4_6976 Depth=2
	ds_load_b64 v[10:11], v0 offset:872
	s_wait_dscnt 0x0
	v_add_nc_u64_e32 v[10:11], 1, v[10:11]
	ds_store_b64 v0, v[10:11] offset:872
.LBB4_7001:                             ;   in Loop: Header=BB4_6976 Depth=2
	s_or_b32 exec_lo, exec_lo, s13
	v_mov_b64_e32 v[114:115], v[8:9]
.LBB4_7002:                             ;   in Loop: Header=BB4_6976 Depth=2
	s_or_b32 exec_lo, exec_lo, s41
	s_xor_b32 s13, s18, -1
	s_delay_alu instid0(SALU_CYCLE_1) | instskip(NEXT) | instid1(SALU_CYCLE_1)
	s_and_b32 s13, exec_lo, s13
	s_or_b32 s15, s13, s15
	s_and_saveexec_b32 s13, s2
	s_cbranch_execz .LBB4_7021
; %bb.7003:                             ;   in Loop: Header=BB4_6976 Depth=2
	s_and_saveexec_b32 s18, s3
	s_delay_alu instid0(SALU_CYCLE_1)
	s_xor_b32 s18, exec_lo, s18
	s_cbranch_execz .LBB4_7018
; %bb.7004:                             ;   in Loop: Header=BB4_6976 Depth=2
	s_and_saveexec_b32 s41, s6
	s_cbranch_execz .LBB4_7017
; %bb.7005:                             ;   in Loop: Header=BB4_6976 Depth=2
	s_mov_b32 s45, exec_lo
	s_mov_b32 s44, exec_lo
	v_mbcnt_lo_u32_b32 v2, s45, 0
	global_wb scope:SCOPE_DEV
	s_wait_storecnt 0x0
	s_wait_loadcnt_dscnt 0x0
	global_inv scope:SCOPE_DEV
	v_cmpx_eq_u32_e32 0, v2
	s_cbranch_execz .LBB4_7007
; %bb.7006:                             ;   in Loop: Header=BB4_6976 Depth=2
	s_bcnt1_i32_b32 s45, s45
	s_delay_alu instid0(SALU_CYCLE_1)
	v_mov_b32_e32 v2, s45
	s_wait_loadcnt 0x0
	ds_add_u64 v0, v[2:3]
	s_trap 2
.LBB4_7007:                             ;   in Loop: Header=BB4_6976 Depth=2
	s_or_b32 exec_lo, exec_lo, s44
	s_trap 2
	ds_load_b64 v[8:9], v0
	s_wait_dscnt 0x0
	v_add_nc_u64_e32 v[48:49], v[48:49], v[52:53]
	s_mov_b32 s44, exec_lo
	s_delay_alu instid0(VALU_DEP_1)
	v_cmpx_lt_u64_e64 v[8:9], v[48:49]
	s_cbranch_execz .LBB4_7016
; %bb.7008:                             ;   in Loop: Header=BB4_6976 Depth=2
	s_mov_b32 s45, 0
	s_mov_b32 s74, 0
                                        ; implicit-def: $sgpr72
                                        ; implicit-def: $sgpr73
	s_branch .LBB4_7010
.LBB4_7009:                             ;   in Loop: Header=BB4_7010 Depth=3
	s_or_b32 exec_lo, exec_lo, s76
	s_delay_alu instid0(SALU_CYCLE_1) | instskip(NEXT) | instid1(SALU_CYCLE_1)
	s_and_b32 s75, exec_lo, s77
	s_or_b32 s45, s75, s45
	s_and_not1_b32 s72, s72, exec_lo
	s_and_b32 s75, s73, exec_lo
	s_delay_alu instid0(SALU_CYCLE_1)
	s_or_b32 s72, s72, s75
	s_and_not1_b32 exec_lo, exec_lo, s45
	s_cbranch_execz .LBB4_7014
.LBB4_7010:                             ;   Parent Loop BB4_47 Depth=1
                                        ;     Parent Loop BB4_6976 Depth=2
                                        ; =>    This Inner Loop Header: Depth=3
	s_add_co_i32 s74, s74, 1
	s_delay_alu instid0(SALU_CYCLE_1) | instskip(SKIP_1) | instid1(SALU_CYCLE_1)
	s_cmp_lg_u32 s74, 0x2710
	s_cselect_b32 s75, -1, 0
	s_and_b32 vcc_lo, exec_lo, s75
	s_cbranch_vccz .LBB4_7012
; %bb.7011:                             ;   in Loop: Header=BB4_7010 Depth=3
	s_mov_b32 s77, -1
	s_or_b32 s73, s73, exec_lo
	s_and_saveexec_b32 s76, s75
	s_cbranch_execz .LBB4_7009
	s_branch .LBB4_7013
.LBB4_7012:                             ;   in Loop: Header=BB4_7010 Depth=3
	s_trap 2
	ds_load_b64 v[8:9], v0
	s_and_not1_b32 s75, s75, exec_lo
	s_mov_b32 s74, 0
	s_wait_loadcnt_dscnt 0x0
	flat_load_b32 v2, v[8:9] scope:SCOPE_SYS
	s_wait_loadcnt_dscnt 0x0
	global_inv scope:SCOPE_SYS
	v_cmp_eq_u32_e32 vcc_lo, 0, v2
	s_and_b32 s76, vcc_lo, exec_lo
	s_delay_alu instid0(SALU_CYCLE_1)
	s_or_b32 s75, s75, s76
	s_mov_b32 s77, -1
	s_or_b32 s73, s73, exec_lo
	s_and_saveexec_b32 s76, s75
	s_cbranch_execz .LBB4_7009
.LBB4_7013:                             ;   in Loop: Header=BB4_7010 Depth=3
	s_sleep 1
	s_trap 2
	ds_load_b64 v[8:9], v0
	s_wait_dscnt 0x0
	s_and_not1_b32 s73, s73, exec_lo
	v_cmp_ge_u64_e32 vcc_lo, v[8:9], v[48:49]
	s_or_not1_b32 s77, vcc_lo, exec_lo
	s_branch .LBB4_7009
.LBB4_7014:                             ;   in Loop: Header=BB4_6976 Depth=2
	s_or_b32 exec_lo, exec_lo, s45
	s_and_saveexec_b32 s45, s72
	s_delay_alu instid0(SALU_CYCLE_1)
	s_xor_b32 s45, exec_lo, s45
	s_cbranch_execz .LBB4_7016
; %bb.7015:                             ;   in Loop: Header=BB4_6976 Depth=2
	ds_store_b32 v0, v89
	s_trap 2
.LBB4_7016:                             ;   in Loop: Header=BB4_6976 Depth=2
	s_or_b32 exec_lo, exec_lo, s44
	;;#ASMSTART
	s_wakeup
	;;#ASMEND
.LBB4_7017:                             ;   in Loop: Header=BB4_6976 Depth=2
	s_or_b32 exec_lo, exec_lo, s41
.LBB4_7018:                             ;   in Loop: Header=BB4_6976 Depth=2
	s_and_not1_saveexec_b32 s18, s18
	s_cbranch_execz .LBB4_7020
; %bb.7019:                             ;   in Loop: Header=BB4_6976 Depth=2
	global_wb scope:SCOPE_DEV
	s_wait_storecnt 0x0
	s_wait_loadcnt_dscnt 0x0
	global_inv scope:SCOPE_DEV
	s_barrier_signal -1
	s_barrier_wait -1
.LBB4_7020:                             ;   in Loop: Header=BB4_6976 Depth=2
	s_or_b32 exec_lo, exec_lo, s18
.LBB4_7021:                             ;   in Loop: Header=BB4_6976 Depth=2
	s_delay_alu instid0(SALU_CYCLE_1) | instskip(SKIP_1) | instid1(SALU_CYCLE_1)
	s_or_b32 exec_lo, exec_lo, s13
                                        ; implicit-def: $vgpr2
	s_and_saveexec_b32 s13, s10
	s_xor_b32 s18, exec_lo, s13
	s_cbranch_execz .LBB4_7025
; %bb.7022:                             ;   in Loop: Header=BB4_6976 Depth=2
	s_trap 2
	ds_load_b32 v2, v0
	v_cmp_lt_i32_e32 vcc_lo, 0, v40
	s_wait_dscnt 0x0
	v_readfirstlane_b32 s13, v2
	v_and_b32_e32 v2, 16, v30
	s_cmp_eq_u32 s13, 0
	s_delay_alu instid0(VALU_DEP_1) | instskip(SKIP_3) | instid1(SALU_CYCLE_1)
	v_cmp_ne_u32_e64 s13, 0, v2
	s_cselect_b32 s41, -1, 0
	v_and_b32_e32 v2, 16, v30
	s_and_b32 s41, vcc_lo, s41
	s_and_b32 s41, s13, s41
	s_delay_alu instid0(SALU_CYCLE_1)
	s_and_saveexec_b32 s13, s41
	s_cbranch_execz .LBB4_7024
; %bb.7023:                             ;   in Loop: Header=BB4_6976 Depth=2
	v_mov_b32_e32 v2, 1
	global_wb scope:SCOPE_SYS
	s_wait_loadcnt 0x0
	s_wait_storecnt 0x0
	global_inv scope:SCOPE_SYS
.LBB4_7024:                             ;   in Loop: Header=BB4_6976 Depth=2
	s_or_b32 exec_lo, exec_lo, s13
	s_and_not1_saveexec_b32 s13, s18
	s_cbranch_execz .LBB4_7044
	s_branch .LBB4_7026
.LBB4_7025:                             ;   in Loop: Header=BB4_6976 Depth=2
	s_and_not1_saveexec_b32 s13, s18
	s_cbranch_execz .LBB4_7044
.LBB4_7026:                             ;   in Loop: Header=BB4_6976 Depth=2
	s_and_saveexec_b32 s18, s3
	s_delay_alu instid0(SALU_CYCLE_1)
	s_xor_b32 s18, exec_lo, s18
	s_cbranch_execz .LBB4_7041
; %bb.7027:                             ;   in Loop: Header=BB4_6976 Depth=2
	s_and_saveexec_b32 s41, s6
	s_cbranch_execz .LBB4_7040
; %bb.7028:                             ;   in Loop: Header=BB4_6976 Depth=2
	s_mov_b32 s45, exec_lo
	s_mov_b32 s44, exec_lo
	v_mbcnt_lo_u32_b32 v2, s45, 0
	;;#ASMSTART
	s_waitcnt lgkmcnt(0) vmcnt(0)
	;;#ASMEND
	s_delay_alu instid0(VALU_DEP_1)
	v_cmpx_eq_u32_e32 0, v2
	s_cbranch_execz .LBB4_7030
; %bb.7029:                             ;   in Loop: Header=BB4_6976 Depth=2
	s_bcnt1_i32_b32 s45, s45
	s_delay_alu instid0(SALU_CYCLE_1)
	v_mov_b32_e32 v2, s45
	s_wait_storecnt 0x0
	s_wait_loadcnt_dscnt 0x0
	ds_add_u64 v0, v[2:3]
	s_trap 2
.LBB4_7030:                             ;   in Loop: Header=BB4_6976 Depth=2
	s_or_b32 exec_lo, exec_lo, s44
	s_trap 2
	ds_load_b64 v[8:9], v0
	s_wait_dscnt 0x0
	v_add_nc_u64_e32 v[48:49], v[48:49], v[52:53]
	s_mov_b32 s44, exec_lo
	s_delay_alu instid0(VALU_DEP_1)
	v_cmpx_lt_u64_e64 v[8:9], v[48:49]
	s_cbranch_execz .LBB4_7039
; %bb.7031:                             ;   in Loop: Header=BB4_6976 Depth=2
	s_mov_b32 s45, 0
	s_mov_b32 s74, 0
                                        ; implicit-def: $sgpr72
                                        ; implicit-def: $sgpr73
	s_branch .LBB4_7033
.LBB4_7032:                             ;   in Loop: Header=BB4_7033 Depth=3
	s_or_b32 exec_lo, exec_lo, s76
	s_delay_alu instid0(SALU_CYCLE_1) | instskip(NEXT) | instid1(SALU_CYCLE_1)
	s_and_b32 s75, exec_lo, s77
	s_or_b32 s45, s75, s45
	s_and_not1_b32 s72, s72, exec_lo
	s_and_b32 s75, s73, exec_lo
	s_delay_alu instid0(SALU_CYCLE_1)
	s_or_b32 s72, s72, s75
	s_and_not1_b32 exec_lo, exec_lo, s45
	s_cbranch_execz .LBB4_7037
.LBB4_7033:                             ;   Parent Loop BB4_47 Depth=1
                                        ;     Parent Loop BB4_6976 Depth=2
                                        ; =>    This Inner Loop Header: Depth=3
	s_add_co_i32 s74, s74, 1
	s_delay_alu instid0(SALU_CYCLE_1) | instskip(SKIP_1) | instid1(SALU_CYCLE_1)
	s_cmp_lg_u32 s74, 0x2710
	s_cselect_b32 s75, -1, 0
	s_and_b32 vcc_lo, exec_lo, s75
	s_cbranch_vccz .LBB4_7035
; %bb.7034:                             ;   in Loop: Header=BB4_7033 Depth=3
	s_mov_b32 s77, -1
	s_or_b32 s73, s73, exec_lo
	s_and_saveexec_b32 s76, s75
	s_cbranch_execz .LBB4_7032
	s_branch .LBB4_7036
.LBB4_7035:                             ;   in Loop: Header=BB4_7033 Depth=3
	s_trap 2
	ds_load_b64 v[8:9], v0
	s_and_not1_b32 s75, s75, exec_lo
	s_mov_b32 s74, 0
	s_wait_storecnt 0x0
	s_wait_loadcnt_dscnt 0x0
	flat_load_b32 v2, v[8:9] scope:SCOPE_SYS
	s_wait_loadcnt_dscnt 0x0
	global_inv scope:SCOPE_SYS
	v_cmp_eq_u32_e32 vcc_lo, 0, v2
	s_and_b32 s76, vcc_lo, exec_lo
	s_delay_alu instid0(SALU_CYCLE_1)
	s_or_b32 s75, s75, s76
	s_mov_b32 s77, -1
	s_or_b32 s73, s73, exec_lo
	s_and_saveexec_b32 s76, s75
	s_cbranch_execz .LBB4_7032
.LBB4_7036:                             ;   in Loop: Header=BB4_7033 Depth=3
	s_sleep 1
	s_trap 2
	ds_load_b64 v[8:9], v0
	s_wait_dscnt 0x0
	s_and_not1_b32 s73, s73, exec_lo
	v_cmp_ge_u64_e32 vcc_lo, v[8:9], v[48:49]
	s_or_not1_b32 s77, vcc_lo, exec_lo
	s_branch .LBB4_7032
.LBB4_7037:                             ;   in Loop: Header=BB4_6976 Depth=2
	s_or_b32 exec_lo, exec_lo, s45
	s_and_saveexec_b32 s45, s72
	s_delay_alu instid0(SALU_CYCLE_1)
	s_xor_b32 s45, exec_lo, s45
	s_cbranch_execz .LBB4_7039
; %bb.7038:                             ;   in Loop: Header=BB4_6976 Depth=2
	ds_store_b32 v0, v89
	s_trap 2
.LBB4_7039:                             ;   in Loop: Header=BB4_6976 Depth=2
	s_or_b32 exec_lo, exec_lo, s44
	;;#ASMSTART
	s_wakeup
	;;#ASMEND
.LBB4_7040:                             ;   in Loop: Header=BB4_6976 Depth=2
	s_or_b32 exec_lo, exec_lo, s41
.LBB4_7041:                             ;   in Loop: Header=BB4_6976 Depth=2
	s_and_not1_saveexec_b32 s18, s18
	s_cbranch_execz .LBB4_7043
; %bb.7042:                             ;   in Loop: Header=BB4_6976 Depth=2
	;;#ASMSTART
	s_waitcnt lgkmcnt(0) vmcnt(0)
	;;#ASMEND
	s_barrier_signal -1
	s_barrier_wait -1
.LBB4_7043:                             ;   in Loop: Header=BB4_6976 Depth=2
	s_or_b32 exec_lo, exec_lo, s18
	v_and_b32_e32 v2, 16, v30
.LBB4_7044:                             ;   in Loop: Header=BB4_6976 Depth=2
	s_or_b32 exec_lo, exec_lo, s13
	s_delay_alu instid0(VALU_DEP_1) | instskip(SKIP_1) | instid1(SALU_CYCLE_1)
	v_cmp_ne_u32_e32 vcc_lo, 0, v2
	s_xor_b32 s13, s4, -1
	s_and_b32 s18, vcc_lo, s13
	s_delay_alu instid0(SALU_CYCLE_1)
	s_and_saveexec_b32 s13, s18
	s_cbranch_execz .LBB4_7046
; %bb.7045:                             ;   in Loop: Header=BB4_6976 Depth=2
	global_wb scope:SCOPE_SYS
	s_wait_storecnt 0x0
	s_wait_loadcnt_dscnt 0x0
	flat_store_b32 v[38:39], v89 scope:SCOPE_SYS
.LBB4_7046:                             ;   in Loop: Header=BB4_6976 Depth=2
	s_wait_xcnt 0x0
	s_or_b32 exec_lo, exec_lo, s13
	v_and_b32_e32 v2, 48, v30
	s_mov_b32 s13, exec_lo
	s_delay_alu instid0(VALU_DEP_1)
	v_cmpx_ne_u32_e32 0, v2
	s_cbranch_execz .LBB4_6975
; %bb.7047:                             ;   in Loop: Header=BB4_6976 Depth=2
	v_add_nc_u64_e32 v[114:115], 2, v[114:115]
	global_wb scope:SCOPE_SYS
	s_wait_storecnt 0x0
	s_wait_loadcnt_dscnt 0x0
	flat_store_b64 v[32:33], v[114:115] scope:SCOPE_SYS
	s_branch .LBB4_6975
.LBB4_7048:                             ;   in Loop: Header=BB4_47 Depth=1
	s_or_b32 exec_lo, exec_lo, s15
.LBB4_7049:                             ;   in Loop: Header=BB4_47 Depth=1
	s_delay_alu instid0(SALU_CYCLE_1) | instskip(NEXT) | instid1(SALU_CYCLE_1)
	s_or_b32 exec_lo, exec_lo, s14
	s_and_not1_b32 vcc_lo, exec_lo, s58
	s_cbranch_vccnz .LBB4_7310
; %bb.7050:                             ;   in Loop: Header=BB4_47 Depth=1
	s_mov_b32 s18, 1
.LBB4_7051:                             ;   Parent Loop BB4_47 Depth=1
                                        ; =>  This Loop Header: Depth=2
                                        ;       Child Loop BB4_7054 Depth 3
                                        ;         Child Loop BB4_7062 Depth 4
                                        ;         Child Loop BB4_7090 Depth 4
	;; [unrolled: 1-line block ×5, first 2 shown]
                                        ;           Child Loop BB4_7142 Depth 5
                                        ;         Child Loop BB4_7151 Depth 4
                                        ;         Child Loop BB4_7156 Depth 4
                                        ;           Child Loop BB4_7157 Depth 5
                                        ;         Child Loop BB4_7169 Depth 4
                                        ;         Child Loop BB4_7174 Depth 4
	;; [unrolled: 1-line block ×6, first 2 shown]
                                        ;       Child Loop BB4_7235 Depth 3
                                        ;         Child Loop BB4_7241 Depth 4
                                        ;         Child Loop BB4_7269 Depth 4
	;; [unrolled: 1-line block ×3, first 2 shown]
	s_delay_alu instid0(SALU_CYCLE_1) | instskip(SKIP_4) | instid1(SALU_CYCLE_1)
	s_sub_co_i32 s13, s56, s18
	s_mov_b32 s72, 0
	s_cmp_ge_i32 s13, s16
	v_mov_b32_e32 v14, 0
	s_cselect_b32 s14, s16, 0
	s_sub_co_i32 s14, s13, s14
	s_delay_alu instid0(SALU_CYCLE_1) | instskip(NEXT) | instid1(SALU_CYCLE_1)
	s_ashr_i32 s15, s14, 31
	v_mul_u64_e32 v[8:9], s[14:15], v[112:113]
	s_delay_alu instid0(VALU_DEP_1) | instskip(NEXT) | instid1(VALU_DEP_1)
	v_sub_nc_u64_e32 v[10:11], v[116:117], v[8:9]
	v_min_i64 v[10:11], v[112:113], v[10:11]
	s_delay_alu instid0(VALU_DEP_1) | instskip(SKIP_1) | instid1(VALU_DEP_2)
	v_max_i32_e32 v46, 0, v10
	v_cmp_lt_i32_e32 vcc_lo, 0, v10
	v_add_nc_u32_e32 v2, 31, v46
	s_and_b32 s13, s61, vcc_lo
	s_delay_alu instid0(VALU_DEP_1) | instskip(NEXT) | instid1(VALU_DEP_1)
	v_lshrrev_b32_e32 v2, 1, v2
	v_and_b32_e32 v11, 0x3ffffff0, v2
	s_delay_alu instid0(VALU_DEP_1)
	v_dual_mov_b32 v2, 0 :: v_dual_max_i32 v12, s57, v11
	s_and_saveexec_b32 s41, s13
	s_cbranch_execz .LBB4_7232
; %bb.7052:                             ;   in Loop: Header=BB4_7051 Depth=2
	v_add_nc_u64_e32 v[16:17], v[8:9], v[118:119]
	v_mov_b32_e32 v14, 0
	s_mov_b32 s74, 1
	s_mov_b32 s73, -1
	s_branch .LBB4_7054
.LBB4_7053:                             ;   in Loop: Header=BB4_7054 Depth=3
	s_wait_xcnt 0x0
	s_or_b32 exec_lo, exec_lo, s13
	v_dual_add_nc_u32 v14, v12, v14 :: v_dual_mov_b32 v2, s74
	s_xor_b32 s13, s73, -1
	s_mov_b32 s73, 0
	s_mov_b32 s74, 2
	s_delay_alu instid0(VALU_DEP_1) | instskip(SKIP_1) | instid1(SALU_CYCLE_1)
	v_cmp_ge_i32_e32 vcc_lo, v14, v46
	s_or_b32 s13, s13, vcc_lo
	s_and_b32 s13, exec_lo, s13
	s_delay_alu instid0(SALU_CYCLE_1) | instskip(NEXT) | instid1(SALU_CYCLE_1)
	s_or_b32 s72, s13, s72
	s_and_not1_b32 exec_lo, exec_lo, s72
	s_cbranch_execz .LBB4_7231
.LBB4_7054:                             ;   Parent Loop BB4_47 Depth=1
                                        ;     Parent Loop BB4_7051 Depth=2
                                        ; =>    This Loop Header: Depth=3
                                        ;         Child Loop BB4_7062 Depth 4
                                        ;         Child Loop BB4_7090 Depth 4
                                        ;         Child Loop BB4_7109 Depth 4
                                        ;         Child Loop BB4_7136 Depth 4
                                        ;         Child Loop BB4_7141 Depth 4
                                        ;           Child Loop BB4_7142 Depth 5
                                        ;         Child Loop BB4_7151 Depth 4
                                        ;         Child Loop BB4_7156 Depth 4
                                        ;           Child Loop BB4_7157 Depth 5
                                        ;         Child Loop BB4_7169 Depth 4
                                        ;         Child Loop BB4_7174 Depth 4
	;; [unrolled: 1-line block ×6, first 2 shown]
	s_and_saveexec_b32 s13, s0
	s_cbranch_execz .LBB4_7056
; %bb.7055:                             ;   in Loop: Header=BB4_7054 Depth=3
	s_trap 2
	ds_load_b128 v[8:11], v0
	s_wait_dscnt 0x0
	v_add_nc_u64_e32 v[18:19], v[10:11], v[16:17]
	v_cmp_ne_u64_e32 vcc_lo, 0, v[10:11]
	v_ashrrev_i32_e32 v15, 31, v14
	v_add_nc_u64_e32 v[8:9], v[8:9], v[16:17]
	s_delay_alu instid0(VALU_DEP_2) | instskip(NEXT) | instid1(VALU_DEP_1)
	v_add_nc_u64_e32 v[18:19], v[18:19], v[14:15]
	v_cndmask_b32_e32 v11, 0, v19, vcc_lo
	s_delay_alu instid0(VALU_DEP_3) | instskip(NEXT) | instid1(VALU_DEP_3)
	v_add_nc_u64_e32 v[8:9], v[8:9], v[14:15]
	v_cndmask_b32_e32 v10, 0, v18, vcc_lo
	ds_store_b64 v0, v[8:9]
	ds_store_b64 v0, v[10:11]
.LBB4_7056:                             ;   in Loop: Header=BB4_7054 Depth=3
	s_or_b32 exec_lo, exec_lo, s13
	v_sub_nc_u32_e32 v2, v46, v14
	v_and_b32_e32 v8, 12, v30
	s_mov_b32 s14, exec_lo
	s_delay_alu instid0(VALU_DEP_2) | instskip(NEXT) | instid1(VALU_DEP_2)
	v_min_i32_e32 v12, v12, v2
	v_cmpx_ne_u32_e32 0, v8
	s_cbranch_execz .LBB4_7082
; %bb.7057:                             ;   in Loop: Header=BB4_7054 Depth=3
	v_and_b32_e32 v2, 8, v30
	v_add_nc_u64_e32 v[8:9], 2, v[114:115]
	s_mov_b32 s15, exec_lo
	s_wait_loadcnt_dscnt 0x1
	s_delay_alu instid0(VALU_DEP_2) | instskip(NEXT) | instid1(VALU_DEP_1)
	v_add_nc_u64_e32 v[10:11], v[50:51], v[2:3]
	v_cmpx_lt_u64_e64 v[10:11], v[8:9]
	s_cbranch_execz .LBB4_7069
; %bb.7058:                             ;   in Loop: Header=BB4_7054 Depth=3
	v_and_b32_e32 v10, 64, v30
	s_mov_b32 s44, 0
	s_mov_b32 s77, 0
                                        ; implicit-def: $sgpr45
                                        ; implicit-def: $sgpr75
                                        ; implicit-def: $sgpr76
	s_delay_alu instid0(VALU_DEP_1)
	v_cmp_eq_u32_e32 vcc_lo, 0, v10
	s_branch .LBB4_7062
.LBB4_7059:                             ;   in Loop: Header=BB4_7062 Depth=4
	s_wait_loadcnt_dscnt 0x0
	v_add_nc_u64_e32 v[18:19], v[50:51], v[2:3]
	s_or_b32 s88, s88, exec_lo
	s_delay_alu instid0(VALU_DEP_1)
	v_cmp_ge_u64_e64 s13, v[18:19], v[8:9]
	s_or_not1_b32 s79, s13, exec_lo
.LBB4_7060:                             ;   in Loop: Header=BB4_7062 Depth=4
	s_or_b32 exec_lo, exec_lo, s90
	s_delay_alu instid0(SALU_CYCLE_1)
	s_and_not1_b32 s13, s76, exec_lo
	s_and_b32 s76, s88, exec_lo
	s_and_not1_b32 s75, s75, exec_lo
	s_and_b32 s79, s79, exec_lo
	s_or_b32 s76, s13, s76
	s_or_b32 s75, s75, s79
.LBB4_7061:                             ;   in Loop: Header=BB4_7062 Depth=4
	s_or_b32 exec_lo, exec_lo, s78
	s_delay_alu instid0(SALU_CYCLE_1) | instskip(NEXT) | instid1(SALU_CYCLE_1)
	s_and_b32 s13, exec_lo, s75
	s_or_b32 s44, s13, s44
	s_and_not1_b32 s13, s45, exec_lo
	s_and_b32 s45, s76, exec_lo
	s_delay_alu instid0(SALU_CYCLE_1)
	s_or_b32 s45, s13, s45
	s_and_not1_b32 exec_lo, exec_lo, s44
	s_cbranch_execz .LBB4_7066
.LBB4_7062:                             ;   Parent Loop BB4_47 Depth=1
                                        ;     Parent Loop BB4_7051 Depth=2
                                        ;       Parent Loop BB4_7054 Depth=3
                                        ; =>      This Inner Loop Header: Depth=4
	s_sleep 1
	s_wait_loadcnt_dscnt 0x0
	flat_load_b64 v[50:51], v[32:33] scope:SCOPE_SYS
	s_or_b32 s76, s76, exec_lo
	s_or_b32 s75, s75, exec_lo
                                        ; implicit-def: $vgpr10
	s_wait_xcnt 0x0
	s_and_saveexec_b32 s78, vcc_lo
	s_cbranch_execz .LBB4_7061
; %bb.7063:                             ;   in Loop: Header=BB4_7062 Depth=4
	s_cmp_lt_i32 s77, 0x270f
	s_mov_b32 s79, -1
	s_cselect_b32 s89, -1, 0
	s_cmp_gt_i32 s77, 0x270e
	s_cbranch_scc0 .LBB4_7065
; %bb.7064:                             ;   in Loop: Header=BB4_7062 Depth=4
	s_trap 2
	ds_load_b64 v[10:11], v0
	s_and_not1_b32 s77, s89, exec_lo
	s_mov_b32 s88, 0
	s_wait_storecnt 0x0
	s_wait_loadcnt_dscnt 0x0
	flat_load_b32 v10, v[10:11] scope:SCOPE_SYS
	s_wait_loadcnt_dscnt 0x0
	global_inv scope:SCOPE_SYS
	v_cmp_eq_u32_e64 s13, 0, v10
	s_and_b32 s13, s13, exec_lo
	s_delay_alu instid0(SALU_CYCLE_1)
	s_or_b32 s89, s77, s13
	s_mov_b32 s77, 0
	s_and_saveexec_b32 s90, s89
	s_cbranch_execz .LBB4_7060
	s_branch .LBB4_7059
.LBB4_7065:                             ;   in Loop: Header=BB4_7062 Depth=4
	s_add_co_i32 s77, s77, 1
	s_mov_b32 s88, -1
                                        ; implicit-def: $vgpr10
	s_and_saveexec_b32 s90, s89
	s_cbranch_execz .LBB4_7060
	s_branch .LBB4_7059
.LBB4_7066:                             ;   in Loop: Header=BB4_7054 Depth=3
	s_or_b32 exec_lo, exec_lo, s44
	s_xor_b32 s13, s45, -1
	s_delay_alu instid0(SALU_CYCLE_1) | instskip(NEXT) | instid1(SALU_CYCLE_1)
	s_and_saveexec_b32 s44, s13
	s_xor_b32 s13, exec_lo, s44
	s_cbranch_execz .LBB4_7068
; %bb.7067:                             ;   in Loop: Header=BB4_7054 Depth=3
	v_or_b32_e32 v30, 64, v30
	s_wait_storecnt 0x0
	s_wait_loadcnt_dscnt 0x0
	ds_store_b32 v0, v10
	s_trap 2
.LBB4_7068:                             ;   in Loop: Header=BB4_7054 Depth=3
	s_or_b32 exec_lo, exec_lo, s13
.LBB4_7069:                             ;   in Loop: Header=BB4_7054 Depth=3
	s_delay_alu instid0(SALU_CYCLE_1) | instskip(SKIP_2) | instid1(VALU_DEP_1)
	s_or_b32 exec_lo, exec_lo, s15
	v_and_b32_e32 v10, 0x108, v30
	;;#ASMSTART
	s_wakeup
	;;#ASMEND
	v_cmp_ne_u32_e32 vcc_lo, 0x108, v10
                                        ; implicit-def: $vgpr10_vgpr11
	s_and_saveexec_b32 s13, vcc_lo
	s_delay_alu instid0(SALU_CYCLE_1)
	s_xor_b32 s13, exec_lo, s13
; %bb.7070:                             ;   in Loop: Header=BB4_7054 Depth=3
	v_dual_mov_b32 v11, v3 :: v_dual_bitop2_b32 v10, 7, v114 bitop3:0x40
                                        ; implicit-def: $vgpr114_vgpr115
; %bb.7071:                             ;   in Loop: Header=BB4_7054 Depth=3
	s_and_not1_saveexec_b32 s13, s13
	s_cbranch_execz .LBB4_7073
; %bb.7072:                             ;   in Loop: Header=BB4_7054 Depth=3
	v_dual_ashrrev_i32 v13, 31, v12 :: v_dual_bitop2_b32 v10, 7, v114 bitop3:0x40
	v_mov_b32_e32 v11, v3
	s_delay_alu instid0(VALU_DEP_2)
	v_mad_nc_u64_u32 v[18:19], v10, 24, v[6:7]
	flat_store_b64 v[18:19], v[12:13] offset:8
.LBB4_7073:                             ;   in Loop: Header=BB4_7054 Depth=3
	s_wait_xcnt 0x0
	s_or_b32 exec_lo, exec_lo, s13
	v_and_b32_e32 v13, 0x100, v30
	s_mov_b32 s13, -1
	s_mov_b32 s15, exec_lo
                                        ; implicit-def: $vgpr18_vgpr19
	s_delay_alu instid0(VALU_DEP_1)
	v_cmpx_ne_u32_e32 0, v13
	s_cbranch_execz .LBB4_7077
; %bb.7074:                             ;   in Loop: Header=BB4_7054 Depth=3
	v_mad_nc_u64_u32 v[20:21], v10, 24, v[6:7]
	s_mov_b32 s44, exec_lo
                                        ; implicit-def: $vgpr18_vgpr19
	s_delay_alu instid0(VALU_DEP_1)
	v_mad_u32 v21, v11, 24, v21
	flat_load_b32 v13, v[20:21]
	s_wait_loadcnt_dscnt 0x0
	v_cmp_ne_u32_e32 vcc_lo, 1, v13
	s_wait_xcnt 0x0
	v_cmpx_eq_u32_e32 1, v13
	s_cbranch_execz .LBB4_7076
; %bb.7075:                             ;   in Loop: Header=BB4_7054 Depth=3
	flat_load_b32 v18, v[20:21] offset:4 scope:SCOPE_SYS
	s_wait_loadcnt_dscnt 0x0
	v_ashrrev_i32_e32 v19, 31, v18
.LBB4_7076:                             ;   in Loop: Header=BB4_7054 Depth=3
	s_wait_xcnt 0x0
	s_or_b32 exec_lo, exec_lo, s44
	s_delay_alu instid0(SALU_CYCLE_1)
	s_or_not1_b32 s13, vcc_lo, exec_lo
.LBB4_7077:                             ;   in Loop: Header=BB4_7054 Depth=3
	s_or_b32 exec_lo, exec_lo, s15
	s_and_saveexec_b32 s15, s13
; %bb.7078:                             ;   in Loop: Header=BB4_7054 Depth=3
	v_mul_u64_e32 v[18:19], v[10:11], v[34:35]
; %bb.7079:                             ;   in Loop: Header=BB4_7054 Depth=3
	s_or_b32 exec_lo, exec_lo, s15
	v_cmp_eq_u32_e32 vcc_lo, 0, v2
	s_delay_alu instid0(VALU_DEP_2) | instskip(SKIP_3) | instid1(VALU_DEP_1)
	v_add_nc_u64_e32 v[10:11], v[36:37], v[18:19]
	v_and_b32_e32 v13, 0x2000, v30
	s_mov_b32 s13, exec_lo
	v_cndmask_b32_e32 v2, 0xd0, v92, vcc_lo
	v_add_nc_u32_e32 v2, v0, v2
	ds_store_b64 v2, v[10:11] offset:584
	v_cmpx_ne_u32_e32 0, v13
	s_cbranch_execz .LBB4_7081
; %bb.7080:                             ;   in Loop: Header=BB4_7054 Depth=3
	ds_load_b64 v[10:11], v0 offset:872
	s_wait_dscnt 0x0
	v_add_nc_u64_e32 v[10:11], 1, v[10:11]
	ds_store_b64 v0, v[10:11] offset:872
.LBB4_7081:                             ;   in Loop: Header=BB4_7054 Depth=3
	s_or_b32 exec_lo, exec_lo, s13
	v_mov_b64_e32 v[114:115], v[8:9]
.LBB4_7082:                             ;   in Loop: Header=BB4_7054 Depth=3
	s_or_b32 exec_lo, exec_lo, s14
	s_and_saveexec_b32 s13, s2
	s_cbranch_execz .LBB4_7101
; %bb.7083:                             ;   in Loop: Header=BB4_7054 Depth=3
	s_and_saveexec_b32 s14, s3
	s_delay_alu instid0(SALU_CYCLE_1)
	s_xor_b32 s14, exec_lo, s14
	s_cbranch_execz .LBB4_7098
; %bb.7084:                             ;   in Loop: Header=BB4_7054 Depth=3
	s_and_saveexec_b32 s15, s6
	s_cbranch_execz .LBB4_7097
; %bb.7085:                             ;   in Loop: Header=BB4_7054 Depth=3
	s_mov_b32 s45, exec_lo
	s_mov_b32 s44, exec_lo
	v_mbcnt_lo_u32_b32 v2, s45, 0
	global_wb scope:SCOPE_DEV
	s_wait_storecnt 0x0
	s_wait_loadcnt_dscnt 0x0
	global_inv scope:SCOPE_DEV
	v_cmpx_eq_u32_e32 0, v2
	s_cbranch_execz .LBB4_7087
; %bb.7086:                             ;   in Loop: Header=BB4_7054 Depth=3
	s_bcnt1_i32_b32 s45, s45
	s_delay_alu instid0(SALU_CYCLE_1)
	v_mov_b32_e32 v2, s45
	s_wait_loadcnt 0x0
	ds_add_u64 v0, v[2:3]
	s_trap 2
.LBB4_7087:                             ;   in Loop: Header=BB4_7054 Depth=3
	s_or_b32 exec_lo, exec_lo, s44
	s_trap 2
	ds_load_b64 v[8:9], v0
	s_wait_dscnt 0x0
	v_add_nc_u64_e32 v[48:49], v[48:49], v[52:53]
	s_mov_b32 s44, exec_lo
	s_delay_alu instid0(VALU_DEP_1)
	v_cmpx_lt_u64_e64 v[8:9], v[48:49]
	s_cbranch_execz .LBB4_7096
; %bb.7088:                             ;   in Loop: Header=BB4_7054 Depth=3
	s_mov_b32 s45, 0
	s_mov_b32 s77, 0
                                        ; implicit-def: $sgpr75
                                        ; implicit-def: $sgpr76
	s_branch .LBB4_7090
.LBB4_7089:                             ;   in Loop: Header=BB4_7090 Depth=4
	s_or_b32 exec_lo, exec_lo, s79
	s_delay_alu instid0(SALU_CYCLE_1) | instskip(NEXT) | instid1(SALU_CYCLE_1)
	s_and_b32 s78, exec_lo, s88
	s_or_b32 s45, s78, s45
	s_and_not1_b32 s75, s75, exec_lo
	s_and_b32 s78, s76, exec_lo
	s_delay_alu instid0(SALU_CYCLE_1)
	s_or_b32 s75, s75, s78
	s_and_not1_b32 exec_lo, exec_lo, s45
	s_cbranch_execz .LBB4_7094
.LBB4_7090:                             ;   Parent Loop BB4_47 Depth=1
                                        ;     Parent Loop BB4_7051 Depth=2
                                        ;       Parent Loop BB4_7054 Depth=3
                                        ; =>      This Inner Loop Header: Depth=4
	s_add_co_i32 s77, s77, 1
	s_delay_alu instid0(SALU_CYCLE_1) | instskip(SKIP_1) | instid1(SALU_CYCLE_1)
	s_cmp_lg_u32 s77, 0x2710
	s_cselect_b32 s78, -1, 0
	s_and_b32 vcc_lo, exec_lo, s78
	s_cbranch_vccz .LBB4_7092
; %bb.7091:                             ;   in Loop: Header=BB4_7090 Depth=4
	s_mov_b32 s88, -1
	s_or_b32 s76, s76, exec_lo
	s_and_saveexec_b32 s79, s78
	s_cbranch_execz .LBB4_7089
	s_branch .LBB4_7093
.LBB4_7092:                             ;   in Loop: Header=BB4_7090 Depth=4
	s_trap 2
	ds_load_b64 v[8:9], v0
	s_and_not1_b32 s78, s78, exec_lo
	s_mov_b32 s77, 0
	s_wait_loadcnt_dscnt 0x0
	flat_load_b32 v2, v[8:9] scope:SCOPE_SYS
	s_wait_loadcnt_dscnt 0x0
	global_inv scope:SCOPE_SYS
	v_cmp_eq_u32_e32 vcc_lo, 0, v2
	s_and_b32 s79, vcc_lo, exec_lo
	s_delay_alu instid0(SALU_CYCLE_1)
	s_or_b32 s78, s78, s79
	s_mov_b32 s88, -1
	s_or_b32 s76, s76, exec_lo
	s_and_saveexec_b32 s79, s78
	s_cbranch_execz .LBB4_7089
.LBB4_7093:                             ;   in Loop: Header=BB4_7090 Depth=4
	s_sleep 1
	s_trap 2
	ds_load_b64 v[8:9], v0
	s_wait_dscnt 0x0
	s_and_not1_b32 s76, s76, exec_lo
	v_cmp_ge_u64_e32 vcc_lo, v[8:9], v[48:49]
	s_or_not1_b32 s88, vcc_lo, exec_lo
	s_branch .LBB4_7089
.LBB4_7094:                             ;   in Loop: Header=BB4_7054 Depth=3
	s_or_b32 exec_lo, exec_lo, s45
	s_and_saveexec_b32 s45, s75
	s_delay_alu instid0(SALU_CYCLE_1)
	s_xor_b32 s45, exec_lo, s45
	s_cbranch_execz .LBB4_7096
; %bb.7095:                             ;   in Loop: Header=BB4_7054 Depth=3
	ds_store_b32 v0, v89
	s_trap 2
.LBB4_7096:                             ;   in Loop: Header=BB4_7054 Depth=3
	s_or_b32 exec_lo, exec_lo, s44
	;;#ASMSTART
	s_wakeup
	;;#ASMEND
.LBB4_7097:                             ;   in Loop: Header=BB4_7054 Depth=3
	s_or_b32 exec_lo, exec_lo, s15
.LBB4_7098:                             ;   in Loop: Header=BB4_7054 Depth=3
	s_and_not1_saveexec_b32 s14, s14
	s_cbranch_execz .LBB4_7100
; %bb.7099:                             ;   in Loop: Header=BB4_7054 Depth=3
	global_wb scope:SCOPE_DEV
	s_wait_storecnt 0x0
	s_wait_loadcnt_dscnt 0x0
	global_inv scope:SCOPE_DEV
	s_barrier_signal -1
	s_barrier_wait -1
.LBB4_7100:                             ;   in Loop: Header=BB4_7054 Depth=3
	s_or_b32 exec_lo, exec_lo, s14
.LBB4_7101:                             ;   in Loop: Header=BB4_7054 Depth=3
	s_delay_alu instid0(SALU_CYCLE_1) | instskip(SKIP_4) | instid1(VALU_DEP_1)
	s_or_b32 exec_lo, exec_lo, s13
	s_trap 2
	ds_load_b32 v8, v0
	v_and_b32_e32 v2, 0x4000, v30
	s_xor_b32 s13, s1, -1
	v_cmp_ne_u32_e32 vcc_lo, 0, v2
	s_and_b32 s14, s13, vcc_lo
	s_delay_alu instid0(SALU_CYCLE_1)
	s_and_saveexec_b32 s13, s14
	s_cbranch_execz .LBB4_7120
; %bb.7102:                             ;   in Loop: Header=BB4_7054 Depth=3
	s_and_saveexec_b32 s14, s3
	s_delay_alu instid0(SALU_CYCLE_1)
	s_xor_b32 s14, exec_lo, s14
	s_cbranch_execz .LBB4_7117
; %bb.7103:                             ;   in Loop: Header=BB4_7054 Depth=3
	s_and_saveexec_b32 s15, s6
	s_cbranch_execz .LBB4_7116
; %bb.7104:                             ;   in Loop: Header=BB4_7054 Depth=3
	s_mov_b32 s45, exec_lo
	s_mov_b32 s44, exec_lo
	v_mbcnt_lo_u32_b32 v2, s45, 0
	global_wb scope:SCOPE_DEV
	s_wait_storecnt 0x0
	s_wait_loadcnt_dscnt 0x0
	global_inv scope:SCOPE_DEV
	v_cmpx_eq_u32_e32 0, v2
	s_cbranch_execz .LBB4_7106
; %bb.7105:                             ;   in Loop: Header=BB4_7054 Depth=3
	s_bcnt1_i32_b32 s45, s45
	s_delay_alu instid0(SALU_CYCLE_1)
	v_mov_b32_e32 v2, s45
	s_wait_loadcnt 0x0
	ds_add_u64 v0, v[2:3]
	s_trap 2
.LBB4_7106:                             ;   in Loop: Header=BB4_7054 Depth=3
	s_or_b32 exec_lo, exec_lo, s44
	s_trap 2
	ds_load_b64 v[10:11], v0
	s_wait_dscnt 0x0
	v_add_nc_u64_e32 v[48:49], v[48:49], v[52:53]
	s_mov_b32 s44, exec_lo
	s_delay_alu instid0(VALU_DEP_1)
	v_cmpx_lt_u64_e64 v[10:11], v[48:49]
	s_cbranch_execz .LBB4_7115
; %bb.7107:                             ;   in Loop: Header=BB4_7054 Depth=3
	s_mov_b32 s45, 0
	s_mov_b32 s77, 0
                                        ; implicit-def: $sgpr75
                                        ; implicit-def: $sgpr76
	s_branch .LBB4_7109
.LBB4_7108:                             ;   in Loop: Header=BB4_7109 Depth=4
	s_or_b32 exec_lo, exec_lo, s79
	s_delay_alu instid0(SALU_CYCLE_1) | instskip(NEXT) | instid1(SALU_CYCLE_1)
	s_and_b32 s78, exec_lo, s88
	s_or_b32 s45, s78, s45
	s_and_not1_b32 s75, s75, exec_lo
	s_and_b32 s78, s76, exec_lo
	s_delay_alu instid0(SALU_CYCLE_1)
	s_or_b32 s75, s75, s78
	s_and_not1_b32 exec_lo, exec_lo, s45
	s_cbranch_execz .LBB4_7113
.LBB4_7109:                             ;   Parent Loop BB4_47 Depth=1
                                        ;     Parent Loop BB4_7051 Depth=2
                                        ;       Parent Loop BB4_7054 Depth=3
                                        ; =>      This Inner Loop Header: Depth=4
	s_add_co_i32 s77, s77, 1
	s_delay_alu instid0(SALU_CYCLE_1) | instskip(SKIP_1) | instid1(SALU_CYCLE_1)
	s_cmp_lg_u32 s77, 0x2710
	s_cselect_b32 s78, -1, 0
	s_and_b32 vcc_lo, exec_lo, s78
	s_cbranch_vccz .LBB4_7111
; %bb.7110:                             ;   in Loop: Header=BB4_7109 Depth=4
	s_mov_b32 s88, -1
	s_or_b32 s76, s76, exec_lo
	s_and_saveexec_b32 s79, s78
	s_cbranch_execz .LBB4_7108
	s_branch .LBB4_7112
.LBB4_7111:                             ;   in Loop: Header=BB4_7109 Depth=4
	s_trap 2
	ds_load_b64 v[10:11], v0
	s_and_not1_b32 s78, s78, exec_lo
	s_mov_b32 s77, 0
	s_wait_loadcnt_dscnt 0x0
	flat_load_b32 v2, v[10:11] scope:SCOPE_SYS
	s_wait_loadcnt_dscnt 0x0
	global_inv scope:SCOPE_SYS
	v_cmp_eq_u32_e32 vcc_lo, 0, v2
	s_and_b32 s79, vcc_lo, exec_lo
	s_delay_alu instid0(SALU_CYCLE_1)
	s_or_b32 s78, s78, s79
	s_mov_b32 s88, -1
	s_or_b32 s76, s76, exec_lo
	s_and_saveexec_b32 s79, s78
	s_cbranch_execz .LBB4_7108
.LBB4_7112:                             ;   in Loop: Header=BB4_7109 Depth=4
	s_sleep 1
	s_trap 2
	ds_load_b64 v[10:11], v0
	s_wait_dscnt 0x0
	s_and_not1_b32 s76, s76, exec_lo
	v_cmp_ge_u64_e32 vcc_lo, v[10:11], v[48:49]
	s_or_not1_b32 s88, vcc_lo, exec_lo
	s_branch .LBB4_7108
.LBB4_7113:                             ;   in Loop: Header=BB4_7054 Depth=3
	s_or_b32 exec_lo, exec_lo, s45
	s_and_saveexec_b32 s45, s75
	s_delay_alu instid0(SALU_CYCLE_1)
	s_xor_b32 s45, exec_lo, s45
	s_cbranch_execz .LBB4_7115
; %bb.7114:                             ;   in Loop: Header=BB4_7054 Depth=3
	ds_store_b32 v0, v89
	s_trap 2
.LBB4_7115:                             ;   in Loop: Header=BB4_7054 Depth=3
	s_or_b32 exec_lo, exec_lo, s44
	;;#ASMSTART
	s_wakeup
	;;#ASMEND
.LBB4_7116:                             ;   in Loop: Header=BB4_7054 Depth=3
	s_or_b32 exec_lo, exec_lo, s15
.LBB4_7117:                             ;   in Loop: Header=BB4_7054 Depth=3
	s_and_not1_saveexec_b32 s14, s14
	s_cbranch_execz .LBB4_7119
; %bb.7118:                             ;   in Loop: Header=BB4_7054 Depth=3
	global_wb scope:SCOPE_DEV
	s_wait_storecnt 0x0
	s_wait_loadcnt_dscnt 0x0
	global_inv scope:SCOPE_DEV
	s_barrier_signal -1
	s_barrier_wait -1
.LBB4_7119:                             ;   in Loop: Header=BB4_7054 Depth=3
	s_or_b32 exec_lo, exec_lo, s14
.LBB4_7120:                             ;   in Loop: Header=BB4_7054 Depth=3
	s_delay_alu instid0(SALU_CYCLE_1)
	s_or_b32 exec_lo, exec_lo, s13
	s_trap 2
	ds_load_b64 v[18:19], v0
	s_wait_dscnt 0x0
	v_cmp_eq_u64_e32 vcc_lo, 0, v[18:19]
	s_cbranch_vccnz .LBB4_7129
; %bb.7121:                             ;   in Loop: Header=BB4_7054 Depth=3
	s_trap 2
	ds_load_b64 v[20:21], v0
	s_wait_dscnt 0x0
	v_cmp_eq_u64_e32 vcc_lo, 0, v[20:21]
	s_cbranch_vccnz .LBB4_7129
; %bb.7122:                             ;   in Loop: Header=BB4_7054 Depth=3
	s_trap 2
	ds_load_b64 v[22:23], v0
	v_cmp_eq_u32_e64 s13, 0, v8
	s_delay_alu instid0(VALU_DEP_1)
	v_cndmask_b32_e64 v2, 0, v12, s13
	s_mov_b32 s13, -1
	s_wait_dscnt 0x0
	v_cmp_ne_u64_e32 vcc_lo, 0, v[22:23]
	s_cbranch_vccz .LBB4_7160
; %bb.7123:                             ;   in Loop: Header=BB4_7054 Depth=3
	s_and_saveexec_b32 s14, s11
	s_cbranch_execz .LBB4_7125
; %bb.7124:                             ;   in Loop: Header=BB4_7054 Depth=3
	ds_load_b32 v8, v0 offset:720
	s_wait_dscnt 0x0
	v_and_b32_e32 v8, 15, v8
	s_delay_alu instid0(VALU_DEP_1)
	v_cmp_eq_u32_e32 vcc_lo, 0, v8
	s_or_not1_b32 s13, vcc_lo, exec_lo
.LBB4_7125:                             ;   in Loop: Header=BB4_7054 Depth=3
	s_or_b32 exec_lo, exec_lo, s14
	s_and_saveexec_b32 s14, s12
	s_cbranch_execz .LBB4_7127
; %bb.7126:                             ;   in Loop: Header=BB4_7054 Depth=3
	ds_load_b32 v8, v0 offset:784
	s_wait_dscnt 0x0
	v_and_b32_e32 v8, 15, v8
	s_delay_alu instid0(VALU_DEP_1) | instskip(SKIP_3) | instid1(SALU_CYCLE_1)
	v_cmp_eq_u32_e32 vcc_lo, 0, v8
	s_and_b32 s15, s13, vcc_lo
	s_and_not1_b32 s13, s13, exec_lo
	s_and_b32 s15, s15, exec_lo
	s_or_b32 s13, s13, s15
.LBB4_7127:                             ;   in Loop: Header=BB4_7054 Depth=3
	s_or_b32 exec_lo, exec_lo, s14
	s_xor_b32 s13, s13, -1
	v_dual_mov_b32 v13, 0 :: v_dual_mov_b32 v15, v2
	v_cndmask_b32_e64 v8, 0, 1, s13
	v_mov_b32_e32 v26, v0
	s_mov_b32 s13, -1
	s_delay_alu instid0(VALU_DEP_2)
	v_cmp_ne_u32_e32 vcc_lo, 0, v8
	v_mov_b32_e32 v8, v93
	s_cbranch_vccz .LBB4_7134
; %bb.7128:                             ;   in Loop: Header=BB4_7054 Depth=3
	s_and_saveexec_b32 s15, s13
	s_cbranch_execnz .LBB4_7149
	s_branch .LBB4_7159
.LBB4_7129:                             ;   in Loop: Header=BB4_7054 Depth=3
	s_mov_b32 s13, 0
	s_and_saveexec_b32 s14, s2
	s_cbranch_execnz .LBB4_7190
.LBB4_7130:                             ;   in Loop: Header=BB4_7054 Depth=3
	s_or_b32 exec_lo, exec_lo, s14
                                        ; implicit-def: $vgpr2
	s_and_saveexec_b32 s14, s10
	s_delay_alu instid0(SALU_CYCLE_1)
	s_xor_b32 s14, exec_lo, s14
	s_cbranch_execz .LBB4_7208
.LBB4_7131:                             ;   in Loop: Header=BB4_7054 Depth=3
	v_and_b32_e32 v2, 16, v30
	s_delay_alu instid0(VALU_DEP_1) | instskip(SKIP_2) | instid1(SALU_CYCLE_1)
	v_cmp_ne_u32_e32 vcc_lo, 0, v2
	v_and_b32_e32 v2, 16, v30
	s_and_b32 s15, vcc_lo, s13
	s_and_saveexec_b32 s13, s15
	s_cbranch_execz .LBB4_7133
; %bb.7132:                             ;   in Loop: Header=BB4_7054 Depth=3
	v_mov_b32_e32 v2, 1
	global_wb scope:SCOPE_SYS
	s_wait_storecnt 0x0
	s_wait_loadcnt_dscnt 0x0
	global_inv scope:SCOPE_SYS
.LBB4_7133:                             ;   in Loop: Header=BB4_7054 Depth=3
	s_or_b32 exec_lo, exec_lo, s13
	s_and_not1_saveexec_b32 s13, s14
	s_cbranch_execz .LBB4_7227
	s_branch .LBB4_7209
.LBB4_7134:                             ;   in Loop: Header=BB4_7054 Depth=3
	v_ashrrev_i32_e32 v8, 31, v2
	s_mov_b32 s13, exec_lo
	s_delay_alu instid0(VALU_DEP_1) | instskip(NEXT) | instid1(VALU_DEP_1)
	v_lshrrev_b32_e32 v8, 22, v8
	v_add_nc_u32_e32 v8, v2, v8
	s_delay_alu instid0(VALU_DEP_1) | instskip(NEXT) | instid1(VALU_DEP_1)
	v_ashrrev_i32_e32 v13, 10, v8
	v_sub_nc_u32_e32 v24, v13, v93
	s_delay_alu instid0(VALU_DEP_1)
	v_cmpx_lt_i32_e32 0, v24
	s_cbranch_execz .LBB4_7138
; %bb.7135:                             ;   in Loop: Header=BB4_7054 Depth=3
	v_add_nc_u64_e32 v[8:9], v[18:19], v[102:103]
	v_add_nc_u64_e32 v[10:11], v[20:21], v[102:103]
	v_add_nc_u64_e32 v[40:41], v[22:23], v[102:103]
	s_mov_b32 s14, 0
.LBB4_7136:                             ;   Parent Loop BB4_47 Depth=1
                                        ;     Parent Loop BB4_7051 Depth=2
                                        ;       Parent Loop BB4_7054 Depth=3
                                        ; =>      This Inner Loop Header: Depth=4
	s_clause 0x1
	global_load_b128 v[26:29], v[8:9], off th:TH_LOAD_NT
	global_load_b128 v[42:45], v[8:9], off offset:512 th:TH_LOAD_NT
	v_sub_nc_u32_e32 v24, v24, v52
	s_wait_xcnt 0x0
	v_add_nc_u64_e32 v[8:9], v[8:9], v[82:83]
	s_wait_loadcnt 0x1
	global_store_b128 v[10:11], v[26:29], off th:TH_STORE_NT
	s_wait_loadcnt 0x0
	global_store_b128 v[10:11], v[42:45], off offset:512 th:TH_STORE_NT
	s_clause 0x1
	global_store_b128 v[40:41], v[26:29], off th:TH_STORE_NT
	global_store_b128 v[40:41], v[42:45], off offset:512 th:TH_STORE_NT
	v_cmp_gt_i32_e32 vcc_lo, 1, v24
	s_wait_xcnt 0x2
	v_add_nc_u64_e32 v[10:11], v[10:11], v[82:83]
	s_wait_xcnt 0x0
	v_add_nc_u64_e32 v[40:41], v[40:41], v[82:83]
	s_or_b32 s14, vcc_lo, s14
	s_delay_alu instid0(SALU_CYCLE_1)
	s_and_not1_b32 exec_lo, exec_lo, s14
	s_cbranch_execnz .LBB4_7136
; %bb.7137:                             ;   in Loop: Header=BB4_7054 Depth=3
	s_or_b32 exec_lo, exec_lo, s14
.LBB4_7138:                             ;   in Loop: Header=BB4_7054 Depth=3
	s_delay_alu instid0(SALU_CYCLE_1) | instskip(SKIP_3) | instid1(VALU_DEP_1)
	s_or_b32 exec_lo, exec_lo, s13
	v_dual_lshlrev_b32 v27, 10, v13 :: v_dual_mov_b32 v13, 0
	s_mov_b32 s13, 0
	s_mov_b32 s75, exec_lo
                                        ; implicit-def: $vgpr15
                                        ; implicit-def: $vgpr26
                                        ; implicit-def: $vgpr8
	v_cmpx_ne_u32_e64 v2, v27
	s_cbranch_execz .LBB4_7148
; %bb.7139:                             ;   in Loop: Header=BB4_7054 Depth=3
	v_dual_lshlrev_b32 v8, 5, v24 :: v_dual_sub_nc_u32 v10, v2, v27
	s_mov_b32 s76, exec_lo
	s_delay_alu instid0(VALU_DEP_1) | instskip(NEXT) | instid1(VALU_DEP_1)
	v_dual_sub_nc_u32 v8, v94, v8 :: v_dual_ashrrev_i32 v11, 31, v10
	v_dual_ashrrev_i32 v9, 31, v8 :: v_dual_lshrrev_b32 v11, 23, v11
	s_delay_alu instid0(VALU_DEP_1) | instskip(NEXT) | instid1(VALU_DEP_1)
	v_lshrrev_b32_e32 v9, 27, v9
	v_add_nc_u32_e32 v9, v8, v9
	s_delay_alu instid0(VALU_DEP_1) | instskip(NEXT) | instid1(VALU_DEP_1)
	v_and_b32_e32 v13, 0xffffffe0, v9
	v_dual_add_nc_u32 v11, v10, v11 :: v_dual_sub_nc_u32 v29, v8, v13
	s_delay_alu instid0(VALU_DEP_1) | instskip(SKIP_1) | instid1(VALU_DEP_2)
	v_and_b32_e32 v28, 0xfffffe00, v11
	v_dual_ashrrev_i32 v9, 5, v9 :: v_dual_ashrrev_i32 v11, 9, v11
	v_dual_lshlrev_b32 v8, 4, v29 :: v_dual_sub_nc_u32 v47, v10, v28
	s_delay_alu instid0(VALU_DEP_1) | instskip(NEXT) | instid1(VALU_DEP_2)
	v_lshl_add_u32 v8, v9, 9, v8
	v_cmp_lt_i32_e64 s13, 15, v47
	s_delay_alu instid0(VALU_DEP_1) | instskip(NEXT) | instid1(VALU_DEP_1)
	v_add_co_ci_u32_e64 v11, null, 0, v11, s13
	v_dual_sub_nc_u32 v13, v10, v8 :: v_dual_sub_nc_u32 v56, v11, v9
	s_delay_alu instid0(VALU_DEP_1)
	v_cmpx_lt_i32_e32 15, v13
	s_cbranch_execz .LBB4_7145
; %bb.7140:                             ;   in Loop: Header=BB4_7054 Depth=3
	v_add_nc_u32_e32 v8, v8, v27
	s_mov_b32 s77, 0
	s_delay_alu instid0(VALU_DEP_1) | instskip(NEXT) | instid1(VALU_DEP_1)
	v_ashrrev_i32_e32 v9, 31, v8
	v_add_nc_u64_e32 v[40:41], v[8:9], v[18:19]
	v_add_nc_u64_e32 v[42:43], v[8:9], v[20:21]
	;; [unrolled: 1-line block ×3, first 2 shown]
.LBB4_7141:                             ;   Parent Loop BB4_47 Depth=1
                                        ;     Parent Loop BB4_7051 Depth=2
                                        ;       Parent Loop BB4_7054 Depth=3
                                        ; =>      This Loop Header: Depth=4
                                        ;           Child Loop BB4_7142 Depth 5
	global_load_b128 v[8:11], v[40:41], off th:TH_LOAD_NT
	s_mov_b64 s[44:45], 0
	s_mov_b32 s78, -1
.LBB4_7142:                             ;   Parent Loop BB4_47 Depth=1
                                        ;     Parent Loop BB4_7051 Depth=2
                                        ;       Parent Loop BB4_7054 Depth=3
                                        ;         Parent Loop BB4_7141 Depth=4
                                        ; =>        This Inner Loop Header: Depth=5
	s_cmp_eq_u32 s44, 1
	s_cselect_b32 vcc_lo, -1, 0
	s_cmp_eq_u32 s44, 0
	s_wait_xcnt 0x0
	v_dual_cndmask_b32 v25, v43, v45 :: v_dual_cndmask_b32 v24, v42, v44
	s_cselect_b32 s14, -1, 0
	s_and_b32 s15, exec_lo, s78
	s_mov_b64 s[44:45], 1
	s_mov_b32 s78, 0
	v_add_nc_u64_e32 v[68:69], 0x200, v[24:25]
	s_wait_loadcnt 0x0
	global_store_b128 v[24:25], v[8:11], off th:TH_STORE_NT
	v_dual_cndmask_b32 v45, v45, v69 :: v_dual_cndmask_b32 v44, v44, v68
	v_dual_cndmask_b32 v43, v43, v69, s14 :: v_dual_cndmask_b32 v42, v42, v68, s14
	s_mov_b32 vcc_lo, s15
	s_cbranch_vccnz .LBB4_7142
; %bb.7143:                             ;   in Loop: Header=BB4_7141 Depth=4
	v_sub_nc_u32_e32 v13, v13, v80
	s_delay_alu instid0(VALU_DEP_2)
	v_add_nc_u64_e32 v[42:43], v[42:43], v[86:87]
	v_add_nc_u64_e32 v[44:45], v[44:45], v[86:87]
	s_wait_xcnt 0x1
	v_add_nc_u64_e32 v[40:41], v[100:101], v[40:41]
	v_sub_nc_u32_e32 v56, v56, v52
	v_cmp_gt_i32_e32 vcc_lo, 16, v13
	s_or_b32 s77, vcc_lo, s77
	s_wait_xcnt 0x0
	s_and_not1_b32 exec_lo, exec_lo, s77
	s_cbranch_execnz .LBB4_7141
; %bb.7144:                             ;   in Loop: Header=BB4_7054 Depth=3
	s_or_b32 exec_lo, exec_lo, s77
.LBB4_7145:                             ;   in Loop: Header=BB4_7054 Depth=3
	s_delay_alu instid0(SALU_CYCLE_1) | instskip(SKIP_3) | instid1(VALU_DEP_1)
	s_or_b32 exec_lo, exec_lo, s76
	v_dual_mov_b32 v13, 0 :: v_dual_bitop2_b32 v9, 15, v2 bitop3:0x40
	s_mov_b32 s14, 0
	s_mov_b32 s15, exec_lo
                                        ; implicit-def: $vgpr26
                                        ; implicit-def: $vgpr8
	v_cndmask_b32_e64 v15, v47, v9, s13
	s_delay_alu instid0(VALU_DEP_1)
	v_cmpx_ne_u32_e32 0, v15
	s_cbranch_execz .LBB4_7147
; %bb.7146:                             ;   in Loop: Header=BB4_7054 Depth=3
	v_cmp_lt_i32_e32 vcc_lo, 0, v56
	s_mov_b32 s14, exec_lo
	v_dual_cndmask_b32 v8, 0, v52 :: v_dual_sub_nc_u32 v9, v47, v9
	s_delay_alu instid0(VALU_DEP_1) | instskip(NEXT) | instid1(VALU_DEP_1)
	v_dual_cndmask_b32 v9, 0, v9, s13 :: v_dual_sub_nc_u32 v8, v8, v56
	v_add3_u32 v13, v28, v27, v9
	s_delay_alu instid0(VALU_DEP_2) | instskip(NEXT) | instid1(VALU_DEP_1)
	v_lshl_add_u32 v26, v8, 5, v29
	v_ashrrev_i32_e32 v8, 31, v26
	s_delay_alu instid0(VALU_DEP_1) | instskip(NEXT) | instid1(VALU_DEP_1)
	v_lshrrev_b32_e32 v8, 27, v8
	v_add_nc_u32_e32 v8, v26, v8
	s_delay_alu instid0(VALU_DEP_1)
	v_ashrrev_i32_e32 v8, 5, v8
.LBB4_7147:                             ;   in Loop: Header=BB4_7054 Depth=3
	s_or_b32 exec_lo, exec_lo, s15
	s_delay_alu instid0(SALU_CYCLE_1)
	s_and_b32 s13, s14, exec_lo
.LBB4_7148:                             ;   in Loop: Header=BB4_7054 Depth=3
	s_or_b32 exec_lo, exec_lo, s75
	s_and_saveexec_b32 s15, s13
	s_cbranch_execz .LBB4_7159
.LBB4_7149:                             ;   in Loop: Header=BB4_7054 Depth=3
	v_ashrrev_i32_e32 v9, 31, v15
	s_mov_b32 s13, exec_lo
	s_delay_alu instid0(VALU_DEP_1) | instskip(NEXT) | instid1(VALU_DEP_1)
	v_lshrrev_b32_e32 v9, 23, v9
	v_add_nc_u32_e32 v9, v15, v9
	s_delay_alu instid0(VALU_DEP_1) | instskip(NEXT) | instid1(VALU_DEP_1)
	v_dual_ashrrev_i32 v29, 9, v9 :: v_dual_ashrrev_i32 v9, 31, v26
	v_dual_sub_nc_u32 v27, v29, v8 :: v_dual_lshrrev_b32 v28, 27, v9
	s_delay_alu instid0(VALU_DEP_1)
	v_cmpx_lt_i32_e32 0, v27
	s_cbranch_execz .LBB4_7153
; %bb.7150:                             ;   in Loop: Header=BB4_7054 Depth=3
	s_delay_alu instid0(VALU_DEP_2) | instskip(SKIP_2) | instid1(VALU_DEP_2)
	v_add_nc_u32_e32 v9, v26, v28
	v_add_nc_u64_e32 v[68:69], 0x1e0, v[18:19]
	s_mov_b32 s14, 0
	v_and_b32_e32 v9, 0xffffffe0, v9
	s_delay_alu instid0(VALU_DEP_1) | instskip(NEXT) | instid1(VALU_DEP_1)
	v_dual_lshlrev_b32 v8, 9, v8 :: v_dual_sub_nc_u32 v9, v26, v9
	v_add3_u32 v24, v13, v9, v8
	s_delay_alu instid0(VALU_DEP_1) | instskip(NEXT) | instid1(VALU_DEP_1)
	v_ashrrev_i32_e32 v25, 31, v24
	v_add_nc_u64_e32 v[8:9], v[24:25], v[20:21]
	v_add_nc_u64_e32 v[10:11], v[24:25], v[22:23]
	;; [unrolled: 1-line block ×3, first 2 shown]
.LBB4_7151:                             ;   Parent Loop BB4_47 Depth=1
                                        ;     Parent Loop BB4_7051 Depth=2
                                        ;       Parent Loop BB4_7054 Depth=3
                                        ; =>      This Inner Loop Header: Depth=4
	s_clause 0xf
	flat_load_u8 v24, v[22:23] offset:-480 th:TH_LOAD_NT
	flat_load_u8 v25, v[22:23] offset:-448 th:TH_LOAD_NT
	;; [unrolled: 1-line block ×15, first 2 shown]
	flat_load_u8 v60, v[22:23] th:TH_LOAD_NT
	v_sub_nc_u32_e32 v27, v27, v52
	s_wait_xcnt 0x0
	v_add_nc_u64_e32 v[22:23], v[22:23], v[80:81]
	s_wait_loadcnt_dscnt 0xf0f
	flat_store_b8 v[8:9], v24 th:TH_STORE_NT
	s_wait_loadcnt_dscnt 0xe0f
	flat_store_b8 v[8:9], v25 offset:32 th:TH_STORE_NT
	s_wait_loadcnt_dscnt 0xd0f
	flat_store_b8 v[8:9], v68 offset:64 th:TH_STORE_NT
	;; [unrolled: 2-line block ×15, first 2 shown]
	s_clause 0xf
	flat_store_b8 v[10:11], v24 th:TH_STORE_NT
	flat_store_b8 v[10:11], v25 offset:32 th:TH_STORE_NT
	flat_store_b8 v[10:11], v68 offset:64 th:TH_STORE_NT
	;; [unrolled: 1-line block ×15, first 2 shown]
	v_cmp_gt_i32_e32 vcc_lo, 1, v27
	s_wait_xcnt 0x10
	v_add_nc_u64_e32 v[8:9], v[8:9], v[80:81]
	s_wait_xcnt 0x0
	v_add_nc_u64_e32 v[10:11], v[10:11], v[80:81]
	s_or_b32 s14, vcc_lo, s14
	s_delay_alu instid0(SALU_CYCLE_1)
	s_and_not1_b32 exec_lo, exec_lo, s14
	s_cbranch_execnz .LBB4_7151
; %bb.7152:                             ;   in Loop: Header=BB4_7054 Depth=3
	s_or_b32 exec_lo, exec_lo, s14
.LBB4_7153:                             ;   in Loop: Header=BB4_7054 Depth=3
	s_delay_alu instid0(SALU_CYCLE_1) | instskip(SKIP_1) | instid1(VALU_DEP_1)
	s_or_b32 exec_lo, exec_lo, s13
	v_lshlrev_b32_e32 v8, 9, v29
	v_cmp_ne_u32_e32 vcc_lo, v15, v8
	s_and_b32 exec_lo, exec_lo, vcc_lo
	s_cbranch_execz .LBB4_7159
; %bb.7154:                             ;   in Loop: Header=BB4_7054 Depth=3
	v_dual_add_nc_u32 v9, v26, v28 :: v_dual_lshlrev_b32 v10, 5, v27
	s_delay_alu instid0(VALU_DEP_1) | instskip(NEXT) | instid1(VALU_DEP_1)
	v_and_b32_e32 v9, 0xffffffe0, v9
	v_sub_nc_u32_e32 v9, v26, v9
	s_delay_alu instid0(VALU_DEP_1) | instskip(NEXT) | instid1(VALU_DEP_1)
	v_sub_nc_u32_e32 v9, v9, v10
	v_add_nc_u32_e32 v8, v8, v9
	s_delay_alu instid0(VALU_DEP_1) | instskip(NEXT) | instid1(VALU_DEP_1)
	v_sub_nc_u32_e32 v15, v15, v8
	v_cmp_lt_i32_e32 vcc_lo, 0, v15
	s_and_b32 exec_lo, exec_lo, vcc_lo
	s_cbranch_execz .LBB4_7159
; %bb.7155:                             ;   in Loop: Header=BB4_7054 Depth=3
	s_trap 2
	ds_load_b64 v[10:11], v0
	ds_load_b128 v[22:25], v0
	v_add_nc_u32_e32 v26, v8, v13
	s_mov_b32 s75, 0
	s_delay_alu instid0(VALU_DEP_1) | instskip(SKIP_1) | instid1(VALU_DEP_1)
	v_ashrrev_i32_e32 v27, 31, v26
	s_wait_dscnt 0x1
	v_add_nc_u64_e32 v[8:9], v[10:11], v[26:27]
	s_wait_dscnt 0x0
	v_add_nc_u64_e32 v[10:11], v[22:23], v[26:27]
	v_add_nc_u64_e32 v[22:23], v[24:25], v[26:27]
.LBB4_7156:                             ;   Parent Loop BB4_47 Depth=1
                                        ;     Parent Loop BB4_7051 Depth=2
                                        ;       Parent Loop BB4_7054 Depth=3
                                        ; =>      This Loop Header: Depth=4
                                        ;           Child Loop BB4_7157 Depth 5
	flat_load_u8 v13, v[8:9] th:TH_LOAD_NT
	s_mov_b64 s[44:45], 0
	s_mov_b32 s76, -1
.LBB4_7157:                             ;   Parent Loop BB4_47 Depth=1
                                        ;     Parent Loop BB4_7051 Depth=2
                                        ;       Parent Loop BB4_7054 Depth=3
                                        ;         Parent Loop BB4_7156 Depth=4
                                        ; =>        This Inner Loop Header: Depth=5
	s_cmp_eq_u32 s44, 1
	s_cselect_b32 vcc_lo, -1, 0
	s_cmp_eq_u32 s44, 0
	s_wait_xcnt 0x0
	v_dual_cndmask_b32 v25, v11, v23 :: v_dual_cndmask_b32 v24, v10, v22
	s_cselect_b32 s13, -1, 0
	s_and_b32 s14, exec_lo, s76
	s_mov_b64 s[44:45], 1
	s_mov_b32 s76, 0
	v_add_nc_u64_e32 v[26:27], 32, v[24:25]
	s_wait_loadcnt_dscnt 0x0
	flat_store_b8 v[24:25], v13 th:TH_STORE_NT
	v_dual_cndmask_b32 v23, v23, v27 :: v_dual_cndmask_b32 v22, v22, v26
	v_dual_cndmask_b32 v11, v11, v27, s13 :: v_dual_cndmask_b32 v10, v10, v26, s13
	s_mov_b32 vcc_lo, s14
	s_cbranch_vccnz .LBB4_7157
; %bb.7158:                             ;   in Loop: Header=BB4_7156 Depth=4
	v_sub_nc_u32_e32 v15, v15, v54
	s_delay_alu instid0(VALU_DEP_2)
	v_add_nc_u64_e32 v[10:11], v[10:11], v[84:85]
	v_add_nc_u64_e32 v[22:23], v[22:23], v[84:85]
	s_wait_xcnt 0x1
	v_add_nc_u64_e32 v[8:9], v[96:97], v[8:9]
	v_cmp_gt_i32_e32 vcc_lo, 1, v15
	s_or_b32 s75, vcc_lo, s75
	s_wait_xcnt 0x0
	s_and_not1_b32 exec_lo, exec_lo, s75
	s_cbranch_execnz .LBB4_7156
.LBB4_7159:                             ;   in Loop: Header=BB4_7054 Depth=3
	s_or_b32 exec_lo, exec_lo, s15
	s_mov_b32 s13, 0
.LBB4_7160:                             ;   in Loop: Header=BB4_7054 Depth=3
	s_delay_alu instid0(SALU_CYCLE_1)
	s_and_b32 vcc_lo, exec_lo, s13
	s_cbranch_vccz .LBB4_7189
; %bb.7161:                             ;   in Loop: Header=BB4_7054 Depth=3
	s_mov_b32 s13, -1
	s_and_saveexec_b32 s14, s11
	s_cbranch_execz .LBB4_7163
; %bb.7162:                             ;   in Loop: Header=BB4_7054 Depth=3
	ds_load_b32 v8, v0 offset:720
	s_wait_dscnt 0x0
	v_and_b32_e32 v8, 15, v8
	s_delay_alu instid0(VALU_DEP_1)
	v_cmp_eq_u32_e32 vcc_lo, 0, v8
	s_or_not1_b32 s13, vcc_lo, exec_lo
.LBB4_7163:                             ;   in Loop: Header=BB4_7054 Depth=3
	s_or_b32 exec_lo, exec_lo, s14
	s_and_saveexec_b32 s14, s7
	s_cbranch_execz .LBB4_7165
; %bb.7164:                             ;   in Loop: Header=BB4_7054 Depth=3
	ds_load_b32 v8, v0 offset:784
	s_wait_dscnt 0x0
	v_and_b32_e32 v8, 15, v8
	s_delay_alu instid0(VALU_DEP_1) | instskip(SKIP_3) | instid1(SALU_CYCLE_1)
	v_cmp_eq_u32_e32 vcc_lo, 0, v8
	s_and_b32 s15, s13, vcc_lo
	s_and_not1_b32 s13, s13, exec_lo
	s_and_b32 s15, s15, exec_lo
	s_or_b32 s13, s13, s15
.LBB4_7165:                             ;   in Loop: Header=BB4_7054 Depth=3
	s_or_b32 exec_lo, exec_lo, s14
	s_xor_b32 s13, s13, -1
	v_dual_mov_b32 v10, 0 :: v_dual_mov_b32 v11, v2
	v_cndmask_b32_e64 v8, 0, 1, s13
	v_mov_b32_e32 v13, v0
	s_mov_b32 s15, -1
	s_delay_alu instid0(VALU_DEP_2)
	v_cmp_ne_u32_e32 vcc_lo, 0, v8
	v_mov_b32_e32 v8, v93
	s_cbranch_vccz .LBB4_7167
; %bb.7166:                             ;   in Loop: Header=BB4_7054 Depth=3
	s_and_saveexec_b32 s13, s15
	s_cbranch_execnz .LBB4_7180
	s_branch .LBB4_7188
.LBB4_7167:                             ;   in Loop: Header=BB4_7054 Depth=3
	v_ashrrev_i32_e32 v8, 31, v2
	s_mov_b32 s13, exec_lo
	s_delay_alu instid0(VALU_DEP_1) | instskip(NEXT) | instid1(VALU_DEP_1)
	v_lshrrev_b32_e32 v8, 21, v8
	v_add_nc_u32_e32 v8, v2, v8
	s_delay_alu instid0(VALU_DEP_1) | instskip(NEXT) | instid1(VALU_DEP_1)
	v_ashrrev_i32_e32 v13, 11, v8
	v_sub_nc_u32_e32 v22, v13, v93
	s_delay_alu instid0(VALU_DEP_1)
	v_cmpx_lt_i32_e32 0, v22
	s_cbranch_execz .LBB4_7171
; %bb.7168:                             ;   in Loop: Header=BB4_7054 Depth=3
	v_mov_b64_e32 v[8:9], v[20:21]
	v_mov_b64_e32 v[10:11], v[18:19]
	s_mov_b32 s14, 0
.LBB4_7169:                             ;   Parent Loop BB4_47 Depth=1
                                        ;     Parent Loop BB4_7051 Depth=2
                                        ;       Parent Loop BB4_7054 Depth=3
                                        ; =>      This Inner Loop Header: Depth=4
	s_delay_alu instid0(VALU_DEP_1)
	v_add_nc_u64_e32 v[28:29], v[98:99], v[10:11]
	v_sub_nc_u32_e32 v22, v22, v52
	v_add_nc_u64_e32 v[10:11], v[10:11], v[70:71]
	s_clause 0x3
	global_load_b128 v[24:27], v[28:29], off th:TH_LOAD_NT
	global_load_b128 v[40:43], v[28:29], off offset:512 th:TH_LOAD_NT
	global_load_b128 v[56:59], v[28:29], off offset:1024 th:TH_LOAD_NT
	;; [unrolled: 1-line block ×3, first 2 shown]
	s_wait_xcnt 0x0
	v_add_nc_u64_e32 v[28:29], v[98:99], v[8:9]
	v_cmp_gt_i32_e32 vcc_lo, 1, v22
	v_add_nc_u64_e32 v[8:9], v[8:9], v[70:71]
	s_wait_loadcnt 0x3
	global_store_b128 v[28:29], v[24:27], off th:TH_STORE_NT
	s_wait_loadcnt 0x2
	global_store_b128 v[28:29], v[40:43], off offset:512 th:TH_STORE_NT
	s_wait_loadcnt 0x1
	global_store_b128 v[28:29], v[56:59], off offset:1024 th:TH_STORE_NT
	;; [unrolled: 2-line block ×3, first 2 shown]
	s_or_b32 s14, vcc_lo, s14
	s_wait_xcnt 0x0
	s_and_not1_b32 exec_lo, exec_lo, s14
	s_cbranch_execnz .LBB4_7169
; %bb.7170:                             ;   in Loop: Header=BB4_7054 Depth=3
	s_or_b32 exec_lo, exec_lo, s14
.LBB4_7171:                             ;   in Loop: Header=BB4_7054 Depth=3
	s_delay_alu instid0(SALU_CYCLE_1) | instskip(SKIP_3) | instid1(VALU_DEP_1)
	s_or_b32 exec_lo, exec_lo, s13
	v_dual_mov_b32 v10, 0 :: v_dual_lshlrev_b32 v15, 11, v13
	s_mov_b32 s15, 0
	s_mov_b32 s14, exec_lo
                                        ; implicit-def: $vgpr11
                                        ; implicit-def: $vgpr13
                                        ; implicit-def: $vgpr8
	v_cmpx_ne_u32_e64 v2, v15
	s_cbranch_execz .LBB4_7179
; %bb.7172:                             ;   in Loop: Header=BB4_7054 Depth=3
	v_dual_lshlrev_b32 v8, 5, v22 :: v_dual_sub_nc_u32 v10, v2, v15
	s_mov_b32 s15, exec_lo
	s_delay_alu instid0(VALU_DEP_1) | instskip(NEXT) | instid1(VALU_DEP_1)
	v_dual_sub_nc_u32 v8, v94, v8 :: v_dual_ashrrev_i32 v11, 31, v10
	v_dual_ashrrev_i32 v9, 31, v8 :: v_dual_lshrrev_b32 v11, 23, v11
	s_delay_alu instid0(VALU_DEP_1) | instskip(NEXT) | instid1(VALU_DEP_1)
	v_lshrrev_b32_e32 v9, 27, v9
	v_add_nc_u32_e32 v9, v8, v9
	s_delay_alu instid0(VALU_DEP_1) | instskip(NEXT) | instid1(VALU_DEP_1)
	v_and_b32_e32 v13, 0xffffffe0, v9
	v_dual_add_nc_u32 v11, v10, v11 :: v_dual_sub_nc_u32 v23, v8, v13
	s_delay_alu instid0(VALU_DEP_1) | instskip(SKIP_1) | instid1(VALU_DEP_2)
	v_and_b32_e32 v22, 0xfffffe00, v11
	v_dual_ashrrev_i32 v9, 5, v9 :: v_dual_ashrrev_i32 v11, 9, v11
	v_dual_lshlrev_b32 v8, 4, v23 :: v_dual_sub_nc_u32 v26, v10, v22
	s_delay_alu instid0(VALU_DEP_1) | instskip(NEXT) | instid1(VALU_DEP_2)
	v_lshl_add_u32 v8, v9, 9, v8
	v_cmp_lt_i32_e32 vcc_lo, 15, v26
	s_delay_alu instid0(VALU_DEP_4) | instskip(NEXT) | instid1(VALU_DEP_1)
	v_add_co_ci_u32_e64 v11, null, 0, v11, vcc_lo
	v_dual_sub_nc_u32 v10, v10, v8 :: v_dual_sub_nc_u32 v24, v11, v9
	s_delay_alu instid0(VALU_DEP_1)
	v_cmpx_lt_i32_e32 15, v10
	s_cbranch_execz .LBB4_7176
; %bb.7173:                             ;   in Loop: Header=BB4_7054 Depth=3
	v_add_nc_u32_e32 v8, v8, v15
	s_mov_b32 s44, 0
	s_delay_alu instid0(VALU_DEP_1)
	v_ashrrev_i32_e32 v9, 31, v8
.LBB4_7174:                             ;   Parent Loop BB4_47 Depth=1
                                        ;     Parent Loop BB4_7051 Depth=2
                                        ;       Parent Loop BB4_7054 Depth=3
                                        ; =>      This Inner Loop Header: Depth=4
	s_delay_alu instid0(VALU_DEP_1) | instskip(SKIP_2) | instid1(VALU_DEP_2)
	v_add_nc_u64_e32 v[28:29], v[18:19], v[8:9]
	v_sub_nc_u32_e32 v10, v10, v80
	v_sub_nc_u32_e32 v24, v24, v52
	v_cmp_gt_i32_e64 s13, 16, v10
	global_load_b128 v[40:43], v[28:29], off th:TH_LOAD_NT
	s_wait_xcnt 0x0
	v_add_nc_u64_e32 v[28:29], v[20:21], v[8:9]
	v_add_nc_u64_e32 v[8:9], v[8:9], v[80:81]
	s_or_b32 s44, s13, s44
	s_wait_loadcnt 0x0
	global_store_b128 v[28:29], v[40:43], off th:TH_STORE_NT
	s_wait_xcnt 0x0
	s_and_not1_b32 exec_lo, exec_lo, s44
	s_cbranch_execnz .LBB4_7174
; %bb.7175:                             ;   in Loop: Header=BB4_7054 Depth=3
	s_or_b32 exec_lo, exec_lo, s44
.LBB4_7176:                             ;   in Loop: Header=BB4_7054 Depth=3
	s_delay_alu instid0(SALU_CYCLE_1) | instskip(SKIP_3) | instid1(VALU_DEP_1)
	s_or_b32 exec_lo, exec_lo, s15
	v_dual_mov_b32 v10, 0 :: v_dual_bitop2_b32 v9, 15, v2 bitop3:0x40
	s_mov_b32 s15, 0
	s_mov_b32 s44, exec_lo
                                        ; implicit-def: $vgpr13
                                        ; implicit-def: $vgpr8
	v_cndmask_b32_e32 v11, v26, v9, vcc_lo
	s_delay_alu instid0(VALU_DEP_1)
	v_cmpx_ne_u32_e32 0, v11
	s_cbranch_execz .LBB4_7178
; %bb.7177:                             ;   in Loop: Header=BB4_7054 Depth=3
	v_cmp_lt_i32_e64 s13, 0, v24
	s_mov_b32 s15, exec_lo
	v_dual_sub_nc_u32 v9, v26, v9 :: v_dual_cndmask_b32 v8, 0, v52, s13
	s_delay_alu instid0(VALU_DEP_1) | instskip(NEXT) | instid1(VALU_DEP_1)
	v_dual_cndmask_b32 v9, 0, v9 :: v_dual_sub_nc_u32 v8, v8, v24
	v_add3_u32 v10, v22, v15, v9
	s_delay_alu instid0(VALU_DEP_2) | instskip(NEXT) | instid1(VALU_DEP_1)
	v_lshl_add_u32 v13, v8, 5, v23
	v_ashrrev_i32_e32 v8, 31, v13
	s_delay_alu instid0(VALU_DEP_1) | instskip(NEXT) | instid1(VALU_DEP_1)
	v_lshrrev_b32_e32 v8, 27, v8
	v_add_nc_u32_e32 v8, v13, v8
	s_delay_alu instid0(VALU_DEP_1)
	v_ashrrev_i32_e32 v8, 5, v8
.LBB4_7178:                             ;   in Loop: Header=BB4_7054 Depth=3
	s_or_b32 exec_lo, exec_lo, s44
	s_delay_alu instid0(SALU_CYCLE_1)
	s_and_b32 s15, s15, exec_lo
.LBB4_7179:                             ;   in Loop: Header=BB4_7054 Depth=3
	s_or_b32 exec_lo, exec_lo, s14
	s_and_saveexec_b32 s13, s15
	s_cbranch_execz .LBB4_7188
.LBB4_7180:                             ;   in Loop: Header=BB4_7054 Depth=3
	v_ashrrev_i32_e32 v9, 31, v11
	s_mov_b32 s14, exec_lo
	s_delay_alu instid0(VALU_DEP_1) | instskip(NEXT) | instid1(VALU_DEP_1)
	v_lshrrev_b32_e32 v9, 23, v9
	v_add_nc_u32_e32 v9, v11, v9
	s_delay_alu instid0(VALU_DEP_1) | instskip(NEXT) | instid1(VALU_DEP_1)
	v_ashrrev_i32_e32 v22, 9, v9
	v_sub_nc_u32_e32 v15, v22, v8
	s_delay_alu instid0(VALU_DEP_1)
	v_cmpx_lt_i32_e32 0, v15
	s_cbranch_execz .LBB4_7184
; %bb.7181:                             ;   in Loop: Header=BB4_7054 Depth=3
	v_dual_ashrrev_i32 v9, 31, v13 :: v_dual_lshlrev_b32 v8, 9, v8
	s_mov_b32 s15, 0
	s_delay_alu instid0(VALU_DEP_1) | instskip(NEXT) | instid1(VALU_DEP_1)
	v_lshrrev_b32_e32 v9, 27, v9
	v_add_nc_u32_e32 v9, v13, v9
	s_delay_alu instid0(VALU_DEP_1) | instskip(NEXT) | instid1(VALU_DEP_1)
	v_and_b32_e32 v9, 0xffffffe0, v9
	v_sub_nc_u32_e32 v9, v13, v9
	s_delay_alu instid0(VALU_DEP_1) | instskip(NEXT) | instid1(VALU_DEP_1)
	v_add3_u32 v8, v10, v9, v8
	v_ashrrev_i32_e32 v9, 31, v8
.LBB4_7182:                             ;   Parent Loop BB4_47 Depth=1
                                        ;     Parent Loop BB4_7051 Depth=2
                                        ;       Parent Loop BB4_7054 Depth=3
                                        ; =>      This Inner Loop Header: Depth=4
	s_delay_alu instid0(VALU_DEP_1)
	v_add_nc_u64_e32 v[24:25], v[8:9], v[18:19]
	v_sub_nc_u32_e32 v15, v15, v52
	v_add_nc_u64_e32 v[18:19], v[18:19], v[80:81]
	s_clause 0xf
	flat_load_u8 v23, v[24:25] th:TH_LOAD_NT
	flat_load_u8 v26, v[24:25] offset:32 th:TH_LOAD_NT
	flat_load_u8 v27, v[24:25] offset:64 th:TH_LOAD_NT
	;; [unrolled: 1-line block ×15, first 2 shown]
	s_wait_xcnt 0x0
	v_add_nc_u64_e32 v[24:25], v[8:9], v[20:21]
	v_add_nc_u64_e32 v[20:21], v[20:21], v[80:81]
	v_cmp_gt_i32_e32 vcc_lo, 1, v15
	s_wait_loadcnt_dscnt 0xf0f
	flat_store_b8 v[24:25], v23 th:TH_STORE_NT
	s_wait_loadcnt_dscnt 0xe0f
	flat_store_b8 v[24:25], v26 offset:32 th:TH_STORE_NT
	s_wait_loadcnt_dscnt 0xd0f
	flat_store_b8 v[24:25], v27 offset:64 th:TH_STORE_NT
	s_wait_loadcnt_dscnt 0xc0f
	flat_store_b8 v[24:25], v28 offset:96 th:TH_STORE_NT
	s_wait_loadcnt_dscnt 0xb0f
	flat_store_b8 v[24:25], v29 offset:128 th:TH_STORE_NT
	s_wait_loadcnt_dscnt 0xa0f
	flat_store_b8 v[24:25], v68 offset:160 th:TH_STORE_NT
	s_wait_loadcnt_dscnt 0x90f
	flat_store_b8 v[24:25], v69 offset:192 th:TH_STORE_NT
	s_wait_loadcnt_dscnt 0x80f
	flat_store_b8 v[24:25], v40 offset:224 th:TH_STORE_NT
	s_wait_loadcnt_dscnt 0x70f
	flat_store_b8 v[24:25], v41 offset:256 th:TH_STORE_NT
	s_wait_loadcnt_dscnt 0x60f
	flat_store_b8 v[24:25], v42 offset:288 th:TH_STORE_NT
	s_wait_loadcnt_dscnt 0x50f
	flat_store_b8 v[24:25], v43 offset:320 th:TH_STORE_NT
	s_wait_loadcnt_dscnt 0x40f
	flat_store_b8 v[24:25], v44 offset:352 th:TH_STORE_NT
	s_wait_loadcnt_dscnt 0x30f
	flat_store_b8 v[24:25], v45 offset:384 th:TH_STORE_NT
	s_wait_loadcnt_dscnt 0x20f
	flat_store_b8 v[24:25], v47 offset:416 th:TH_STORE_NT
	s_wait_loadcnt_dscnt 0x10f
	flat_store_b8 v[24:25], v56 offset:448 th:TH_STORE_NT
	s_wait_loadcnt_dscnt 0xf
	flat_store_b8 v[24:25], v57 offset:480 th:TH_STORE_NT
	s_or_b32 s15, vcc_lo, s15
	s_wait_xcnt 0x0
	s_and_not1_b32 exec_lo, exec_lo, s15
	s_cbranch_execnz .LBB4_7182
; %bb.7183:                             ;   in Loop: Header=BB4_7054 Depth=3
	s_or_b32 exec_lo, exec_lo, s15
.LBB4_7184:                             ;   in Loop: Header=BB4_7054 Depth=3
	s_delay_alu instid0(SALU_CYCLE_1) | instskip(SKIP_1) | instid1(VALU_DEP_1)
	s_or_b32 exec_lo, exec_lo, s14
	v_lshlrev_b32_e32 v8, 9, v22
	v_cmp_ne_u32_e32 vcc_lo, v11, v8
	s_and_b32 exec_lo, exec_lo, vcc_lo
	s_cbranch_execz .LBB4_7188
; %bb.7185:                             ;   in Loop: Header=BB4_7054 Depth=3
	v_ashrrev_i32_e32 v9, 31, v13
	s_delay_alu instid0(VALU_DEP_1) | instskip(NEXT) | instid1(VALU_DEP_1)
	v_lshrrev_b32_e32 v9, 27, v9
	v_add_nc_u32_e32 v9, v13, v9
	s_delay_alu instid0(VALU_DEP_1) | instskip(NEXT) | instid1(VALU_DEP_1)
	v_and_b32_e32 v9, 0xffffffe0, v9
	v_dual_sub_nc_u32 v9, v13, v9 :: v_dual_lshlrev_b32 v13, 5, v15
	s_delay_alu instid0(VALU_DEP_1) | instskip(NEXT) | instid1(VALU_DEP_1)
	v_sub_nc_u32_e32 v9, v9, v13
	v_add_nc_u32_e32 v15, v8, v9
	s_delay_alu instid0(VALU_DEP_1) | instskip(NEXT) | instid1(VALU_DEP_1)
	v_sub_nc_u32_e32 v13, v11, v15
	v_cmp_lt_i32_e32 vcc_lo, 0, v13
	s_and_b32 exec_lo, exec_lo, vcc_lo
	s_cbranch_execz .LBB4_7188
; %bb.7186:                             ;   in Loop: Header=BB4_7054 Depth=3
	s_trap 2
	ds_load_b64 v[8:9], v0
	v_add_nc_u32_e32 v10, v15, v10
	s_mov_b32 s14, 0
	s_delay_alu instid0(VALU_DEP_1)
	v_ashrrev_i32_e32 v11, 31, v10
.LBB4_7187:                             ;   Parent Loop BB4_47 Depth=1
                                        ;     Parent Loop BB4_7051 Depth=2
                                        ;       Parent Loop BB4_7054 Depth=3
                                        ; =>      This Inner Loop Header: Depth=4
	s_wait_dscnt 0x0
	s_delay_alu instid0(VALU_DEP_1) | instskip(SKIP_2) | instid1(VALU_DEP_2)
	v_add_nc_u64_e32 v[18:19], v[8:9], v[10:11]
	v_sub_nc_u32_e32 v13, v13, v54
	v_add_nc_u64_e32 v[10:11], v[10:11], v[54:55]
	v_cmp_gt_i32_e32 vcc_lo, 1, v13
	flat_load_u8 v15, v[18:19] th:TH_LOAD_NT
	s_or_b32 s14, vcc_lo, s14
	s_wait_loadcnt_dscnt 0x0
	flat_store_b8 v[18:19], v15 th:TH_STORE_NT
	s_wait_xcnt 0x0
	s_and_not1_b32 exec_lo, exec_lo, s14
	s_cbranch_execnz .LBB4_7187
.LBB4_7188:                             ;   in Loop: Header=BB4_7054 Depth=3
	s_or_b32 exec_lo, exec_lo, s13
.LBB4_7189:                             ;   in Loop: Header=BB4_7054 Depth=3
	v_cmp_lt_i32_e64 s13, 0, v2
	s_and_saveexec_b32 s14, s2
	s_cbranch_execz .LBB4_7130
.LBB4_7190:                             ;   in Loop: Header=BB4_7054 Depth=3
	s_and_saveexec_b32 s15, s3
	s_delay_alu instid0(SALU_CYCLE_1)
	s_xor_b32 s15, exec_lo, s15
	s_cbranch_execz .LBB4_7205
; %bb.7191:                             ;   in Loop: Header=BB4_7054 Depth=3
	s_and_saveexec_b32 s44, s6
	s_cbranch_execz .LBB4_7204
; %bb.7192:                             ;   in Loop: Header=BB4_7054 Depth=3
	s_mov_b32 s75, exec_lo
	s_mov_b32 s45, exec_lo
	v_mbcnt_lo_u32_b32 v2, s75, 0
	global_wb scope:SCOPE_DEV
	s_wait_storecnt 0x0
	s_wait_loadcnt_dscnt 0x0
	global_inv scope:SCOPE_DEV
	v_cmpx_eq_u32_e32 0, v2
	s_cbranch_execz .LBB4_7194
; %bb.7193:                             ;   in Loop: Header=BB4_7054 Depth=3
	s_bcnt1_i32_b32 s75, s75
	s_delay_alu instid0(SALU_CYCLE_1)
	v_mov_b32_e32 v2, s75
	s_wait_loadcnt 0x0
	ds_add_u64 v0, v[2:3]
	s_trap 2
.LBB4_7194:                             ;   in Loop: Header=BB4_7054 Depth=3
	s_or_b32 exec_lo, exec_lo, s45
	s_trap 2
	ds_load_b64 v[8:9], v0
	s_wait_dscnt 0x0
	v_add_nc_u64_e32 v[48:49], v[48:49], v[52:53]
	s_mov_b32 s45, exec_lo
	s_delay_alu instid0(VALU_DEP_1)
	v_cmpx_lt_u64_e64 v[8:9], v[48:49]
	s_cbranch_execz .LBB4_7203
; %bb.7195:                             ;   in Loop: Header=BB4_7054 Depth=3
	s_mov_b32 s75, 0
	s_mov_b32 s78, 0
                                        ; implicit-def: $sgpr76
                                        ; implicit-def: $sgpr77
	s_branch .LBB4_7197
.LBB4_7196:                             ;   in Loop: Header=BB4_7197 Depth=4
	s_or_b32 exec_lo, exec_lo, s88
	s_delay_alu instid0(SALU_CYCLE_1) | instskip(NEXT) | instid1(SALU_CYCLE_1)
	s_and_b32 s79, exec_lo, s89
	s_or_b32 s75, s79, s75
	s_and_not1_b32 s76, s76, exec_lo
	s_and_b32 s79, s77, exec_lo
	s_delay_alu instid0(SALU_CYCLE_1)
	s_or_b32 s76, s76, s79
	s_and_not1_b32 exec_lo, exec_lo, s75
	s_cbranch_execz .LBB4_7201
.LBB4_7197:                             ;   Parent Loop BB4_47 Depth=1
                                        ;     Parent Loop BB4_7051 Depth=2
                                        ;       Parent Loop BB4_7054 Depth=3
                                        ; =>      This Inner Loop Header: Depth=4
	s_add_co_i32 s78, s78, 1
	s_delay_alu instid0(SALU_CYCLE_1) | instskip(SKIP_1) | instid1(SALU_CYCLE_1)
	s_cmp_lg_u32 s78, 0x2710
	s_cselect_b32 s79, -1, 0
	s_and_b32 vcc_lo, exec_lo, s79
	s_cbranch_vccz .LBB4_7199
; %bb.7198:                             ;   in Loop: Header=BB4_7197 Depth=4
	s_mov_b32 s89, -1
	s_or_b32 s77, s77, exec_lo
	s_and_saveexec_b32 s88, s79
	s_cbranch_execz .LBB4_7196
	s_branch .LBB4_7200
.LBB4_7199:                             ;   in Loop: Header=BB4_7197 Depth=4
	s_trap 2
	ds_load_b64 v[8:9], v0
	s_and_not1_b32 s79, s79, exec_lo
	s_mov_b32 s78, 0
	s_wait_loadcnt_dscnt 0x0
	flat_load_b32 v2, v[8:9] scope:SCOPE_SYS
	s_wait_loadcnt_dscnt 0x0
	global_inv scope:SCOPE_SYS
	v_cmp_eq_u32_e32 vcc_lo, 0, v2
	s_and_b32 s88, vcc_lo, exec_lo
	s_delay_alu instid0(SALU_CYCLE_1)
	s_or_b32 s79, s79, s88
	s_mov_b32 s89, -1
	s_or_b32 s77, s77, exec_lo
	s_and_saveexec_b32 s88, s79
	s_cbranch_execz .LBB4_7196
.LBB4_7200:                             ;   in Loop: Header=BB4_7197 Depth=4
	s_sleep 1
	s_trap 2
	ds_load_b64 v[8:9], v0
	s_wait_dscnt 0x0
	s_and_not1_b32 s77, s77, exec_lo
	v_cmp_ge_u64_e32 vcc_lo, v[8:9], v[48:49]
	s_or_not1_b32 s89, vcc_lo, exec_lo
	s_branch .LBB4_7196
.LBB4_7201:                             ;   in Loop: Header=BB4_7054 Depth=3
	s_or_b32 exec_lo, exec_lo, s75
	s_and_saveexec_b32 s75, s76
	s_delay_alu instid0(SALU_CYCLE_1)
	s_xor_b32 s75, exec_lo, s75
	s_cbranch_execz .LBB4_7203
; %bb.7202:                             ;   in Loop: Header=BB4_7054 Depth=3
	ds_store_b32 v0, v89
	s_trap 2
.LBB4_7203:                             ;   in Loop: Header=BB4_7054 Depth=3
	s_or_b32 exec_lo, exec_lo, s45
	;;#ASMSTART
	s_wakeup
	;;#ASMEND
.LBB4_7204:                             ;   in Loop: Header=BB4_7054 Depth=3
	s_or_b32 exec_lo, exec_lo, s44
.LBB4_7205:                             ;   in Loop: Header=BB4_7054 Depth=3
	s_and_not1_saveexec_b32 s15, s15
	s_cbranch_execz .LBB4_7207
; %bb.7206:                             ;   in Loop: Header=BB4_7054 Depth=3
	global_wb scope:SCOPE_DEV
	s_wait_storecnt 0x0
	s_wait_loadcnt_dscnt 0x0
	global_inv scope:SCOPE_DEV
	s_barrier_signal -1
	s_barrier_wait -1
.LBB4_7207:                             ;   in Loop: Header=BB4_7054 Depth=3
	s_or_b32 exec_lo, exec_lo, s15
	s_delay_alu instid0(SALU_CYCLE_1) | instskip(SKIP_1) | instid1(SALU_CYCLE_1)
	s_or_b32 exec_lo, exec_lo, s14
                                        ; implicit-def: $vgpr2
	s_and_saveexec_b32 s14, s10
	s_xor_b32 s14, exec_lo, s14
	s_cbranch_execnz .LBB4_7131
.LBB4_7208:                             ;   in Loop: Header=BB4_7054 Depth=3
	s_and_not1_saveexec_b32 s13, s14
	s_cbranch_execz .LBB4_7227
.LBB4_7209:                             ;   in Loop: Header=BB4_7054 Depth=3
	s_and_saveexec_b32 s14, s3
	s_delay_alu instid0(SALU_CYCLE_1)
	s_xor_b32 s14, exec_lo, s14
	s_cbranch_execz .LBB4_7224
; %bb.7210:                             ;   in Loop: Header=BB4_7054 Depth=3
	s_and_saveexec_b32 s15, s6
	s_cbranch_execz .LBB4_7223
; %bb.7211:                             ;   in Loop: Header=BB4_7054 Depth=3
	s_mov_b32 s45, exec_lo
	s_mov_b32 s44, exec_lo
	v_mbcnt_lo_u32_b32 v2, s45, 0
	;;#ASMSTART
	s_waitcnt lgkmcnt(0) vmcnt(0)
	;;#ASMEND
	s_delay_alu instid0(VALU_DEP_1)
	v_cmpx_eq_u32_e32 0, v2
	s_cbranch_execz .LBB4_7213
; %bb.7212:                             ;   in Loop: Header=BB4_7054 Depth=3
	s_bcnt1_i32_b32 s45, s45
	s_delay_alu instid0(SALU_CYCLE_1)
	v_mov_b32_e32 v2, s45
	s_wait_storecnt 0x0
	s_wait_loadcnt_dscnt 0x0
	ds_add_u64 v0, v[2:3]
	s_trap 2
.LBB4_7213:                             ;   in Loop: Header=BB4_7054 Depth=3
	s_or_b32 exec_lo, exec_lo, s44
	s_trap 2
	ds_load_b64 v[8:9], v0
	s_wait_dscnt 0x0
	v_add_nc_u64_e32 v[48:49], v[48:49], v[52:53]
	s_mov_b32 s44, exec_lo
	s_delay_alu instid0(VALU_DEP_1)
	v_cmpx_lt_u64_e64 v[8:9], v[48:49]
	s_cbranch_execz .LBB4_7222
; %bb.7214:                             ;   in Loop: Header=BB4_7054 Depth=3
	s_mov_b32 s45, 0
	s_mov_b32 s77, 0
                                        ; implicit-def: $sgpr75
                                        ; implicit-def: $sgpr76
	s_branch .LBB4_7216
.LBB4_7215:                             ;   in Loop: Header=BB4_7216 Depth=4
	s_or_b32 exec_lo, exec_lo, s79
	s_delay_alu instid0(SALU_CYCLE_1) | instskip(NEXT) | instid1(SALU_CYCLE_1)
	s_and_b32 s78, exec_lo, s88
	s_or_b32 s45, s78, s45
	s_and_not1_b32 s75, s75, exec_lo
	s_and_b32 s78, s76, exec_lo
	s_delay_alu instid0(SALU_CYCLE_1)
	s_or_b32 s75, s75, s78
	s_and_not1_b32 exec_lo, exec_lo, s45
	s_cbranch_execz .LBB4_7220
.LBB4_7216:                             ;   Parent Loop BB4_47 Depth=1
                                        ;     Parent Loop BB4_7051 Depth=2
                                        ;       Parent Loop BB4_7054 Depth=3
                                        ; =>      This Inner Loop Header: Depth=4
	s_add_co_i32 s77, s77, 1
	s_delay_alu instid0(SALU_CYCLE_1) | instskip(SKIP_1) | instid1(SALU_CYCLE_1)
	s_cmp_lg_u32 s77, 0x2710
	s_cselect_b32 s78, -1, 0
	s_and_b32 vcc_lo, exec_lo, s78
	s_cbranch_vccz .LBB4_7218
; %bb.7217:                             ;   in Loop: Header=BB4_7216 Depth=4
	s_mov_b32 s88, -1
	s_or_b32 s76, s76, exec_lo
	s_and_saveexec_b32 s79, s78
	s_cbranch_execz .LBB4_7215
	s_branch .LBB4_7219
.LBB4_7218:                             ;   in Loop: Header=BB4_7216 Depth=4
	s_trap 2
	ds_load_b64 v[8:9], v0
	s_and_not1_b32 s78, s78, exec_lo
	s_mov_b32 s77, 0
	s_wait_storecnt 0x0
	s_wait_loadcnt_dscnt 0x0
	flat_load_b32 v2, v[8:9] scope:SCOPE_SYS
	s_wait_loadcnt_dscnt 0x0
	global_inv scope:SCOPE_SYS
	v_cmp_eq_u32_e32 vcc_lo, 0, v2
	s_and_b32 s79, vcc_lo, exec_lo
	s_delay_alu instid0(SALU_CYCLE_1)
	s_or_b32 s78, s78, s79
	s_mov_b32 s88, -1
	s_or_b32 s76, s76, exec_lo
	s_and_saveexec_b32 s79, s78
	s_cbranch_execz .LBB4_7215
.LBB4_7219:                             ;   in Loop: Header=BB4_7216 Depth=4
	s_sleep 1
	s_trap 2
	ds_load_b64 v[8:9], v0
	s_wait_dscnt 0x0
	s_and_not1_b32 s76, s76, exec_lo
	v_cmp_ge_u64_e32 vcc_lo, v[8:9], v[48:49]
	s_or_not1_b32 s88, vcc_lo, exec_lo
	s_branch .LBB4_7215
.LBB4_7220:                             ;   in Loop: Header=BB4_7054 Depth=3
	s_or_b32 exec_lo, exec_lo, s45
	s_and_saveexec_b32 s45, s75
	s_delay_alu instid0(SALU_CYCLE_1)
	s_xor_b32 s45, exec_lo, s45
	s_cbranch_execz .LBB4_7222
; %bb.7221:                             ;   in Loop: Header=BB4_7054 Depth=3
	ds_store_b32 v0, v89
	s_trap 2
.LBB4_7222:                             ;   in Loop: Header=BB4_7054 Depth=3
	s_or_b32 exec_lo, exec_lo, s44
	;;#ASMSTART
	s_wakeup
	;;#ASMEND
.LBB4_7223:                             ;   in Loop: Header=BB4_7054 Depth=3
	s_or_b32 exec_lo, exec_lo, s15
.LBB4_7224:                             ;   in Loop: Header=BB4_7054 Depth=3
	s_and_not1_saveexec_b32 s14, s14
	s_cbranch_execz .LBB4_7226
; %bb.7225:                             ;   in Loop: Header=BB4_7054 Depth=3
	;;#ASMSTART
	s_waitcnt lgkmcnt(0) vmcnt(0)
	;;#ASMEND
	s_barrier_signal -1
	s_barrier_wait -1
.LBB4_7226:                             ;   in Loop: Header=BB4_7054 Depth=3
	s_or_b32 exec_lo, exec_lo, s14
	v_and_b32_e32 v2, 16, v30
.LBB4_7227:                             ;   in Loop: Header=BB4_7054 Depth=3
	s_or_b32 exec_lo, exec_lo, s13
	s_delay_alu instid0(VALU_DEP_1) | instskip(SKIP_1) | instid1(SALU_CYCLE_1)
	v_cmp_ne_u32_e32 vcc_lo, 0, v2
	s_xor_b32 s13, s4, -1
	s_and_b32 s14, vcc_lo, s13
	s_delay_alu instid0(SALU_CYCLE_1)
	s_and_saveexec_b32 s13, s14
	s_cbranch_execz .LBB4_7229
; %bb.7228:                             ;   in Loop: Header=BB4_7054 Depth=3
	global_wb scope:SCOPE_SYS
	s_wait_storecnt 0x0
	s_wait_loadcnt_dscnt 0x0
	flat_store_b32 v[38:39], v89 scope:SCOPE_SYS
.LBB4_7229:                             ;   in Loop: Header=BB4_7054 Depth=3
	s_wait_xcnt 0x0
	s_or_b32 exec_lo, exec_lo, s13
	v_and_b32_e32 v2, 48, v30
	s_mov_b32 s13, exec_lo
	s_delay_alu instid0(VALU_DEP_1)
	v_cmpx_ne_u32_e32 0, v2
	s_cbranch_execz .LBB4_7053
; %bb.7230:                             ;   in Loop: Header=BB4_7054 Depth=3
	v_add_nc_u64_e32 v[114:115], 2, v[114:115]
	global_wb scope:SCOPE_SYS
	s_wait_storecnt 0x0
	s_wait_loadcnt_dscnt 0x0
	flat_store_b64 v[32:33], v[114:115] scope:SCOPE_SYS
	s_branch .LBB4_7053
.LBB4_7231:                             ;   in Loop: Header=BB4_7051 Depth=2
	s_or_b32 exec_lo, exec_lo, s72
.LBB4_7232:                             ;   in Loop: Header=BB4_7051 Depth=2
	s_delay_alu instid0(SALU_CYCLE_1) | instskip(NEXT) | instid1(SALU_CYCLE_1)
	s_or_b32 exec_lo, exec_lo, s41
	s_mov_b32 s14, exec_lo
	v_cmpx_gt_i32_e32 2, v2
	s_cbranch_execz .LBB4_7308
; %bb.7233:                             ;   in Loop: Header=BB4_7051 Depth=2
	v_cmp_eq_u32_e64 s41, 0, v2
	s_mov_b32 s15, 0
	s_branch .LBB4_7235
.LBB4_7234:                             ;   in Loop: Header=BB4_7235 Depth=3
	s_wait_xcnt 0x0
	s_or_b32 exec_lo, exec_lo, s13
	v_add_nc_u32_e32 v14, v12, v14
	s_mov_b32 s41, 0
	s_and_not1_b32 exec_lo, exec_lo, s15
	s_cbranch_execz .LBB4_7307
.LBB4_7235:                             ;   Parent Loop BB4_47 Depth=1
                                        ;     Parent Loop BB4_7051 Depth=2
                                        ; =>    This Loop Header: Depth=3
                                        ;         Child Loop BB4_7241 Depth 4
                                        ;         Child Loop BB4_7269 Depth 4
	;; [unrolled: 1-line block ×3, first 2 shown]
	s_delay_alu instid0(VALU_DEP_1) | instskip(SKIP_2) | instid1(VALU_DEP_2)
	v_sub_nc_u32_e32 v2, v46, v14
	v_and_b32_e32 v8, 12, v30
	s_mov_b32 s44, exec_lo
	v_min_i32_e32 v12, v12, v2
	s_delay_alu instid0(VALU_DEP_2)
	v_cmpx_ne_u32_e32 0, v8
	s_cbranch_execz .LBB4_7261
; %bb.7236:                             ;   in Loop: Header=BB4_7235 Depth=3
	v_and_b32_e32 v2, 8, v30
	v_add_nc_u64_e32 v[8:9], 2, v[114:115]
	s_mov_b32 s45, exec_lo
	s_wait_loadcnt_dscnt 0x1
	s_delay_alu instid0(VALU_DEP_2) | instskip(NEXT) | instid1(VALU_DEP_1)
	v_add_nc_u64_e32 v[10:11], v[50:51], v[2:3]
	v_cmpx_lt_u64_e64 v[10:11], v[8:9]
	s_cbranch_execz .LBB4_7248
; %bb.7237:                             ;   in Loop: Header=BB4_7235 Depth=3
	v_and_b32_e32 v10, 64, v30
	s_mov_b32 s72, 0
	s_mov_b32 s76, 0
                                        ; implicit-def: $sgpr73
                                        ; implicit-def: $sgpr74
                                        ; implicit-def: $sgpr75
	s_delay_alu instid0(VALU_DEP_1)
	v_cmp_eq_u32_e32 vcc_lo, 0, v10
	s_branch .LBB4_7241
.LBB4_7238:                             ;   in Loop: Header=BB4_7241 Depth=4
	s_wait_loadcnt_dscnt 0x0
	v_add_nc_u64_e32 v[16:17], v[50:51], v[2:3]
	s_or_b32 s79, s79, exec_lo
	s_delay_alu instid0(VALU_DEP_1)
	v_cmp_ge_u64_e64 s13, v[16:17], v[8:9]
	s_or_not1_b32 s78, s13, exec_lo
.LBB4_7239:                             ;   in Loop: Header=BB4_7241 Depth=4
	s_or_b32 exec_lo, exec_lo, s89
	s_delay_alu instid0(SALU_CYCLE_1)
	s_and_not1_b32 s13, s75, exec_lo
	s_and_b32 s75, s79, exec_lo
	s_and_not1_b32 s74, s74, exec_lo
	s_and_b32 s78, s78, exec_lo
	s_or_b32 s75, s13, s75
	s_or_b32 s74, s74, s78
.LBB4_7240:                             ;   in Loop: Header=BB4_7241 Depth=4
	s_or_b32 exec_lo, exec_lo, s77
	s_delay_alu instid0(SALU_CYCLE_1) | instskip(NEXT) | instid1(SALU_CYCLE_1)
	s_and_b32 s13, exec_lo, s74
	s_or_b32 s72, s13, s72
	s_and_not1_b32 s13, s73, exec_lo
	s_and_b32 s73, s75, exec_lo
	s_delay_alu instid0(SALU_CYCLE_1)
	s_or_b32 s73, s13, s73
	s_and_not1_b32 exec_lo, exec_lo, s72
	s_cbranch_execz .LBB4_7245
.LBB4_7241:                             ;   Parent Loop BB4_47 Depth=1
                                        ;     Parent Loop BB4_7051 Depth=2
                                        ;       Parent Loop BB4_7235 Depth=3
                                        ; =>      This Inner Loop Header: Depth=4
	s_sleep 1
	s_wait_loadcnt_dscnt 0x0
	flat_load_b64 v[50:51], v[32:33] scope:SCOPE_SYS
	s_or_b32 s75, s75, exec_lo
	s_or_b32 s74, s74, exec_lo
                                        ; implicit-def: $vgpr10
	s_wait_xcnt 0x0
	s_and_saveexec_b32 s77, vcc_lo
	s_cbranch_execz .LBB4_7240
; %bb.7242:                             ;   in Loop: Header=BB4_7241 Depth=4
	s_cmp_lt_i32 s76, 0x270f
	s_mov_b32 s78, -1
	s_cselect_b32 s88, -1, 0
	s_cmp_gt_i32 s76, 0x270e
	s_cbranch_scc0 .LBB4_7244
; %bb.7243:                             ;   in Loop: Header=BB4_7241 Depth=4
	s_trap 2
	ds_load_b64 v[10:11], v0
	s_and_not1_b32 s76, s88, exec_lo
	s_mov_b32 s79, 0
	s_wait_storecnt 0x0
	s_wait_loadcnt_dscnt 0x0
	flat_load_b32 v10, v[10:11] scope:SCOPE_SYS
	s_wait_loadcnt_dscnt 0x0
	global_inv scope:SCOPE_SYS
	v_cmp_eq_u32_e64 s13, 0, v10
	s_and_b32 s13, s13, exec_lo
	s_delay_alu instid0(SALU_CYCLE_1)
	s_or_b32 s88, s76, s13
	s_mov_b32 s76, 0
	s_and_saveexec_b32 s89, s88
	s_cbranch_execz .LBB4_7239
	s_branch .LBB4_7238
.LBB4_7244:                             ;   in Loop: Header=BB4_7241 Depth=4
	s_add_co_i32 s76, s76, 1
	s_mov_b32 s79, -1
                                        ; implicit-def: $vgpr10
	s_and_saveexec_b32 s89, s88
	s_cbranch_execz .LBB4_7239
	s_branch .LBB4_7238
.LBB4_7245:                             ;   in Loop: Header=BB4_7235 Depth=3
	s_or_b32 exec_lo, exec_lo, s72
	s_xor_b32 s13, s73, -1
	s_delay_alu instid0(SALU_CYCLE_1) | instskip(NEXT) | instid1(SALU_CYCLE_1)
	s_and_saveexec_b32 s72, s13
	s_xor_b32 s13, exec_lo, s72
	s_cbranch_execz .LBB4_7247
; %bb.7246:                             ;   in Loop: Header=BB4_7235 Depth=3
	v_or_b32_e32 v30, 64, v30
	s_wait_storecnt 0x0
	s_wait_loadcnt_dscnt 0x0
	ds_store_b32 v0, v10
	s_trap 2
.LBB4_7247:                             ;   in Loop: Header=BB4_7235 Depth=3
	s_or_b32 exec_lo, exec_lo, s13
.LBB4_7248:                             ;   in Loop: Header=BB4_7235 Depth=3
	s_delay_alu instid0(SALU_CYCLE_1) | instskip(SKIP_2) | instid1(VALU_DEP_1)
	s_or_b32 exec_lo, exec_lo, s45
	v_and_b32_e32 v10, 0x108, v30
	;;#ASMSTART
	s_wakeup
	;;#ASMEND
	v_cmp_ne_u32_e32 vcc_lo, 0x108, v10
                                        ; implicit-def: $vgpr10_vgpr11
	s_and_saveexec_b32 s13, vcc_lo
	s_delay_alu instid0(SALU_CYCLE_1)
	s_xor_b32 s13, exec_lo, s13
; %bb.7249:                             ;   in Loop: Header=BB4_7235 Depth=3
	v_dual_mov_b32 v11, v3 :: v_dual_bitop2_b32 v10, 7, v114 bitop3:0x40
                                        ; implicit-def: $vgpr114_vgpr115
; %bb.7250:                             ;   in Loop: Header=BB4_7235 Depth=3
	s_and_not1_saveexec_b32 s13, s13
	s_cbranch_execz .LBB4_7252
; %bb.7251:                             ;   in Loop: Header=BB4_7235 Depth=3
	v_dual_ashrrev_i32 v13, 31, v12 :: v_dual_bitop2_b32 v10, 7, v114 bitop3:0x40
	v_mov_b32_e32 v11, v3
	s_delay_alu instid0(VALU_DEP_2)
	v_mad_nc_u64_u32 v[16:17], v10, 24, v[6:7]
	flat_store_b64 v[16:17], v[12:13] offset:8
.LBB4_7252:                             ;   in Loop: Header=BB4_7235 Depth=3
	s_wait_xcnt 0x0
	s_or_b32 exec_lo, exec_lo, s13
	v_and_b32_e32 v13, 0x100, v30
	s_mov_b32 s13, -1
	s_mov_b32 s45, exec_lo
                                        ; implicit-def: $vgpr16_vgpr17
	s_delay_alu instid0(VALU_DEP_1)
	v_cmpx_ne_u32_e32 0, v13
	s_cbranch_execz .LBB4_7256
; %bb.7253:                             ;   in Loop: Header=BB4_7235 Depth=3
	v_mad_nc_u64_u32 v[18:19], v10, 24, v[6:7]
	s_mov_b32 s72, exec_lo
                                        ; implicit-def: $vgpr16_vgpr17
	s_delay_alu instid0(VALU_DEP_1)
	v_mad_u32 v19, v11, 24, v19
	flat_load_b32 v13, v[18:19]
	s_wait_loadcnt_dscnt 0x0
	v_cmp_ne_u32_e32 vcc_lo, 1, v13
	s_wait_xcnt 0x0
	v_cmpx_eq_u32_e32 1, v13
	s_cbranch_execz .LBB4_7255
; %bb.7254:                             ;   in Loop: Header=BB4_7235 Depth=3
	flat_load_b32 v16, v[18:19] offset:4 scope:SCOPE_SYS
	s_wait_loadcnt_dscnt 0x0
	v_ashrrev_i32_e32 v17, 31, v16
.LBB4_7255:                             ;   in Loop: Header=BB4_7235 Depth=3
	s_wait_xcnt 0x0
	s_or_b32 exec_lo, exec_lo, s72
	s_delay_alu instid0(SALU_CYCLE_1)
	s_or_not1_b32 s13, vcc_lo, exec_lo
.LBB4_7256:                             ;   in Loop: Header=BB4_7235 Depth=3
	s_or_b32 exec_lo, exec_lo, s45
	s_and_saveexec_b32 s45, s13
; %bb.7257:                             ;   in Loop: Header=BB4_7235 Depth=3
	v_mul_u64_e32 v[16:17], v[10:11], v[34:35]
; %bb.7258:                             ;   in Loop: Header=BB4_7235 Depth=3
	s_or_b32 exec_lo, exec_lo, s45
	v_cmp_eq_u32_e32 vcc_lo, 0, v2
	s_delay_alu instid0(VALU_DEP_2) | instskip(SKIP_3) | instid1(VALU_DEP_1)
	v_add_nc_u64_e32 v[10:11], v[36:37], v[16:17]
	v_and_b32_e32 v13, 0x2000, v30
	s_mov_b32 s13, exec_lo
	v_cndmask_b32_e32 v2, 0xd0, v92, vcc_lo
	v_add_nc_u32_e32 v2, v0, v2
	ds_store_b64 v2, v[10:11] offset:584
	v_cmpx_ne_u32_e32 0, v13
	s_cbranch_execz .LBB4_7260
; %bb.7259:                             ;   in Loop: Header=BB4_7235 Depth=3
	ds_load_b64 v[10:11], v0 offset:872
	s_wait_dscnt 0x0
	v_add_nc_u64_e32 v[10:11], 1, v[10:11]
	ds_store_b64 v0, v[10:11] offset:872
.LBB4_7260:                             ;   in Loop: Header=BB4_7235 Depth=3
	s_or_b32 exec_lo, exec_lo, s13
	v_mov_b64_e32 v[114:115], v[8:9]
.LBB4_7261:                             ;   in Loop: Header=BB4_7235 Depth=3
	s_or_b32 exec_lo, exec_lo, s44
	s_xor_b32 s13, s41, -1
	s_delay_alu instid0(SALU_CYCLE_1) | instskip(NEXT) | instid1(SALU_CYCLE_1)
	s_and_b32 s13, exec_lo, s13
	s_or_b32 s15, s13, s15
	s_and_saveexec_b32 s13, s2
	s_cbranch_execz .LBB4_7280
; %bb.7262:                             ;   in Loop: Header=BB4_7235 Depth=3
	s_and_saveexec_b32 s41, s3
	s_delay_alu instid0(SALU_CYCLE_1)
	s_xor_b32 s41, exec_lo, s41
	s_cbranch_execz .LBB4_7277
; %bb.7263:                             ;   in Loop: Header=BB4_7235 Depth=3
	s_and_saveexec_b32 s44, s6
	s_cbranch_execz .LBB4_7276
; %bb.7264:                             ;   in Loop: Header=BB4_7235 Depth=3
	s_mov_b32 s72, exec_lo
	s_mov_b32 s45, exec_lo
	v_mbcnt_lo_u32_b32 v2, s72, 0
	global_wb scope:SCOPE_DEV
	s_wait_storecnt 0x0
	s_wait_loadcnt_dscnt 0x0
	global_inv scope:SCOPE_DEV
	v_cmpx_eq_u32_e32 0, v2
	s_cbranch_execz .LBB4_7266
; %bb.7265:                             ;   in Loop: Header=BB4_7235 Depth=3
	s_bcnt1_i32_b32 s72, s72
	s_delay_alu instid0(SALU_CYCLE_1)
	v_mov_b32_e32 v2, s72
	s_wait_loadcnt 0x0
	ds_add_u64 v0, v[2:3]
	s_trap 2
.LBB4_7266:                             ;   in Loop: Header=BB4_7235 Depth=3
	s_or_b32 exec_lo, exec_lo, s45
	s_trap 2
	ds_load_b64 v[8:9], v0
	s_wait_dscnt 0x0
	v_add_nc_u64_e32 v[48:49], v[48:49], v[52:53]
	s_mov_b32 s45, exec_lo
	s_delay_alu instid0(VALU_DEP_1)
	v_cmpx_lt_u64_e64 v[8:9], v[48:49]
	s_cbranch_execz .LBB4_7275
; %bb.7267:                             ;   in Loop: Header=BB4_7235 Depth=3
	s_mov_b32 s72, 0
	s_mov_b32 s75, 0
                                        ; implicit-def: $sgpr73
                                        ; implicit-def: $sgpr74
	s_branch .LBB4_7269
.LBB4_7268:                             ;   in Loop: Header=BB4_7269 Depth=4
	s_or_b32 exec_lo, exec_lo, s77
	s_delay_alu instid0(SALU_CYCLE_1) | instskip(NEXT) | instid1(SALU_CYCLE_1)
	s_and_b32 s76, exec_lo, s78
	s_or_b32 s72, s76, s72
	s_and_not1_b32 s73, s73, exec_lo
	s_and_b32 s76, s74, exec_lo
	s_delay_alu instid0(SALU_CYCLE_1)
	s_or_b32 s73, s73, s76
	s_and_not1_b32 exec_lo, exec_lo, s72
	s_cbranch_execz .LBB4_7273
.LBB4_7269:                             ;   Parent Loop BB4_47 Depth=1
                                        ;     Parent Loop BB4_7051 Depth=2
                                        ;       Parent Loop BB4_7235 Depth=3
                                        ; =>      This Inner Loop Header: Depth=4
	s_add_co_i32 s75, s75, 1
	s_delay_alu instid0(SALU_CYCLE_1) | instskip(SKIP_1) | instid1(SALU_CYCLE_1)
	s_cmp_lg_u32 s75, 0x2710
	s_cselect_b32 s76, -1, 0
	s_and_b32 vcc_lo, exec_lo, s76
	s_cbranch_vccz .LBB4_7271
; %bb.7270:                             ;   in Loop: Header=BB4_7269 Depth=4
	s_mov_b32 s78, -1
	s_or_b32 s74, s74, exec_lo
	s_and_saveexec_b32 s77, s76
	s_cbranch_execz .LBB4_7268
	s_branch .LBB4_7272
.LBB4_7271:                             ;   in Loop: Header=BB4_7269 Depth=4
	s_trap 2
	ds_load_b64 v[8:9], v0
	s_and_not1_b32 s76, s76, exec_lo
	s_mov_b32 s75, 0
	s_wait_loadcnt_dscnt 0x0
	flat_load_b32 v2, v[8:9] scope:SCOPE_SYS
	s_wait_loadcnt_dscnt 0x0
	global_inv scope:SCOPE_SYS
	v_cmp_eq_u32_e32 vcc_lo, 0, v2
	s_and_b32 s77, vcc_lo, exec_lo
	s_delay_alu instid0(SALU_CYCLE_1)
	s_or_b32 s76, s76, s77
	s_mov_b32 s78, -1
	s_or_b32 s74, s74, exec_lo
	s_and_saveexec_b32 s77, s76
	s_cbranch_execz .LBB4_7268
.LBB4_7272:                             ;   in Loop: Header=BB4_7269 Depth=4
	s_sleep 1
	s_trap 2
	ds_load_b64 v[8:9], v0
	s_wait_dscnt 0x0
	s_and_not1_b32 s74, s74, exec_lo
	v_cmp_ge_u64_e32 vcc_lo, v[8:9], v[48:49]
	s_or_not1_b32 s78, vcc_lo, exec_lo
	s_branch .LBB4_7268
.LBB4_7273:                             ;   in Loop: Header=BB4_7235 Depth=3
	s_or_b32 exec_lo, exec_lo, s72
	s_and_saveexec_b32 s72, s73
	s_delay_alu instid0(SALU_CYCLE_1)
	s_xor_b32 s72, exec_lo, s72
	s_cbranch_execz .LBB4_7275
; %bb.7274:                             ;   in Loop: Header=BB4_7235 Depth=3
	ds_store_b32 v0, v89
	s_trap 2
.LBB4_7275:                             ;   in Loop: Header=BB4_7235 Depth=3
	s_or_b32 exec_lo, exec_lo, s45
	;;#ASMSTART
	s_wakeup
	;;#ASMEND
.LBB4_7276:                             ;   in Loop: Header=BB4_7235 Depth=3
	s_or_b32 exec_lo, exec_lo, s44
.LBB4_7277:                             ;   in Loop: Header=BB4_7235 Depth=3
	s_and_not1_saveexec_b32 s41, s41
	s_cbranch_execz .LBB4_7279
; %bb.7278:                             ;   in Loop: Header=BB4_7235 Depth=3
	global_wb scope:SCOPE_DEV
	s_wait_storecnt 0x0
	s_wait_loadcnt_dscnt 0x0
	global_inv scope:SCOPE_DEV
	s_barrier_signal -1
	s_barrier_wait -1
.LBB4_7279:                             ;   in Loop: Header=BB4_7235 Depth=3
	s_or_b32 exec_lo, exec_lo, s41
.LBB4_7280:                             ;   in Loop: Header=BB4_7235 Depth=3
	s_delay_alu instid0(SALU_CYCLE_1) | instskip(SKIP_1) | instid1(SALU_CYCLE_1)
	s_or_b32 exec_lo, exec_lo, s13
                                        ; implicit-def: $vgpr2
	s_and_saveexec_b32 s13, s10
	s_xor_b32 s41, exec_lo, s13
	s_cbranch_execz .LBB4_7284
; %bb.7281:                             ;   in Loop: Header=BB4_7235 Depth=3
	s_trap 2
	ds_load_b32 v2, v0
	v_cmp_lt_i32_e32 vcc_lo, 0, v12
	s_wait_dscnt 0x0
	v_readfirstlane_b32 s13, v2
	v_and_b32_e32 v2, 16, v30
	s_cmp_eq_u32 s13, 0
	s_delay_alu instid0(VALU_DEP_1) | instskip(SKIP_3) | instid1(SALU_CYCLE_1)
	v_cmp_ne_u32_e64 s13, 0, v2
	s_cselect_b32 s44, -1, 0
	v_and_b32_e32 v2, 16, v30
	s_and_b32 s44, vcc_lo, s44
	s_and_b32 s44, s13, s44
	s_delay_alu instid0(SALU_CYCLE_1)
	s_and_saveexec_b32 s13, s44
	s_cbranch_execz .LBB4_7283
; %bb.7282:                             ;   in Loop: Header=BB4_7235 Depth=3
	v_mov_b32_e32 v2, 1
	global_wb scope:SCOPE_SYS
	s_wait_loadcnt 0x0
	s_wait_storecnt 0x0
	global_inv scope:SCOPE_SYS
.LBB4_7283:                             ;   in Loop: Header=BB4_7235 Depth=3
	s_or_b32 exec_lo, exec_lo, s13
	s_and_not1_saveexec_b32 s13, s41
	s_cbranch_execz .LBB4_7303
	s_branch .LBB4_7285
.LBB4_7284:                             ;   in Loop: Header=BB4_7235 Depth=3
	s_and_not1_saveexec_b32 s13, s41
	s_cbranch_execz .LBB4_7303
.LBB4_7285:                             ;   in Loop: Header=BB4_7235 Depth=3
	s_and_saveexec_b32 s41, s3
	s_delay_alu instid0(SALU_CYCLE_1)
	s_xor_b32 s41, exec_lo, s41
	s_cbranch_execz .LBB4_7300
; %bb.7286:                             ;   in Loop: Header=BB4_7235 Depth=3
	s_and_saveexec_b32 s44, s6
	s_cbranch_execz .LBB4_7299
; %bb.7287:                             ;   in Loop: Header=BB4_7235 Depth=3
	s_mov_b32 s72, exec_lo
	s_mov_b32 s45, exec_lo
	v_mbcnt_lo_u32_b32 v2, s72, 0
	;;#ASMSTART
	s_waitcnt lgkmcnt(0) vmcnt(0)
	;;#ASMEND
	s_delay_alu instid0(VALU_DEP_1)
	v_cmpx_eq_u32_e32 0, v2
	s_cbranch_execz .LBB4_7289
; %bb.7288:                             ;   in Loop: Header=BB4_7235 Depth=3
	s_bcnt1_i32_b32 s72, s72
	s_delay_alu instid0(SALU_CYCLE_1)
	v_mov_b32_e32 v2, s72
	s_wait_storecnt 0x0
	s_wait_loadcnt_dscnt 0x0
	ds_add_u64 v0, v[2:3]
	s_trap 2
.LBB4_7289:                             ;   in Loop: Header=BB4_7235 Depth=3
	s_or_b32 exec_lo, exec_lo, s45
	s_trap 2
	ds_load_b64 v[8:9], v0
	s_wait_dscnt 0x0
	v_add_nc_u64_e32 v[48:49], v[48:49], v[52:53]
	s_mov_b32 s45, exec_lo
	s_delay_alu instid0(VALU_DEP_1)
	v_cmpx_lt_u64_e64 v[8:9], v[48:49]
	s_cbranch_execz .LBB4_7298
; %bb.7290:                             ;   in Loop: Header=BB4_7235 Depth=3
	s_mov_b32 s72, 0
	s_mov_b32 s75, 0
                                        ; implicit-def: $sgpr73
                                        ; implicit-def: $sgpr74
	s_branch .LBB4_7292
.LBB4_7291:                             ;   in Loop: Header=BB4_7292 Depth=4
	s_or_b32 exec_lo, exec_lo, s77
	s_delay_alu instid0(SALU_CYCLE_1) | instskip(NEXT) | instid1(SALU_CYCLE_1)
	s_and_b32 s76, exec_lo, s78
	s_or_b32 s72, s76, s72
	s_and_not1_b32 s73, s73, exec_lo
	s_and_b32 s76, s74, exec_lo
	s_delay_alu instid0(SALU_CYCLE_1)
	s_or_b32 s73, s73, s76
	s_and_not1_b32 exec_lo, exec_lo, s72
	s_cbranch_execz .LBB4_7296
.LBB4_7292:                             ;   Parent Loop BB4_47 Depth=1
                                        ;     Parent Loop BB4_7051 Depth=2
                                        ;       Parent Loop BB4_7235 Depth=3
                                        ; =>      This Inner Loop Header: Depth=4
	s_add_co_i32 s75, s75, 1
	s_delay_alu instid0(SALU_CYCLE_1) | instskip(SKIP_1) | instid1(SALU_CYCLE_1)
	s_cmp_lg_u32 s75, 0x2710
	s_cselect_b32 s76, -1, 0
	s_and_b32 vcc_lo, exec_lo, s76
	s_cbranch_vccz .LBB4_7294
; %bb.7293:                             ;   in Loop: Header=BB4_7292 Depth=4
	s_mov_b32 s78, -1
	s_or_b32 s74, s74, exec_lo
	s_and_saveexec_b32 s77, s76
	s_cbranch_execz .LBB4_7291
	s_branch .LBB4_7295
.LBB4_7294:                             ;   in Loop: Header=BB4_7292 Depth=4
	s_trap 2
	ds_load_b64 v[8:9], v0
	s_and_not1_b32 s76, s76, exec_lo
	s_mov_b32 s75, 0
	s_wait_storecnt 0x0
	s_wait_loadcnt_dscnt 0x0
	flat_load_b32 v2, v[8:9] scope:SCOPE_SYS
	s_wait_loadcnt_dscnt 0x0
	global_inv scope:SCOPE_SYS
	v_cmp_eq_u32_e32 vcc_lo, 0, v2
	s_and_b32 s77, vcc_lo, exec_lo
	s_delay_alu instid0(SALU_CYCLE_1)
	s_or_b32 s76, s76, s77
	s_mov_b32 s78, -1
	s_or_b32 s74, s74, exec_lo
	s_and_saveexec_b32 s77, s76
	s_cbranch_execz .LBB4_7291
.LBB4_7295:                             ;   in Loop: Header=BB4_7292 Depth=4
	s_sleep 1
	s_trap 2
	ds_load_b64 v[8:9], v0
	s_wait_dscnt 0x0
	s_and_not1_b32 s74, s74, exec_lo
	v_cmp_ge_u64_e32 vcc_lo, v[8:9], v[48:49]
	s_or_not1_b32 s78, vcc_lo, exec_lo
	s_branch .LBB4_7291
.LBB4_7296:                             ;   in Loop: Header=BB4_7235 Depth=3
	s_or_b32 exec_lo, exec_lo, s72
	s_and_saveexec_b32 s72, s73
	s_delay_alu instid0(SALU_CYCLE_1)
	s_xor_b32 s72, exec_lo, s72
	s_cbranch_execz .LBB4_7298
; %bb.7297:                             ;   in Loop: Header=BB4_7235 Depth=3
	ds_store_b32 v0, v89
	s_trap 2
.LBB4_7298:                             ;   in Loop: Header=BB4_7235 Depth=3
	s_or_b32 exec_lo, exec_lo, s45
	;;#ASMSTART
	s_wakeup
	;;#ASMEND
.LBB4_7299:                             ;   in Loop: Header=BB4_7235 Depth=3
	s_or_b32 exec_lo, exec_lo, s44
.LBB4_7300:                             ;   in Loop: Header=BB4_7235 Depth=3
	s_and_not1_saveexec_b32 s41, s41
	s_cbranch_execz .LBB4_7302
; %bb.7301:                             ;   in Loop: Header=BB4_7235 Depth=3
	;;#ASMSTART
	s_waitcnt lgkmcnt(0) vmcnt(0)
	;;#ASMEND
	s_barrier_signal -1
	s_barrier_wait -1
.LBB4_7302:                             ;   in Loop: Header=BB4_7235 Depth=3
	s_or_b32 exec_lo, exec_lo, s41
	v_and_b32_e32 v2, 16, v30
.LBB4_7303:                             ;   in Loop: Header=BB4_7235 Depth=3
	s_or_b32 exec_lo, exec_lo, s13
	s_delay_alu instid0(VALU_DEP_1) | instskip(SKIP_1) | instid1(SALU_CYCLE_1)
	v_cmp_ne_u32_e32 vcc_lo, 0, v2
	s_xor_b32 s13, s4, -1
	s_and_b32 s41, vcc_lo, s13
	s_delay_alu instid0(SALU_CYCLE_1)
	s_and_saveexec_b32 s13, s41
	s_cbranch_execz .LBB4_7305
; %bb.7304:                             ;   in Loop: Header=BB4_7235 Depth=3
	global_wb scope:SCOPE_SYS
	s_wait_storecnt 0x0
	s_wait_loadcnt_dscnt 0x0
	flat_store_b32 v[38:39], v89 scope:SCOPE_SYS
.LBB4_7305:                             ;   in Loop: Header=BB4_7235 Depth=3
	s_wait_xcnt 0x0
	s_or_b32 exec_lo, exec_lo, s13
	v_and_b32_e32 v2, 48, v30
	s_mov_b32 s13, exec_lo
	s_delay_alu instid0(VALU_DEP_1)
	v_cmpx_ne_u32_e32 0, v2
	s_cbranch_execz .LBB4_7234
; %bb.7306:                             ;   in Loop: Header=BB4_7235 Depth=3
	v_add_nc_u64_e32 v[114:115], 2, v[114:115]
	global_wb scope:SCOPE_SYS
	s_wait_storecnt 0x0
	s_wait_loadcnt_dscnt 0x0
	flat_store_b64 v[32:33], v[114:115] scope:SCOPE_SYS
	s_branch .LBB4_7234
.LBB4_7307:                             ;   in Loop: Header=BB4_7051 Depth=2
	s_or_b32 exec_lo, exec_lo, s15
.LBB4_7308:                             ;   in Loop: Header=BB4_7051 Depth=2
	s_delay_alu instid0(SALU_CYCLE_1)
	s_or_b32 exec_lo, exec_lo, s14
	s_add_co_i32 s13, s18, 1
	s_cmp_eq_u32 s18, s60
	s_cbranch_scc1 .LBB4_7310
; %bb.7309:                             ;   in Loop: Header=BB4_7051 Depth=2
	s_mov_b32 s18, s13
	s_branch .LBB4_7051
.LBB4_7310:                             ;   in Loop: Header=BB4_47 Depth=1
	v_mul_u64_e32 v[10:11], s[42:43], v[112:113]
	s_delay_alu instid0(VALU_DEP_1) | instskip(NEXT) | instid1(VALU_DEP_1)
	v_sub_nc_u64_e32 v[8:9], v[116:117], v[10:11]
	v_min_i64 v[8:9], v[112:113], v[8:9]
	s_delay_alu instid0(VALU_DEP_1) | instskip(SKIP_1) | instid1(VALU_DEP_2)
	v_max_i32_e32 v20, 0, v8
	v_cmp_lt_i32_e32 vcc_lo, 0, v8
	v_dual_mov_b32 v8, 0 :: v_dual_add_nc_u32 v2, 31, v20
	s_and_b32 s13, s61, vcc_lo
	s_delay_alu instid0(VALU_DEP_1) | instskip(NEXT) | instid1(VALU_DEP_1)
	v_lshrrev_b32_e32 v2, 1, v2
	v_and_b32_e32 v9, 0x3ffffff0, v2
	s_delay_alu instid0(VALU_DEP_1)
	v_dual_mov_b32 v2, 0 :: v_dual_max_i32 v21, s57, v9
	s_and_saveexec_b32 s14, s13
	s_cbranch_execz .LBB4_7450
; %bb.7311:                             ;   in Loop: Header=BB4_47 Depth=1
	v_add_nc_u64_e32 v[10:11], v[10:11], v[118:119]
	v_mov_b32_e32 v8, 0
	s_mov_b32 s41, 1
	s_mov_b32 s18, -1
	s_mov_b32 s15, 0
	s_branch .LBB4_7313
.LBB4_7312:                             ;   in Loop: Header=BB4_7313 Depth=2
	s_wait_xcnt 0x0
	s_or_b32 exec_lo, exec_lo, s13
	v_dual_add_nc_u32 v8, v21, v8 :: v_dual_mov_b32 v2, s41
	s_xor_b32 s13, s18, -1
	s_mov_b32 s18, 0
	s_mov_b32 s41, 2
	s_delay_alu instid0(VALU_DEP_1) | instskip(SKIP_1) | instid1(SALU_CYCLE_1)
	v_cmp_ge_i32_e32 vcc_lo, v8, v20
	s_or_b32 s13, s13, vcc_lo
	s_and_b32 s13, exec_lo, s13
	s_delay_alu instid0(SALU_CYCLE_1) | instskip(NEXT) | instid1(SALU_CYCLE_1)
	s_or_b32 s15, s13, s15
	s_and_not1_b32 exec_lo, exec_lo, s15
	s_cbranch_execz .LBB4_7449
.LBB4_7313:                             ;   Parent Loop BB4_47 Depth=1
                                        ; =>  This Loop Header: Depth=2
                                        ;       Child Loop BB4_7321 Depth 3
                                        ;       Child Loop BB4_7345 Depth 3
	;; [unrolled: 1-line block ×9, first 2 shown]
	s_and_saveexec_b32 s13, s0
	s_cbranch_execz .LBB4_7315
; %bb.7314:                             ;   in Loop: Header=BB4_7313 Depth=2
	s_trap 2
	ds_load_b128 v[12:15], v0
	s_wait_dscnt 0x0
	v_add_nc_u64_e32 v[16:17], v[14:15], v[10:11]
	v_cmp_ne_u64_e32 vcc_lo, 0, v[14:15]
	v_ashrrev_i32_e32 v9, 31, v8
	v_add_nc_u64_e32 v[12:13], v[12:13], v[10:11]
	s_delay_alu instid0(VALU_DEP_2) | instskip(NEXT) | instid1(VALU_DEP_1)
	v_add_nc_u64_e32 v[16:17], v[16:17], v[8:9]
	v_cndmask_b32_e32 v15, 0, v17, vcc_lo
	s_delay_alu instid0(VALU_DEP_3) | instskip(NEXT) | instid1(VALU_DEP_3)
	v_add_nc_u64_e32 v[12:13], v[12:13], v[8:9]
	v_cndmask_b32_e32 v14, 0, v16, vcc_lo
	ds_store_b64 v0, v[12:13]
	ds_store_b64 v0, v[14:15]
.LBB4_7315:                             ;   in Loop: Header=BB4_7313 Depth=2
	s_or_b32 exec_lo, exec_lo, s13
	v_and_b32_e32 v2, 4, v30
	s_mov_b32 s44, exec_lo
	s_delay_alu instid0(VALU_DEP_1)
	v_cmpx_ne_u32_e32 0, v2
	s_cbranch_execz .LBB4_7337
; %bb.7316:                             ;   in Loop: Header=BB4_7313 Depth=2
	v_add_nc_u64_e32 v[12:13], 2, v[114:115]
	s_mov_b32 s45, exec_lo
	s_wait_loadcnt_dscnt 0x1
	s_delay_alu instid0(VALU_DEP_1)
	v_cmpx_lt_u64_e64 v[50:51], v[12:13]
	s_cbranch_execz .LBB4_7328
; %bb.7317:                             ;   in Loop: Header=BB4_7313 Depth=2
	v_and_b32_e32 v2, 64, v30
	s_mov_b32 s72, 0
	s_mov_b32 s76, 0
                                        ; implicit-def: $sgpr73
                                        ; implicit-def: $sgpr74
                                        ; implicit-def: $sgpr75
	s_delay_alu instid0(VALU_DEP_1)
	v_cmp_eq_u32_e32 vcc_lo, 0, v2
	s_branch .LBB4_7321
.LBB4_7318:                             ;   in Loop: Header=BB4_7321 Depth=3
	s_wait_loadcnt_dscnt 0x0
	v_cmp_ge_u64_e64 s13, v[50:51], v[12:13]
	s_or_b32 s79, s79, exec_lo
	s_or_not1_b32 s78, s13, exec_lo
.LBB4_7319:                             ;   in Loop: Header=BB4_7321 Depth=3
	s_or_b32 exec_lo, exec_lo, s89
	s_delay_alu instid0(SALU_CYCLE_1)
	s_and_not1_b32 s13, s75, exec_lo
	s_and_b32 s75, s79, exec_lo
	s_and_not1_b32 s74, s74, exec_lo
	s_and_b32 s78, s78, exec_lo
	s_or_b32 s75, s13, s75
	s_or_b32 s74, s74, s78
.LBB4_7320:                             ;   in Loop: Header=BB4_7321 Depth=3
	s_or_b32 exec_lo, exec_lo, s77
	s_delay_alu instid0(SALU_CYCLE_1) | instskip(NEXT) | instid1(SALU_CYCLE_1)
	s_and_b32 s13, exec_lo, s74
	s_or_b32 s72, s13, s72
	s_and_not1_b32 s13, s73, exec_lo
	s_and_b32 s73, s75, exec_lo
	s_delay_alu instid0(SALU_CYCLE_1)
	s_or_b32 s73, s13, s73
	s_and_not1_b32 exec_lo, exec_lo, s72
	s_cbranch_execz .LBB4_7325
.LBB4_7321:                             ;   Parent Loop BB4_47 Depth=1
                                        ;     Parent Loop BB4_7313 Depth=2
                                        ; =>    This Inner Loop Header: Depth=3
	s_sleep 1
	s_wait_loadcnt_dscnt 0x0
	flat_load_b64 v[50:51], v[32:33] scope:SCOPE_SYS
	s_or_b32 s75, s75, exec_lo
	s_or_b32 s74, s74, exec_lo
                                        ; implicit-def: $vgpr2
	s_wait_xcnt 0x0
	s_and_saveexec_b32 s77, vcc_lo
	s_cbranch_execz .LBB4_7320
; %bb.7322:                             ;   in Loop: Header=BB4_7321 Depth=3
	s_cmp_lt_i32 s76, 0x270f
	s_mov_b32 s78, -1
	s_cselect_b32 s88, -1, 0
	s_cmp_gt_i32 s76, 0x270e
	s_cbranch_scc0 .LBB4_7324
; %bb.7323:                             ;   in Loop: Header=BB4_7321 Depth=3
	s_trap 2
	ds_load_b64 v[14:15], v0
	s_and_not1_b32 s76, s88, exec_lo
	s_mov_b32 s79, 0
	s_wait_storecnt 0x0
	s_wait_loadcnt_dscnt 0x0
	flat_load_b32 v2, v[14:15] scope:SCOPE_SYS
	s_wait_loadcnt_dscnt 0x0
	global_inv scope:SCOPE_SYS
	v_cmp_eq_u32_e64 s13, 0, v2
	s_and_b32 s13, s13, exec_lo
	s_delay_alu instid0(SALU_CYCLE_1)
	s_or_b32 s88, s76, s13
	s_mov_b32 s76, 0
	s_and_saveexec_b32 s89, s88
	s_cbranch_execz .LBB4_7319
	s_branch .LBB4_7318
.LBB4_7324:                             ;   in Loop: Header=BB4_7321 Depth=3
	s_add_co_i32 s76, s76, 1
	s_mov_b32 s79, -1
                                        ; implicit-def: $vgpr2
	s_and_saveexec_b32 s89, s88
	s_cbranch_execz .LBB4_7319
	s_branch .LBB4_7318
.LBB4_7325:                             ;   in Loop: Header=BB4_7313 Depth=2
	s_or_b32 exec_lo, exec_lo, s72
	s_xor_b32 s13, s73, -1
	s_delay_alu instid0(SALU_CYCLE_1) | instskip(NEXT) | instid1(SALU_CYCLE_1)
	s_and_saveexec_b32 s72, s13
	s_xor_b32 s13, exec_lo, s72
	s_cbranch_execz .LBB4_7327
; %bb.7326:                             ;   in Loop: Header=BB4_7313 Depth=2
	v_or_b32_e32 v30, 64, v30
	s_wait_storecnt 0x0
	s_wait_loadcnt_dscnt 0x0
	ds_store_b32 v0, v2
	s_trap 2
.LBB4_7327:                             ;   in Loop: Header=BB4_7313 Depth=2
	s_or_b32 exec_lo, exec_lo, s13
.LBB4_7328:                             ;   in Loop: Header=BB4_7313 Depth=2
	s_delay_alu instid0(SALU_CYCLE_1) | instskip(SKIP_3) | instid1(VALU_DEP_1)
	s_or_b32 exec_lo, exec_lo, s45
	v_and_b32_e32 v2, 0x100, v30
	s_mov_b32 s13, -1
	;;#ASMSTART
	s_wakeup
	;;#ASMEND
                                        ; implicit-def: $vgpr14_vgpr15
	v_cmp_ne_u32_e32 vcc_lo, 0, v2
	v_and_b32_e32 v2, 7, v114
	s_and_saveexec_b32 s45, vcc_lo
	s_cbranch_execz .LBB4_7332
; %bb.7329:                             ;   in Loop: Header=BB4_7313 Depth=2
	s_delay_alu instid0(VALU_DEP_1)
	v_mad_nc_u64_u32 v[16:17], v2, 24, v[6:7]
	s_mov_b32 s72, exec_lo
                                        ; implicit-def: $vgpr14_vgpr15
	flat_load_b32 v9, v[16:17]
	s_wait_loadcnt_dscnt 0x0
	v_cmp_ne_u32_e32 vcc_lo, 1, v9
	s_wait_xcnt 0x0
	v_cmpx_eq_u32_e32 1, v9
	s_cbranch_execz .LBB4_7331
; %bb.7330:                             ;   in Loop: Header=BB4_7313 Depth=2
	flat_load_b32 v14, v[16:17] offset:4 scope:SCOPE_SYS
	s_wait_loadcnt_dscnt 0x0
	v_ashrrev_i32_e32 v15, 31, v14
.LBB4_7331:                             ;   in Loop: Header=BB4_7313 Depth=2
	s_wait_xcnt 0x0
	s_or_b32 exec_lo, exec_lo, s72
	s_delay_alu instid0(SALU_CYCLE_1)
	s_or_not1_b32 s13, vcc_lo, exec_lo
.LBB4_7332:                             ;   in Loop: Header=BB4_7313 Depth=2
	s_or_b32 exec_lo, exec_lo, s45
	s_and_saveexec_b32 s45, s13
; %bb.7333:                             ;   in Loop: Header=BB4_7313 Depth=2
	v_mul_u64_e32 v[14:15], v[2:3], v[34:35]
; %bb.7334:                             ;   in Loop: Header=BB4_7313 Depth=2
	s_or_b32 exec_lo, exec_lo, s45
	s_delay_alu instid0(VALU_DEP_1)
	v_add_nc_u64_e32 v[14:15], v[36:37], v[14:15]
	v_and_b32_e32 v2, 0x2000, v30
	s_mov_b32 s13, exec_lo
	ds_store_b64 v0, v[14:15] offset:720
	v_cmpx_ne_u32_e32 0, v2
	s_cbranch_execz .LBB4_7336
; %bb.7335:                             ;   in Loop: Header=BB4_7313 Depth=2
	ds_load_b64 v[14:15], v0 offset:872
	s_wait_dscnt 0x0
	v_add_nc_u64_e32 v[14:15], 1, v[14:15]
	ds_store_b64 v0, v[14:15] offset:872
.LBB4_7336:                             ;   in Loop: Header=BB4_7313 Depth=2
	s_or_b32 exec_lo, exec_lo, s13
	v_mov_b64_e32 v[114:115], v[12:13]
.LBB4_7337:                             ;   in Loop: Header=BB4_7313 Depth=2
	s_or_b32 exec_lo, exec_lo, s44
	s_and_saveexec_b32 s13, s2
	s_cbranch_execz .LBB4_7356
; %bb.7338:                             ;   in Loop: Header=BB4_7313 Depth=2
	s_and_saveexec_b32 s44, s3
	s_delay_alu instid0(SALU_CYCLE_1)
	s_xor_b32 s44, exec_lo, s44
	s_cbranch_execz .LBB4_7353
; %bb.7339:                             ;   in Loop: Header=BB4_7313 Depth=2
	s_and_saveexec_b32 s45, s6
	s_cbranch_execz .LBB4_7352
; %bb.7340:                             ;   in Loop: Header=BB4_7313 Depth=2
	s_mov_b32 s73, exec_lo
	s_mov_b32 s72, exec_lo
	v_mbcnt_lo_u32_b32 v2, s73, 0
	global_wb scope:SCOPE_DEV
	s_wait_storecnt 0x0
	s_wait_loadcnt_dscnt 0x0
	global_inv scope:SCOPE_DEV
	v_cmpx_eq_u32_e32 0, v2
	s_cbranch_execz .LBB4_7342
; %bb.7341:                             ;   in Loop: Header=BB4_7313 Depth=2
	s_bcnt1_i32_b32 s73, s73
	s_delay_alu instid0(SALU_CYCLE_1)
	v_mov_b32_e32 v2, s73
	s_wait_loadcnt 0x0
	ds_add_u64 v0, v[2:3]
	s_trap 2
.LBB4_7342:                             ;   in Loop: Header=BB4_7313 Depth=2
	s_or_b32 exec_lo, exec_lo, s72
	s_trap 2
	ds_load_b64 v[12:13], v0
	s_wait_dscnt 0x0
	v_add_nc_u64_e32 v[48:49], v[48:49], v[52:53]
	s_mov_b32 s72, exec_lo
	s_delay_alu instid0(VALU_DEP_1)
	v_cmpx_lt_u64_e64 v[12:13], v[48:49]
	s_cbranch_execz .LBB4_7351
; %bb.7343:                             ;   in Loop: Header=BB4_7313 Depth=2
	s_mov_b32 s73, 0
	s_mov_b32 s76, 0
                                        ; implicit-def: $sgpr74
                                        ; implicit-def: $sgpr75
	s_branch .LBB4_7345
.LBB4_7344:                             ;   in Loop: Header=BB4_7345 Depth=3
	s_or_b32 exec_lo, exec_lo, s78
	s_delay_alu instid0(SALU_CYCLE_1) | instskip(NEXT) | instid1(SALU_CYCLE_1)
	s_and_b32 s77, exec_lo, s79
	s_or_b32 s73, s77, s73
	s_and_not1_b32 s74, s74, exec_lo
	s_and_b32 s77, s75, exec_lo
	s_delay_alu instid0(SALU_CYCLE_1)
	s_or_b32 s74, s74, s77
	s_and_not1_b32 exec_lo, exec_lo, s73
	s_cbranch_execz .LBB4_7349
.LBB4_7345:                             ;   Parent Loop BB4_47 Depth=1
                                        ;     Parent Loop BB4_7313 Depth=2
                                        ; =>    This Inner Loop Header: Depth=3
	s_add_co_i32 s76, s76, 1
	s_delay_alu instid0(SALU_CYCLE_1) | instskip(SKIP_1) | instid1(SALU_CYCLE_1)
	s_cmp_lg_u32 s76, 0x2710
	s_cselect_b32 s77, -1, 0
	s_and_b32 vcc_lo, exec_lo, s77
	s_cbranch_vccz .LBB4_7347
; %bb.7346:                             ;   in Loop: Header=BB4_7345 Depth=3
	s_mov_b32 s79, -1
	s_or_b32 s75, s75, exec_lo
	s_and_saveexec_b32 s78, s77
	s_cbranch_execz .LBB4_7344
	s_branch .LBB4_7348
.LBB4_7347:                             ;   in Loop: Header=BB4_7345 Depth=3
	s_trap 2
	ds_load_b64 v[12:13], v0
	s_and_not1_b32 s77, s77, exec_lo
	s_mov_b32 s76, 0
	s_wait_loadcnt_dscnt 0x0
	flat_load_b32 v2, v[12:13] scope:SCOPE_SYS
	s_wait_loadcnt_dscnt 0x0
	global_inv scope:SCOPE_SYS
	v_cmp_eq_u32_e32 vcc_lo, 0, v2
	s_and_b32 s78, vcc_lo, exec_lo
	s_delay_alu instid0(SALU_CYCLE_1)
	s_or_b32 s77, s77, s78
	s_mov_b32 s79, -1
	s_or_b32 s75, s75, exec_lo
	s_and_saveexec_b32 s78, s77
	s_cbranch_execz .LBB4_7344
.LBB4_7348:                             ;   in Loop: Header=BB4_7345 Depth=3
	s_sleep 1
	s_trap 2
	ds_load_b64 v[12:13], v0
	s_wait_dscnt 0x0
	s_and_not1_b32 s75, s75, exec_lo
	v_cmp_ge_u64_e32 vcc_lo, v[12:13], v[48:49]
	s_or_not1_b32 s79, vcc_lo, exec_lo
	s_branch .LBB4_7344
.LBB4_7349:                             ;   in Loop: Header=BB4_7313 Depth=2
	s_or_b32 exec_lo, exec_lo, s73
	s_and_saveexec_b32 s73, s74
	s_delay_alu instid0(SALU_CYCLE_1)
	s_xor_b32 s73, exec_lo, s73
	s_cbranch_execz .LBB4_7351
; %bb.7350:                             ;   in Loop: Header=BB4_7313 Depth=2
	ds_store_b32 v0, v89
	s_trap 2
.LBB4_7351:                             ;   in Loop: Header=BB4_7313 Depth=2
	s_or_b32 exec_lo, exec_lo, s72
	;;#ASMSTART
	s_wakeup
	;;#ASMEND
.LBB4_7352:                             ;   in Loop: Header=BB4_7313 Depth=2
	s_or_b32 exec_lo, exec_lo, s45
.LBB4_7353:                             ;   in Loop: Header=BB4_7313 Depth=2
	s_and_not1_saveexec_b32 s44, s44
	s_cbranch_execz .LBB4_7355
; %bb.7354:                             ;   in Loop: Header=BB4_7313 Depth=2
	global_wb scope:SCOPE_DEV
	s_wait_storecnt 0x0
	s_wait_loadcnt_dscnt 0x0
	global_inv scope:SCOPE_DEV
	s_barrier_signal -1
	s_barrier_wait -1
.LBB4_7355:                             ;   in Loop: Header=BB4_7313 Depth=2
	s_or_b32 exec_lo, exec_lo, s44
.LBB4_7356:                             ;   in Loop: Header=BB4_7313 Depth=2
	s_delay_alu instid0(SALU_CYCLE_1) | instskip(SKIP_4) | instid1(VALU_DEP_1)
	s_or_b32 exec_lo, exec_lo, s13
	s_trap 2
	ds_load_b32 v9, v0
	v_and_b32_e32 v2, 0x4000, v30
	s_xor_b32 s13, s1, -1
	v_cmp_ne_u32_e32 vcc_lo, 0, v2
	s_and_b32 s44, s13, vcc_lo
	s_delay_alu instid0(SALU_CYCLE_1)
	s_and_saveexec_b32 s13, s44
	s_cbranch_execz .LBB4_7375
; %bb.7357:                             ;   in Loop: Header=BB4_7313 Depth=2
	s_and_saveexec_b32 s44, s3
	s_delay_alu instid0(SALU_CYCLE_1)
	s_xor_b32 s44, exec_lo, s44
	s_cbranch_execz .LBB4_7372
; %bb.7358:                             ;   in Loop: Header=BB4_7313 Depth=2
	s_and_saveexec_b32 s45, s6
	s_cbranch_execz .LBB4_7371
; %bb.7359:                             ;   in Loop: Header=BB4_7313 Depth=2
	s_mov_b32 s73, exec_lo
	s_mov_b32 s72, exec_lo
	v_mbcnt_lo_u32_b32 v2, s73, 0
	global_wb scope:SCOPE_DEV
	s_wait_storecnt 0x0
	s_wait_loadcnt_dscnt 0x0
	global_inv scope:SCOPE_DEV
	v_cmpx_eq_u32_e32 0, v2
	s_cbranch_execz .LBB4_7361
; %bb.7360:                             ;   in Loop: Header=BB4_7313 Depth=2
	s_bcnt1_i32_b32 s73, s73
	s_delay_alu instid0(SALU_CYCLE_1)
	v_mov_b32_e32 v2, s73
	s_wait_loadcnt 0x0
	ds_add_u64 v0, v[2:3]
	s_trap 2
.LBB4_7361:                             ;   in Loop: Header=BB4_7313 Depth=2
	s_or_b32 exec_lo, exec_lo, s72
	s_trap 2
	ds_load_b64 v[12:13], v0
	s_wait_dscnt 0x0
	v_add_nc_u64_e32 v[48:49], v[48:49], v[52:53]
	s_mov_b32 s72, exec_lo
	s_delay_alu instid0(VALU_DEP_1)
	v_cmpx_lt_u64_e64 v[12:13], v[48:49]
	s_cbranch_execz .LBB4_7370
; %bb.7362:                             ;   in Loop: Header=BB4_7313 Depth=2
	s_mov_b32 s73, 0
	s_mov_b32 s76, 0
                                        ; implicit-def: $sgpr74
                                        ; implicit-def: $sgpr75
	s_branch .LBB4_7364
.LBB4_7363:                             ;   in Loop: Header=BB4_7364 Depth=3
	s_or_b32 exec_lo, exec_lo, s78
	s_delay_alu instid0(SALU_CYCLE_1) | instskip(NEXT) | instid1(SALU_CYCLE_1)
	s_and_b32 s77, exec_lo, s79
	s_or_b32 s73, s77, s73
	s_and_not1_b32 s74, s74, exec_lo
	s_and_b32 s77, s75, exec_lo
	s_delay_alu instid0(SALU_CYCLE_1)
	s_or_b32 s74, s74, s77
	s_and_not1_b32 exec_lo, exec_lo, s73
	s_cbranch_execz .LBB4_7368
.LBB4_7364:                             ;   Parent Loop BB4_47 Depth=1
                                        ;     Parent Loop BB4_7313 Depth=2
                                        ; =>    This Inner Loop Header: Depth=3
	s_add_co_i32 s76, s76, 1
	s_delay_alu instid0(SALU_CYCLE_1) | instskip(SKIP_1) | instid1(SALU_CYCLE_1)
	s_cmp_lg_u32 s76, 0x2710
	s_cselect_b32 s77, -1, 0
	s_and_b32 vcc_lo, exec_lo, s77
	s_cbranch_vccz .LBB4_7366
; %bb.7365:                             ;   in Loop: Header=BB4_7364 Depth=3
	s_mov_b32 s79, -1
	s_or_b32 s75, s75, exec_lo
	s_and_saveexec_b32 s78, s77
	s_cbranch_execz .LBB4_7363
	s_branch .LBB4_7367
.LBB4_7366:                             ;   in Loop: Header=BB4_7364 Depth=3
	s_trap 2
	ds_load_b64 v[12:13], v0
	s_and_not1_b32 s77, s77, exec_lo
	s_mov_b32 s76, 0
	s_wait_loadcnt_dscnt 0x0
	flat_load_b32 v2, v[12:13] scope:SCOPE_SYS
	s_wait_loadcnt_dscnt 0x0
	global_inv scope:SCOPE_SYS
	v_cmp_eq_u32_e32 vcc_lo, 0, v2
	s_and_b32 s78, vcc_lo, exec_lo
	s_delay_alu instid0(SALU_CYCLE_1)
	s_or_b32 s77, s77, s78
	s_mov_b32 s79, -1
	s_or_b32 s75, s75, exec_lo
	s_and_saveexec_b32 s78, s77
	s_cbranch_execz .LBB4_7363
.LBB4_7367:                             ;   in Loop: Header=BB4_7364 Depth=3
	s_sleep 1
	s_trap 2
	ds_load_b64 v[12:13], v0
	s_wait_dscnt 0x0
	s_and_not1_b32 s75, s75, exec_lo
	v_cmp_ge_u64_e32 vcc_lo, v[12:13], v[48:49]
	s_or_not1_b32 s79, vcc_lo, exec_lo
	s_branch .LBB4_7363
.LBB4_7368:                             ;   in Loop: Header=BB4_7313 Depth=2
	s_or_b32 exec_lo, exec_lo, s73
	s_and_saveexec_b32 s73, s74
	s_delay_alu instid0(SALU_CYCLE_1)
	s_xor_b32 s73, exec_lo, s73
	s_cbranch_execz .LBB4_7370
; %bb.7369:                             ;   in Loop: Header=BB4_7313 Depth=2
	ds_store_b32 v0, v89
	s_trap 2
.LBB4_7370:                             ;   in Loop: Header=BB4_7313 Depth=2
	s_or_b32 exec_lo, exec_lo, s72
	;;#ASMSTART
	s_wakeup
	;;#ASMEND
.LBB4_7371:                             ;   in Loop: Header=BB4_7313 Depth=2
	s_or_b32 exec_lo, exec_lo, s45
.LBB4_7372:                             ;   in Loop: Header=BB4_7313 Depth=2
	s_and_not1_saveexec_b32 s44, s44
	s_cbranch_execz .LBB4_7374
; %bb.7373:                             ;   in Loop: Header=BB4_7313 Depth=2
	global_wb scope:SCOPE_DEV
	s_wait_storecnt 0x0
	s_wait_loadcnt_dscnt 0x0
	global_inv scope:SCOPE_DEV
	s_barrier_signal -1
	s_barrier_wait -1
.LBB4_7374:                             ;   in Loop: Header=BB4_7313 Depth=2
	s_or_b32 exec_lo, exec_lo, s44
.LBB4_7375:                             ;   in Loop: Header=BB4_7313 Depth=2
	s_delay_alu instid0(SALU_CYCLE_1) | instskip(SKIP_3) | instid1(VALU_DEP_1)
	s_or_b32 exec_lo, exec_lo, s13
	s_trap 2
	ds_load_b64 v[12:13], v0
	v_sub_nc_u32_e32 v2, v20, v8
	v_min_i32_e32 v21, v21, v2
	s_wait_dscnt 0x0
	v_cmp_eq_u64_e32 vcc_lo, 0, v[12:13]
	s_cbranch_vccnz .LBB4_7383
; %bb.7376:                             ;   in Loop: Header=BB4_7313 Depth=2
	s_trap 2
	ds_load_b64 v[14:15], v0
	s_wait_dscnt 0x0
	v_cmp_eq_u64_e32 vcc_lo, 0, v[14:15]
	s_cbranch_vccnz .LBB4_7383
; %bb.7377:                             ;   in Loop: Header=BB4_7313 Depth=2
	s_mov_b32 s13, -1
	s_and_saveexec_b32 s44, s11
	s_cbranch_execz .LBB4_7379
; %bb.7378:                             ;   in Loop: Header=BB4_7313 Depth=2
	ds_load_b32 v2, v0 offset:720
	s_wait_dscnt 0x0
	v_and_b32_e32 v2, 15, v2
	s_delay_alu instid0(VALU_DEP_1)
	v_cmp_eq_u32_e32 vcc_lo, 0, v2
	s_or_not1_b32 s13, vcc_lo, exec_lo
.LBB4_7379:                             ;   in Loop: Header=BB4_7313 Depth=2
	s_or_b32 exec_lo, exec_lo, s44
	s_and_saveexec_b32 s44, s7
	s_cbranch_execz .LBB4_7381
; %bb.7380:                             ;   in Loop: Header=BB4_7313 Depth=2
	ds_load_b32 v2, v0 offset:784
	s_wait_dscnt 0x0
	v_and_b32_e32 v2, 15, v2
	s_delay_alu instid0(VALU_DEP_1) | instskip(SKIP_3) | instid1(SALU_CYCLE_1)
	v_cmp_eq_u32_e32 vcc_lo, 0, v2
	s_and_b32 s45, s13, vcc_lo
	s_and_not1_b32 s13, s13, exec_lo
	s_and_b32 s45, s45, exec_lo
	s_or_b32 s13, s13, s45
.LBB4_7381:                             ;   in Loop: Header=BB4_7313 Depth=2
	s_or_b32 exec_lo, exec_lo, s44
	v_cmp_eq_u32_e32 vcc_lo, 0, v9
	s_xor_b32 s13, s13, -1
	s_mov_b32 s45, -1
	v_cndmask_b32_e64 v16, 0, 1, s13
	v_dual_mov_b32 v9, 0 :: v_dual_cndmask_b32 v2, 0, v21
	v_mov_b32_e32 v19, v0
	s_delay_alu instid0(VALU_DEP_3) | instskip(NEXT) | instid1(VALU_DEP_3)
	v_cmp_ne_u32_e32 vcc_lo, 0, v16
	v_dual_mov_b32 v16, v93 :: v_dual_mov_b32 v18, v2
	s_cbranch_vccz .LBB4_7388
; %bb.7382:                             ;   in Loop: Header=BB4_7313 Depth=2
	s_and_saveexec_b32 s13, s45
	s_cbranch_execnz .LBB4_7401
	s_branch .LBB4_7409
.LBB4_7383:                             ;   in Loop: Header=BB4_7313 Depth=2
	s_mov_b32 s13, 0
	s_and_saveexec_b32 s44, s2
	s_cbranch_execnz .LBB4_7410
.LBB4_7384:                             ;   in Loop: Header=BB4_7313 Depth=2
	s_or_b32 exec_lo, exec_lo, s44
	s_and_saveexec_b32 s44, s10
	s_delay_alu instid0(SALU_CYCLE_1)
	s_xor_b32 s44, exec_lo, s44
	s_cbranch_execz .LBB4_7428
.LBB4_7385:                             ;   in Loop: Header=BB4_7313 Depth=2
	v_and_b32_e32 v2, 16, v30
	s_delay_alu instid0(VALU_DEP_1) | instskip(SKIP_1) | instid1(SALU_CYCLE_1)
	v_cmp_ne_u32_e32 vcc_lo, 0, v2
	s_and_b32 s45, vcc_lo, s13
	s_and_saveexec_b32 s13, s45
	s_cbranch_execz .LBB4_7387
; %bb.7386:                             ;   in Loop: Header=BB4_7313 Depth=2
	global_wb scope:SCOPE_SYS
	s_wait_storecnt 0x0
	s_wait_loadcnt_dscnt 0x0
	global_inv scope:SCOPE_SYS
.LBB4_7387:                             ;   in Loop: Header=BB4_7313 Depth=2
	s_or_b32 exec_lo, exec_lo, s13
	s_and_not1_saveexec_b32 s13, s44
	s_cbranch_execz .LBB4_7447
	s_branch .LBB4_7429
.LBB4_7388:                             ;   in Loop: Header=BB4_7313 Depth=2
	v_ashrrev_i32_e32 v9, 31, v2
	s_mov_b32 s13, exec_lo
	s_delay_alu instid0(VALU_DEP_1) | instskip(NEXT) | instid1(VALU_DEP_1)
	v_lshrrev_b32_e32 v9, 21, v9
	v_add_nc_u32_e32 v9, v2, v9
	s_delay_alu instid0(VALU_DEP_1) | instskip(NEXT) | instid1(VALU_DEP_1)
	v_ashrrev_i32_e32 v9, 11, v9
	v_sub_nc_u32_e32 v23, v9, v93
	s_delay_alu instid0(VALU_DEP_1)
	v_cmpx_lt_i32_e32 0, v23
	s_cbranch_execz .LBB4_7392
; %bb.7389:                             ;   in Loop: Header=BB4_7313 Depth=2
	v_mov_b64_e32 v[16:17], v[14:15]
	v_mov_b64_e32 v[18:19], v[12:13]
	s_mov_b32 s44, 0
.LBB4_7390:                             ;   Parent Loop BB4_47 Depth=1
                                        ;     Parent Loop BB4_7313 Depth=2
                                        ; =>    This Inner Loop Header: Depth=3
	s_delay_alu instid0(VALU_DEP_1)
	v_add_nc_u64_e32 v[28:29], v[98:99], v[18:19]
	v_sub_nc_u32_e32 v23, v23, v52
	v_add_nc_u64_e32 v[18:19], v[18:19], v[70:71]
	s_clause 0x3
	global_load_b128 v[24:27], v[28:29], off th:TH_LOAD_NT
	global_load_b128 v[116:119], v[28:29], off offset:512 th:TH_LOAD_NT
	global_load_b128 v[40:43], v[28:29], off offset:1024 th:TH_LOAD_NT
	;; [unrolled: 1-line block ×3, first 2 shown]
	s_wait_xcnt 0x0
	v_add_nc_u64_e32 v[28:29], v[98:99], v[16:17]
	v_cmp_gt_i32_e32 vcc_lo, 1, v23
	v_add_nc_u64_e32 v[16:17], v[16:17], v[70:71]
	s_wait_loadcnt 0x3
	global_store_b128 v[28:29], v[24:27], off th:TH_STORE_NT
	s_wait_loadcnt 0x2
	global_store_b128 v[28:29], v[116:119], off offset:512 th:TH_STORE_NT
	s_wait_loadcnt 0x1
	global_store_b128 v[28:29], v[40:43], off offset:1024 th:TH_STORE_NT
	;; [unrolled: 2-line block ×3, first 2 shown]
	s_or_b32 s44, vcc_lo, s44
	s_wait_xcnt 0x0
	s_and_not1_b32 exec_lo, exec_lo, s44
	s_cbranch_execnz .LBB4_7390
; %bb.7391:                             ;   in Loop: Header=BB4_7313 Depth=2
	s_or_b32 exec_lo, exec_lo, s44
.LBB4_7392:                             ;   in Loop: Header=BB4_7313 Depth=2
	s_delay_alu instid0(SALU_CYCLE_1) | instskip(SKIP_3) | instid1(VALU_DEP_1)
	s_or_b32 exec_lo, exec_lo, s13
	v_dual_mov_b32 v9, 0 :: v_dual_lshlrev_b32 v22, 11, v9
	s_mov_b32 s45, 0
	s_mov_b32 s44, exec_lo
                                        ; implicit-def: $vgpr18
                                        ; implicit-def: $vgpr19
                                        ; implicit-def: $vgpr16
	v_cmpx_ne_u32_e64 v2, v22
	s_cbranch_execz .LBB4_7400
; %bb.7393:                             ;   in Loop: Header=BB4_7313 Depth=2
	v_dual_lshlrev_b32 v9, 5, v23 :: v_dual_sub_nc_u32 v17, v2, v22
	s_mov_b32 s45, exec_lo
	s_delay_alu instid0(VALU_DEP_1) | instskip(NEXT) | instid1(VALU_DEP_2)
	v_sub_nc_u32_e32 v9, v94, v9
	v_ashrrev_i32_e32 v18, 31, v17
	s_delay_alu instid0(VALU_DEP_1) | instskip(NEXT) | instid1(VALU_DEP_1)
	v_dual_ashrrev_i32 v16, 31, v9 :: v_dual_lshrrev_b32 v18, 23, v18
	v_lshrrev_b32_e32 v16, 27, v16
	s_delay_alu instid0(VALU_DEP_1) | instskip(NEXT) | instid1(VALU_DEP_3)
	v_add_nc_u32_e32 v16, v9, v16
	v_add_nc_u32_e32 v18, v17, v18
	s_delay_alu instid0(VALU_DEP_2) | instskip(NEXT) | instid1(VALU_DEP_1)
	v_and_b32_e32 v19, 0xffffffe0, v16
	v_dual_sub_nc_u32 v26, v9, v19 :: v_dual_ashrrev_i32 v19, 5, v16
	s_delay_alu instid0(VALU_DEP_3) | instskip(SKIP_1) | instid1(VALU_DEP_2)
	v_and_b32_e32 v23, 0xfffffe00, v18
	v_ashrrev_i32_e32 v18, 9, v18
	v_dual_lshlrev_b32 v9, 4, v26 :: v_dual_sub_nc_u32 v27, v17, v23
	s_delay_alu instid0(VALU_DEP_1) | instskip(NEXT) | instid1(VALU_DEP_2)
	v_lshl_add_u32 v16, v19, 9, v9
	v_cmp_lt_i32_e32 vcc_lo, 15, v27
	s_delay_alu instid0(VALU_DEP_4) | instskip(NEXT) | instid1(VALU_DEP_1)
	v_add_co_ci_u32_e64 v18, null, 0, v18, vcc_lo
	v_dual_sub_nc_u32 v9, v17, v16 :: v_dual_sub_nc_u32 v24, v18, v19
	s_delay_alu instid0(VALU_DEP_1)
	v_cmpx_lt_i32_e32 15, v9
	s_cbranch_execz .LBB4_7397
; %bb.7394:                             ;   in Loop: Header=BB4_7313 Depth=2
	v_add_nc_u32_e32 v16, v16, v22
	s_mov_b32 s72, 0
	s_delay_alu instid0(VALU_DEP_1)
	v_ashrrev_i32_e32 v17, 31, v16
.LBB4_7395:                             ;   Parent Loop BB4_47 Depth=1
                                        ;     Parent Loop BB4_7313 Depth=2
                                        ; =>    This Inner Loop Header: Depth=3
	s_delay_alu instid0(VALU_DEP_1) | instskip(SKIP_2) | instid1(VALU_DEP_2)
	v_add_nc_u64_e32 v[18:19], v[12:13], v[16:17]
	v_sub_nc_u32_e32 v9, v9, v80
	v_sub_nc_u32_e32 v24, v24, v52
	v_cmp_gt_i32_e64 s13, 16, v9
	global_load_b128 v[116:119], v[18:19], off th:TH_LOAD_NT
	s_wait_xcnt 0x0
	v_add_nc_u64_e32 v[18:19], v[14:15], v[16:17]
	v_add_nc_u64_e32 v[16:17], v[16:17], v[80:81]
	s_or_b32 s72, s13, s72
	s_wait_loadcnt 0x0
	global_store_b128 v[18:19], v[116:119], off th:TH_STORE_NT
	s_wait_xcnt 0x0
	s_and_not1_b32 exec_lo, exec_lo, s72
	s_cbranch_execnz .LBB4_7395
; %bb.7396:                             ;   in Loop: Header=BB4_7313 Depth=2
	s_or_b32 exec_lo, exec_lo, s72
.LBB4_7397:                             ;   in Loop: Header=BB4_7313 Depth=2
	s_delay_alu instid0(SALU_CYCLE_1) | instskip(SKIP_3) | instid1(VALU_DEP_1)
	s_or_b32 exec_lo, exec_lo, s45
	v_dual_mov_b32 v9, 0 :: v_dual_bitop2_b32 v17, 15, v2 bitop3:0x40
	s_mov_b32 s45, 0
	s_mov_b32 s72, exec_lo
                                        ; implicit-def: $vgpr19
                                        ; implicit-def: $vgpr16
	v_cndmask_b32_e32 v18, v27, v17, vcc_lo
	s_delay_alu instid0(VALU_DEP_1)
	v_cmpx_ne_u32_e32 0, v18
	s_cbranch_execz .LBB4_7399
; %bb.7398:                             ;   in Loop: Header=BB4_7313 Depth=2
	v_cmp_lt_i32_e64 s13, 0, v24
	s_mov_b32 s45, exec_lo
	v_dual_sub_nc_u32 v16, v27, v17 :: v_dual_cndmask_b32 v9, 0, v52, s13
	s_delay_alu instid0(VALU_DEP_1) | instskip(NEXT) | instid1(VALU_DEP_2)
	v_cndmask_b32_e32 v16, 0, v16, vcc_lo
	v_sub_nc_u32_e32 v9, v9, v24
	s_delay_alu instid0(VALU_DEP_1) | instskip(NEXT) | instid1(VALU_DEP_1)
	v_lshl_add_u32 v19, v9, 5, v26
	v_ashrrev_i32_e32 v9, 31, v19
	s_delay_alu instid0(VALU_DEP_1) | instskip(NEXT) | instid1(VALU_DEP_1)
	v_lshrrev_b32_e32 v9, 27, v9
	v_add_nc_u32_e32 v17, v19, v9
	v_add3_u32 v9, v23, v22, v16
	s_delay_alu instid0(VALU_DEP_2)
	v_ashrrev_i32_e32 v16, 5, v17
.LBB4_7399:                             ;   in Loop: Header=BB4_7313 Depth=2
	s_or_b32 exec_lo, exec_lo, s72
	s_delay_alu instid0(SALU_CYCLE_1)
	s_and_b32 s45, s45, exec_lo
.LBB4_7400:                             ;   in Loop: Header=BB4_7313 Depth=2
	s_or_b32 exec_lo, exec_lo, s44
	s_and_saveexec_b32 s13, s45
	s_cbranch_execz .LBB4_7409
.LBB4_7401:                             ;   in Loop: Header=BB4_7313 Depth=2
	v_ashrrev_i32_e32 v17, 31, v18
	s_mov_b32 s44, exec_lo
	s_delay_alu instid0(VALU_DEP_1) | instskip(NEXT) | instid1(VALU_DEP_1)
	v_lshrrev_b32_e32 v17, 23, v17
	v_add_nc_u32_e32 v17, v18, v17
	s_delay_alu instid0(VALU_DEP_1) | instskip(NEXT) | instid1(VALU_DEP_1)
	v_dual_ashrrev_i32 v26, 9, v17 :: v_dual_ashrrev_i32 v17, 31, v19
	v_dual_sub_nc_u32 v22, v26, v16 :: v_dual_lshrrev_b32 v23, 27, v17
	s_delay_alu instid0(VALU_DEP_1)
	v_cmpx_lt_i32_e32 0, v22
	s_cbranch_execz .LBB4_7405
; %bb.7402:                             ;   in Loop: Header=BB4_7313 Depth=2
	s_delay_alu instid0(VALU_DEP_2) | instskip(SKIP_1) | instid1(VALU_DEP_1)
	v_dual_add_nc_u32 v17, v19, v23 :: v_dual_lshlrev_b32 v16, 9, v16
	s_mov_b32 s45, 0
	v_and_b32_e32 v17, 0xffffffe0, v17
	s_delay_alu instid0(VALU_DEP_1) | instskip(NEXT) | instid1(VALU_DEP_1)
	v_sub_nc_u32_e32 v17, v19, v17
	v_add3_u32 v16, v9, v17, v16
	s_delay_alu instid0(VALU_DEP_1)
	v_ashrrev_i32_e32 v17, 31, v16
.LBB4_7403:                             ;   Parent Loop BB4_47 Depth=1
                                        ;     Parent Loop BB4_7313 Depth=2
                                        ; =>    This Inner Loop Header: Depth=3
	s_delay_alu instid0(VALU_DEP_1)
	v_add_nc_u64_e32 v[24:25], v[16:17], v[12:13]
	v_sub_nc_u32_e32 v22, v22, v52
	v_add_nc_u64_e32 v[12:13], v[12:13], v[80:81]
	s_clause 0xf
	flat_load_u8 v27, v[24:25] th:TH_LOAD_NT
	flat_load_u8 v28, v[24:25] offset:32 th:TH_LOAD_NT
	flat_load_u8 v29, v[24:25] offset:64 th:TH_LOAD_NT
	;; [unrolled: 1-line block ×15, first 2 shown]
	s_wait_xcnt 0x0
	v_add_nc_u64_e32 v[24:25], v[16:17], v[14:15]
	v_add_nc_u64_e32 v[14:15], v[14:15], v[80:81]
	v_cmp_gt_i32_e32 vcc_lo, 1, v22
	s_wait_loadcnt_dscnt 0xf0f
	flat_store_b8 v[24:25], v27 th:TH_STORE_NT
	s_wait_loadcnt_dscnt 0xe0f
	flat_store_b8 v[24:25], v28 offset:32 th:TH_STORE_NT
	s_wait_loadcnt_dscnt 0xd0f
	flat_store_b8 v[24:25], v29 offset:64 th:TH_STORE_NT
	;; [unrolled: 2-line block ×15, first 2 shown]
	s_or_b32 s45, vcc_lo, s45
	s_wait_xcnt 0x0
	s_and_not1_b32 exec_lo, exec_lo, s45
	s_cbranch_execnz .LBB4_7403
; %bb.7404:                             ;   in Loop: Header=BB4_7313 Depth=2
	s_or_b32 exec_lo, exec_lo, s45
.LBB4_7405:                             ;   in Loop: Header=BB4_7313 Depth=2
	s_delay_alu instid0(SALU_CYCLE_1) | instskip(SKIP_1) | instid1(VALU_DEP_1)
	s_or_b32 exec_lo, exec_lo, s44
	v_lshlrev_b32_e32 v12, 9, v26
	v_cmp_ne_u32_e32 vcc_lo, v18, v12
	s_and_b32 exec_lo, exec_lo, vcc_lo
	s_cbranch_execz .LBB4_7409
; %bb.7406:                             ;   in Loop: Header=BB4_7313 Depth=2
	v_dual_add_nc_u32 v13, v19, v23 :: v_dual_lshlrev_b32 v14, 5, v22
	s_delay_alu instid0(VALU_DEP_1) | instskip(NEXT) | instid1(VALU_DEP_1)
	v_and_b32_e32 v13, 0xffffffe0, v13
	v_sub_nc_u32_e32 v13, v19, v13
	s_delay_alu instid0(VALU_DEP_1) | instskip(NEXT) | instid1(VALU_DEP_1)
	v_sub_nc_u32_e32 v13, v13, v14
	v_add_nc_u32_e32 v14, v12, v13
	s_delay_alu instid0(VALU_DEP_1) | instskip(NEXT) | instid1(VALU_DEP_1)
	v_sub_nc_u32_e32 v16, v18, v14
	v_cmp_lt_i32_e32 vcc_lo, 0, v16
	s_and_b32 exec_lo, exec_lo, vcc_lo
	s_cbranch_execz .LBB4_7409
; %bb.7407:                             ;   in Loop: Header=BB4_7313 Depth=2
	s_trap 2
	ds_load_b64 v[12:13], v0
	v_add_nc_u32_e32 v14, v14, v9
	s_mov_b32 s44, 0
	s_delay_alu instid0(VALU_DEP_1)
	v_ashrrev_i32_e32 v15, 31, v14
.LBB4_7408:                             ;   Parent Loop BB4_47 Depth=1
                                        ;     Parent Loop BB4_7313 Depth=2
                                        ; =>    This Inner Loop Header: Depth=3
	s_wait_dscnt 0x0
	s_delay_alu instid0(VALU_DEP_1) | instskip(SKIP_2) | instid1(VALU_DEP_2)
	v_add_nc_u64_e32 v[18:19], v[12:13], v[14:15]
	v_sub_nc_u32_e32 v16, v16, v54
	v_add_nc_u64_e32 v[14:15], v[14:15], v[54:55]
	v_cmp_gt_i32_e32 vcc_lo, 1, v16
	flat_load_u8 v9, v[18:19] th:TH_LOAD_NT
	s_or_b32 s44, vcc_lo, s44
	s_wait_loadcnt_dscnt 0x0
	flat_store_b8 v[18:19], v9 th:TH_STORE_NT
	s_wait_xcnt 0x0
	s_and_not1_b32 exec_lo, exec_lo, s44
	s_cbranch_execnz .LBB4_7408
.LBB4_7409:                             ;   in Loop: Header=BB4_7313 Depth=2
	s_or_b32 exec_lo, exec_lo, s13
	v_cmp_lt_i32_e64 s13, 0, v2
	s_and_saveexec_b32 s44, s2
	s_cbranch_execz .LBB4_7384
.LBB4_7410:                             ;   in Loop: Header=BB4_7313 Depth=2
	s_and_saveexec_b32 s45, s3
	s_delay_alu instid0(SALU_CYCLE_1)
	s_xor_b32 s45, exec_lo, s45
	s_cbranch_execz .LBB4_7425
; %bb.7411:                             ;   in Loop: Header=BB4_7313 Depth=2
	s_and_saveexec_b32 s72, s6
	s_cbranch_execz .LBB4_7424
; %bb.7412:                             ;   in Loop: Header=BB4_7313 Depth=2
	s_mov_b32 s74, exec_lo
	s_mov_b32 s73, exec_lo
	v_mbcnt_lo_u32_b32 v2, s74, 0
	global_wb scope:SCOPE_DEV
	s_wait_storecnt 0x0
	s_wait_loadcnt_dscnt 0x0
	global_inv scope:SCOPE_DEV
	v_cmpx_eq_u32_e32 0, v2
	s_cbranch_execz .LBB4_7414
; %bb.7413:                             ;   in Loop: Header=BB4_7313 Depth=2
	s_bcnt1_i32_b32 s74, s74
	s_delay_alu instid0(SALU_CYCLE_1)
	v_mov_b32_e32 v2, s74
	s_wait_loadcnt 0x0
	ds_add_u64 v0, v[2:3]
	s_trap 2
.LBB4_7414:                             ;   in Loop: Header=BB4_7313 Depth=2
	s_or_b32 exec_lo, exec_lo, s73
	s_trap 2
	ds_load_b64 v[12:13], v0
	s_wait_dscnt 0x0
	v_add_nc_u64_e32 v[48:49], v[48:49], v[52:53]
	s_mov_b32 s73, exec_lo
	s_delay_alu instid0(VALU_DEP_1)
	v_cmpx_lt_u64_e64 v[12:13], v[48:49]
	s_cbranch_execz .LBB4_7423
; %bb.7415:                             ;   in Loop: Header=BB4_7313 Depth=2
	s_mov_b32 s74, 0
	s_mov_b32 s77, 0
                                        ; implicit-def: $sgpr75
                                        ; implicit-def: $sgpr76
	s_branch .LBB4_7417
.LBB4_7416:                             ;   in Loop: Header=BB4_7417 Depth=3
	s_or_b32 exec_lo, exec_lo, s79
	s_delay_alu instid0(SALU_CYCLE_1) | instskip(NEXT) | instid1(SALU_CYCLE_1)
	s_and_b32 s78, exec_lo, s88
	s_or_b32 s74, s78, s74
	s_and_not1_b32 s75, s75, exec_lo
	s_and_b32 s78, s76, exec_lo
	s_delay_alu instid0(SALU_CYCLE_1)
	s_or_b32 s75, s75, s78
	s_and_not1_b32 exec_lo, exec_lo, s74
	s_cbranch_execz .LBB4_7421
.LBB4_7417:                             ;   Parent Loop BB4_47 Depth=1
                                        ;     Parent Loop BB4_7313 Depth=2
                                        ; =>    This Inner Loop Header: Depth=3
	s_add_co_i32 s77, s77, 1
	s_delay_alu instid0(SALU_CYCLE_1) | instskip(SKIP_1) | instid1(SALU_CYCLE_1)
	s_cmp_lg_u32 s77, 0x2710
	s_cselect_b32 s78, -1, 0
	s_and_b32 vcc_lo, exec_lo, s78
	s_cbranch_vccz .LBB4_7419
; %bb.7418:                             ;   in Loop: Header=BB4_7417 Depth=3
	s_mov_b32 s88, -1
	s_or_b32 s76, s76, exec_lo
	s_and_saveexec_b32 s79, s78
	s_cbranch_execz .LBB4_7416
	s_branch .LBB4_7420
.LBB4_7419:                             ;   in Loop: Header=BB4_7417 Depth=3
	s_trap 2
	ds_load_b64 v[12:13], v0
	s_and_not1_b32 s78, s78, exec_lo
	s_mov_b32 s77, 0
	s_wait_loadcnt_dscnt 0x0
	flat_load_b32 v2, v[12:13] scope:SCOPE_SYS
	s_wait_loadcnt_dscnt 0x0
	global_inv scope:SCOPE_SYS
	v_cmp_eq_u32_e32 vcc_lo, 0, v2
	s_and_b32 s79, vcc_lo, exec_lo
	s_delay_alu instid0(SALU_CYCLE_1)
	s_or_b32 s78, s78, s79
	s_mov_b32 s88, -1
	s_or_b32 s76, s76, exec_lo
	s_and_saveexec_b32 s79, s78
	s_cbranch_execz .LBB4_7416
.LBB4_7420:                             ;   in Loop: Header=BB4_7417 Depth=3
	s_sleep 1
	s_trap 2
	ds_load_b64 v[12:13], v0
	s_wait_dscnt 0x0
	s_and_not1_b32 s76, s76, exec_lo
	v_cmp_ge_u64_e32 vcc_lo, v[12:13], v[48:49]
	s_or_not1_b32 s88, vcc_lo, exec_lo
	s_branch .LBB4_7416
.LBB4_7421:                             ;   in Loop: Header=BB4_7313 Depth=2
	s_or_b32 exec_lo, exec_lo, s74
	s_and_saveexec_b32 s74, s75
	s_delay_alu instid0(SALU_CYCLE_1)
	s_xor_b32 s74, exec_lo, s74
	s_cbranch_execz .LBB4_7423
; %bb.7422:                             ;   in Loop: Header=BB4_7313 Depth=2
	ds_store_b32 v0, v89
	s_trap 2
.LBB4_7423:                             ;   in Loop: Header=BB4_7313 Depth=2
	s_or_b32 exec_lo, exec_lo, s73
	;;#ASMSTART
	s_wakeup
	;;#ASMEND
.LBB4_7424:                             ;   in Loop: Header=BB4_7313 Depth=2
	s_or_b32 exec_lo, exec_lo, s72
.LBB4_7425:                             ;   in Loop: Header=BB4_7313 Depth=2
	s_and_not1_saveexec_b32 s45, s45
	s_cbranch_execz .LBB4_7427
; %bb.7426:                             ;   in Loop: Header=BB4_7313 Depth=2
	global_wb scope:SCOPE_DEV
	s_wait_storecnt 0x0
	s_wait_loadcnt_dscnt 0x0
	global_inv scope:SCOPE_DEV
	s_barrier_signal -1
	s_barrier_wait -1
.LBB4_7427:                             ;   in Loop: Header=BB4_7313 Depth=2
	s_or_b32 exec_lo, exec_lo, s45
	s_delay_alu instid0(SALU_CYCLE_1) | instskip(SKIP_1) | instid1(SALU_CYCLE_1)
	s_or_b32 exec_lo, exec_lo, s44
	s_and_saveexec_b32 s44, s10
	s_xor_b32 s44, exec_lo, s44
	s_cbranch_execnz .LBB4_7385
.LBB4_7428:                             ;   in Loop: Header=BB4_7313 Depth=2
	s_and_not1_saveexec_b32 s13, s44
	s_cbranch_execz .LBB4_7447
.LBB4_7429:                             ;   in Loop: Header=BB4_7313 Depth=2
	s_and_saveexec_b32 s44, s3
	s_delay_alu instid0(SALU_CYCLE_1)
	s_xor_b32 s44, exec_lo, s44
	s_cbranch_execz .LBB4_7444
; %bb.7430:                             ;   in Loop: Header=BB4_7313 Depth=2
	s_and_saveexec_b32 s45, s6
	s_cbranch_execz .LBB4_7443
; %bb.7431:                             ;   in Loop: Header=BB4_7313 Depth=2
	s_mov_b32 s73, exec_lo
	s_mov_b32 s72, exec_lo
	v_mbcnt_lo_u32_b32 v2, s73, 0
	;;#ASMSTART
	s_waitcnt lgkmcnt(0) vmcnt(0)
	;;#ASMEND
	s_delay_alu instid0(VALU_DEP_1)
	v_cmpx_eq_u32_e32 0, v2
	s_cbranch_execz .LBB4_7433
; %bb.7432:                             ;   in Loop: Header=BB4_7313 Depth=2
	s_bcnt1_i32_b32 s73, s73
	s_delay_alu instid0(SALU_CYCLE_1)
	v_mov_b32_e32 v2, s73
	s_wait_storecnt 0x0
	s_wait_loadcnt_dscnt 0x0
	ds_add_u64 v0, v[2:3]
	s_trap 2
.LBB4_7433:                             ;   in Loop: Header=BB4_7313 Depth=2
	s_or_b32 exec_lo, exec_lo, s72
	s_trap 2
	ds_load_b64 v[12:13], v0
	s_wait_dscnt 0x0
	v_add_nc_u64_e32 v[48:49], v[48:49], v[52:53]
	s_mov_b32 s72, exec_lo
	s_delay_alu instid0(VALU_DEP_1)
	v_cmpx_lt_u64_e64 v[12:13], v[48:49]
	s_cbranch_execz .LBB4_7442
; %bb.7434:                             ;   in Loop: Header=BB4_7313 Depth=2
	s_mov_b32 s73, 0
	s_mov_b32 s76, 0
                                        ; implicit-def: $sgpr74
                                        ; implicit-def: $sgpr75
	s_branch .LBB4_7436
.LBB4_7435:                             ;   in Loop: Header=BB4_7436 Depth=3
	s_or_b32 exec_lo, exec_lo, s78
	s_delay_alu instid0(SALU_CYCLE_1) | instskip(NEXT) | instid1(SALU_CYCLE_1)
	s_and_b32 s77, exec_lo, s79
	s_or_b32 s73, s77, s73
	s_and_not1_b32 s74, s74, exec_lo
	s_and_b32 s77, s75, exec_lo
	s_delay_alu instid0(SALU_CYCLE_1)
	s_or_b32 s74, s74, s77
	s_and_not1_b32 exec_lo, exec_lo, s73
	s_cbranch_execz .LBB4_7440
.LBB4_7436:                             ;   Parent Loop BB4_47 Depth=1
                                        ;     Parent Loop BB4_7313 Depth=2
                                        ; =>    This Inner Loop Header: Depth=3
	s_add_co_i32 s76, s76, 1
	s_delay_alu instid0(SALU_CYCLE_1) | instskip(SKIP_1) | instid1(SALU_CYCLE_1)
	s_cmp_lg_u32 s76, 0x2710
	s_cselect_b32 s77, -1, 0
	s_and_b32 vcc_lo, exec_lo, s77
	s_cbranch_vccz .LBB4_7438
; %bb.7437:                             ;   in Loop: Header=BB4_7436 Depth=3
	s_mov_b32 s79, -1
	s_or_b32 s75, s75, exec_lo
	s_and_saveexec_b32 s78, s77
	s_cbranch_execz .LBB4_7435
	s_branch .LBB4_7439
.LBB4_7438:                             ;   in Loop: Header=BB4_7436 Depth=3
	s_trap 2
	ds_load_b64 v[12:13], v0
	s_and_not1_b32 s77, s77, exec_lo
	s_mov_b32 s76, 0
	s_wait_storecnt 0x0
	s_wait_loadcnt_dscnt 0x0
	flat_load_b32 v2, v[12:13] scope:SCOPE_SYS
	s_wait_loadcnt_dscnt 0x0
	global_inv scope:SCOPE_SYS
	v_cmp_eq_u32_e32 vcc_lo, 0, v2
	s_and_b32 s78, vcc_lo, exec_lo
	s_delay_alu instid0(SALU_CYCLE_1)
	s_or_b32 s77, s77, s78
	s_mov_b32 s79, -1
	s_or_b32 s75, s75, exec_lo
	s_and_saveexec_b32 s78, s77
	s_cbranch_execz .LBB4_7435
.LBB4_7439:                             ;   in Loop: Header=BB4_7436 Depth=3
	s_sleep 1
	s_trap 2
	ds_load_b64 v[12:13], v0
	s_wait_dscnt 0x0
	s_and_not1_b32 s75, s75, exec_lo
	v_cmp_ge_u64_e32 vcc_lo, v[12:13], v[48:49]
	s_or_not1_b32 s79, vcc_lo, exec_lo
	s_branch .LBB4_7435
.LBB4_7440:                             ;   in Loop: Header=BB4_7313 Depth=2
	s_or_b32 exec_lo, exec_lo, s73
	s_and_saveexec_b32 s73, s74
	s_delay_alu instid0(SALU_CYCLE_1)
	s_xor_b32 s73, exec_lo, s73
	s_cbranch_execz .LBB4_7442
; %bb.7441:                             ;   in Loop: Header=BB4_7313 Depth=2
	ds_store_b32 v0, v89
	s_trap 2
.LBB4_7442:                             ;   in Loop: Header=BB4_7313 Depth=2
	s_or_b32 exec_lo, exec_lo, s72
	;;#ASMSTART
	s_wakeup
	;;#ASMEND
.LBB4_7443:                             ;   in Loop: Header=BB4_7313 Depth=2
	s_or_b32 exec_lo, exec_lo, s45
.LBB4_7444:                             ;   in Loop: Header=BB4_7313 Depth=2
	s_and_not1_saveexec_b32 s44, s44
	s_cbranch_execz .LBB4_7446
; %bb.7445:                             ;   in Loop: Header=BB4_7313 Depth=2
	;;#ASMSTART
	s_waitcnt lgkmcnt(0) vmcnt(0)
	;;#ASMEND
	s_barrier_signal -1
	s_barrier_wait -1
.LBB4_7446:                             ;   in Loop: Header=BB4_7313 Depth=2
	s_or_b32 exec_lo, exec_lo, s44
.LBB4_7447:                             ;   in Loop: Header=BB4_7313 Depth=2
	s_delay_alu instid0(SALU_CYCLE_1) | instskip(SKIP_2) | instid1(VALU_DEP_1)
	s_or_b32 exec_lo, exec_lo, s13
	v_and_b32_e32 v2, 32, v30
	s_mov_b32 s13, exec_lo
	v_cmpx_ne_u32_e32 0, v2
	s_cbranch_execz .LBB4_7312
; %bb.7448:                             ;   in Loop: Header=BB4_7313 Depth=2
	v_add_nc_u64_e32 v[114:115], 2, v[114:115]
	global_wb scope:SCOPE_SYS
	s_wait_storecnt 0x0
	s_wait_loadcnt_dscnt 0x0
	flat_store_b64 v[32:33], v[114:115] scope:SCOPE_SYS
	s_branch .LBB4_7312
.LBB4_7449:                             ;   in Loop: Header=BB4_47 Depth=1
	s_or_b32 exec_lo, exec_lo, s15
.LBB4_7450:                             ;   in Loop: Header=BB4_47 Depth=1
	s_delay_alu instid0(SALU_CYCLE_1) | instskip(NEXT) | instid1(VALU_DEP_1)
	s_or_b32 exec_lo, exec_lo, s14
	v_cmp_gt_i32_e32 vcc_lo, 2, v2
	s_mov_b32 s14, exec_lo
	scratch_load_b64 v[22:23], off, s33 offset:196 ; 8-byte Folded Reload
	s_and_b32 s13, s14, vcc_lo
	s_wait_xcnt 0x0
	s_mov_b32 exec_lo, s13
	s_cbranch_execnz .LBB4_7451
; %bb.7583:                             ;   in Loop: Header=BB4_47 Depth=1
	s_add_pc_i64 .LBB4_46-.Lpost_addpc18
.Lpost_addpc18:
.LBB4_7451:                             ;   in Loop: Header=BB4_47 Depth=1
	v_cmp_eq_u32_e64 s18, 0, v2
	s_mov_b32 s15, 0
	s_branch .LBB4_7453
.LBB4_7452:                             ;   in Loop: Header=BB4_7453 Depth=2
	s_wait_xcnt 0x0
	s_or_b32 exec_lo, exec_lo, s13
	v_add_nc_u32_e32 v8, v21, v8
	s_mov_b32 s18, 0
	s_and_not1_b32 exec_lo, exec_lo, s15
	s_cbranch_execnz .LBB4_7453
; %bb.7585:                             ;   in Loop: Header=BB4_47 Depth=1
	s_add_pc_i64 .LBB4_45-.Lpost_addpc19
.Lpost_addpc19:
.LBB4_7453:                             ;   Parent Loop BB4_47 Depth=1
                                        ; =>  This Loop Header: Depth=2
                                        ;       Child Loop BB4_7459 Depth 3
                                        ;       Child Loop BB4_7483 Depth 3
	;; [unrolled: 1-line block ×3, first 2 shown]
	v_and_b32_e32 v2, 4, v30
	s_mov_b32 s41, exec_lo
	s_delay_alu instid0(VALU_DEP_1)
	v_cmpx_ne_u32_e32 0, v2
	s_cbranch_execz .LBB4_7475
; %bb.7454:                             ;   in Loop: Header=BB4_7453 Depth=2
	v_add_nc_u64_e32 v[10:11], 2, v[114:115]
	s_mov_b32 s44, exec_lo
	s_wait_loadcnt_dscnt 0x1
	s_delay_alu instid0(VALU_DEP_1)
	v_cmpx_lt_u64_e64 v[50:51], v[10:11]
	s_cbranch_execz .LBB4_7466
; %bb.7455:                             ;   in Loop: Header=BB4_7453 Depth=2
	v_and_b32_e32 v2, 64, v30
	s_mov_b32 s45, 0
	s_mov_b32 s75, 0
                                        ; implicit-def: $sgpr72
                                        ; implicit-def: $sgpr73
                                        ; implicit-def: $sgpr74
	s_delay_alu instid0(VALU_DEP_1)
	v_cmp_eq_u32_e32 vcc_lo, 0, v2
	s_branch .LBB4_7459
.LBB4_7456:                             ;   in Loop: Header=BB4_7459 Depth=3
	s_wait_loadcnt_dscnt 0x0
	v_cmp_ge_u64_e64 s13, v[50:51], v[10:11]
	s_or_b32 s78, s78, exec_lo
	s_or_not1_b32 s77, s13, exec_lo
.LBB4_7457:                             ;   in Loop: Header=BB4_7459 Depth=3
	s_or_b32 exec_lo, exec_lo, s88
	s_delay_alu instid0(SALU_CYCLE_1)
	s_and_not1_b32 s13, s74, exec_lo
	s_and_b32 s74, s78, exec_lo
	s_and_not1_b32 s73, s73, exec_lo
	s_and_b32 s77, s77, exec_lo
	s_or_b32 s74, s13, s74
	s_or_b32 s73, s73, s77
.LBB4_7458:                             ;   in Loop: Header=BB4_7459 Depth=3
	s_or_b32 exec_lo, exec_lo, s76
	s_delay_alu instid0(SALU_CYCLE_1) | instskip(NEXT) | instid1(SALU_CYCLE_1)
	s_and_b32 s13, exec_lo, s73
	s_or_b32 s45, s13, s45
	s_and_not1_b32 s13, s72, exec_lo
	s_and_b32 s72, s74, exec_lo
	s_delay_alu instid0(SALU_CYCLE_1)
	s_or_b32 s72, s13, s72
	s_and_not1_b32 exec_lo, exec_lo, s45
	s_cbranch_execz .LBB4_7463
.LBB4_7459:                             ;   Parent Loop BB4_47 Depth=1
                                        ;     Parent Loop BB4_7453 Depth=2
                                        ; =>    This Inner Loop Header: Depth=3
	s_sleep 1
	s_wait_loadcnt_dscnt 0x0
	flat_load_b64 v[50:51], v[32:33] scope:SCOPE_SYS
	s_or_b32 s74, s74, exec_lo
	s_or_b32 s73, s73, exec_lo
                                        ; implicit-def: $vgpr2
	s_wait_xcnt 0x0
	s_and_saveexec_b32 s76, vcc_lo
	s_cbranch_execz .LBB4_7458
; %bb.7460:                             ;   in Loop: Header=BB4_7459 Depth=3
	s_cmp_lt_i32 s75, 0x270f
	s_mov_b32 s77, -1
	s_cselect_b32 s79, -1, 0
	s_cmp_gt_i32 s75, 0x270e
	s_cbranch_scc0 .LBB4_7462
; %bb.7461:                             ;   in Loop: Header=BB4_7459 Depth=3
	s_trap 2
	ds_load_b64 v[12:13], v0
	s_and_not1_b32 s75, s79, exec_lo
	s_mov_b32 s78, 0
	s_wait_storecnt 0x0
	s_wait_loadcnt_dscnt 0x0
	flat_load_b32 v2, v[12:13] scope:SCOPE_SYS
	s_wait_loadcnt_dscnt 0x0
	global_inv scope:SCOPE_SYS
	v_cmp_eq_u32_e64 s13, 0, v2
	s_and_b32 s13, s13, exec_lo
	s_delay_alu instid0(SALU_CYCLE_1)
	s_or_b32 s79, s75, s13
	s_mov_b32 s75, 0
	s_and_saveexec_b32 s88, s79
	s_cbranch_execz .LBB4_7457
	s_branch .LBB4_7456
.LBB4_7462:                             ;   in Loop: Header=BB4_7459 Depth=3
	s_add_co_i32 s75, s75, 1
	s_mov_b32 s78, -1
                                        ; implicit-def: $vgpr2
	s_and_saveexec_b32 s88, s79
	s_cbranch_execz .LBB4_7457
	s_branch .LBB4_7456
.LBB4_7463:                             ;   in Loop: Header=BB4_7453 Depth=2
	s_or_b32 exec_lo, exec_lo, s45
	s_xor_b32 s13, s72, -1
	s_delay_alu instid0(SALU_CYCLE_1) | instskip(NEXT) | instid1(SALU_CYCLE_1)
	s_and_saveexec_b32 s45, s13
	s_xor_b32 s13, exec_lo, s45
	s_cbranch_execz .LBB4_7465
; %bb.7464:                             ;   in Loop: Header=BB4_7453 Depth=2
	v_or_b32_e32 v30, 64, v30
	s_wait_storecnt 0x0
	s_wait_loadcnt_dscnt 0x0
	ds_store_b32 v0, v2
	s_trap 2
.LBB4_7465:                             ;   in Loop: Header=BB4_7453 Depth=2
	s_or_b32 exec_lo, exec_lo, s13
.LBB4_7466:                             ;   in Loop: Header=BB4_7453 Depth=2
	s_delay_alu instid0(SALU_CYCLE_1) | instskip(SKIP_3) | instid1(VALU_DEP_1)
	s_or_b32 exec_lo, exec_lo, s44
	v_and_b32_e32 v2, 0x100, v30
	s_mov_b32 s13, -1
	;;#ASMSTART
	s_wakeup
	;;#ASMEND
                                        ; implicit-def: $vgpr12_vgpr13
	v_cmp_ne_u32_e32 vcc_lo, 0, v2
	v_and_b32_e32 v2, 7, v114
	s_and_saveexec_b32 s44, vcc_lo
	s_cbranch_execz .LBB4_7470
; %bb.7467:                             ;   in Loop: Header=BB4_7453 Depth=2
	s_delay_alu instid0(VALU_DEP_1)
	v_mad_nc_u64_u32 v[14:15], v2, 24, v[6:7]
	s_mov_b32 s45, exec_lo
                                        ; implicit-def: $vgpr12_vgpr13
	flat_load_b32 v9, v[14:15]
	s_wait_loadcnt_dscnt 0x0
	v_cmp_ne_u32_e32 vcc_lo, 1, v9
	s_wait_xcnt 0x0
	v_cmpx_eq_u32_e32 1, v9
	s_cbranch_execz .LBB4_7469
; %bb.7468:                             ;   in Loop: Header=BB4_7453 Depth=2
	flat_load_b32 v12, v[14:15] offset:4 scope:SCOPE_SYS
	s_wait_loadcnt_dscnt 0x0
	v_ashrrev_i32_e32 v13, 31, v12
.LBB4_7469:                             ;   in Loop: Header=BB4_7453 Depth=2
	s_wait_xcnt 0x0
	s_or_b32 exec_lo, exec_lo, s45
	s_delay_alu instid0(SALU_CYCLE_1)
	s_or_not1_b32 s13, vcc_lo, exec_lo
.LBB4_7470:                             ;   in Loop: Header=BB4_7453 Depth=2
	s_or_b32 exec_lo, exec_lo, s44
	s_and_saveexec_b32 s44, s13
; %bb.7471:                             ;   in Loop: Header=BB4_7453 Depth=2
	v_mul_u64_e32 v[12:13], v[2:3], v[34:35]
; %bb.7472:                             ;   in Loop: Header=BB4_7453 Depth=2
	s_or_b32 exec_lo, exec_lo, s44
	s_delay_alu instid0(VALU_DEP_1)
	v_add_nc_u64_e32 v[12:13], v[36:37], v[12:13]
	v_and_b32_e32 v2, 0x2000, v30
	s_mov_b32 s13, exec_lo
	ds_store_b64 v0, v[12:13] offset:720
	v_cmpx_ne_u32_e32 0, v2
	s_cbranch_execz .LBB4_7474
; %bb.7473:                             ;   in Loop: Header=BB4_7453 Depth=2
	ds_load_b64 v[12:13], v0 offset:872
	s_wait_dscnt 0x0
	v_add_nc_u64_e32 v[12:13], 1, v[12:13]
	ds_store_b64 v0, v[12:13] offset:872
.LBB4_7474:                             ;   in Loop: Header=BB4_7453 Depth=2
	s_or_b32 exec_lo, exec_lo, s13
	v_mov_b64_e32 v[114:115], v[10:11]
.LBB4_7475:                             ;   in Loop: Header=BB4_7453 Depth=2
	s_or_b32 exec_lo, exec_lo, s41
	s_xor_b32 s13, s18, -1
	s_delay_alu instid0(SALU_CYCLE_1) | instskip(NEXT) | instid1(SALU_CYCLE_1)
	s_and_b32 s13, exec_lo, s13
	s_or_b32 s15, s13, s15
	s_and_saveexec_b32 s13, s2
	s_cbranch_execz .LBB4_7494
; %bb.7476:                             ;   in Loop: Header=BB4_7453 Depth=2
	s_and_saveexec_b32 s18, s3
	s_delay_alu instid0(SALU_CYCLE_1)
	s_xor_b32 s18, exec_lo, s18
	s_cbranch_execz .LBB4_7491
; %bb.7477:                             ;   in Loop: Header=BB4_7453 Depth=2
	s_and_saveexec_b32 s41, s6
	s_cbranch_execz .LBB4_7490
; %bb.7478:                             ;   in Loop: Header=BB4_7453 Depth=2
	s_mov_b32 s45, exec_lo
	s_mov_b32 s44, exec_lo
	v_mbcnt_lo_u32_b32 v2, s45, 0
	global_wb scope:SCOPE_DEV
	s_wait_storecnt 0x0
	s_wait_loadcnt_dscnt 0x0
	global_inv scope:SCOPE_DEV
	v_cmpx_eq_u32_e32 0, v2
	s_cbranch_execz .LBB4_7480
; %bb.7479:                             ;   in Loop: Header=BB4_7453 Depth=2
	s_bcnt1_i32_b32 s45, s45
	s_delay_alu instid0(SALU_CYCLE_1)
	v_mov_b32_e32 v2, s45
	s_wait_loadcnt 0x0
	ds_add_u64 v0, v[2:3]
	s_trap 2
.LBB4_7480:                             ;   in Loop: Header=BB4_7453 Depth=2
	s_or_b32 exec_lo, exec_lo, s44
	s_trap 2
	ds_load_b64 v[10:11], v0
	s_wait_dscnt 0x0
	v_add_nc_u64_e32 v[48:49], v[48:49], v[52:53]
	s_mov_b32 s44, exec_lo
	s_delay_alu instid0(VALU_DEP_1)
	v_cmpx_lt_u64_e64 v[10:11], v[48:49]
	s_cbranch_execz .LBB4_7489
; %bb.7481:                             ;   in Loop: Header=BB4_7453 Depth=2
	s_mov_b32 s45, 0
	s_mov_b32 s74, 0
                                        ; implicit-def: $sgpr72
                                        ; implicit-def: $sgpr73
	s_branch .LBB4_7483
.LBB4_7482:                             ;   in Loop: Header=BB4_7483 Depth=3
	s_or_b32 exec_lo, exec_lo, s76
	s_delay_alu instid0(SALU_CYCLE_1) | instskip(NEXT) | instid1(SALU_CYCLE_1)
	s_and_b32 s75, exec_lo, s77
	s_or_b32 s45, s75, s45
	s_and_not1_b32 s72, s72, exec_lo
	s_and_b32 s75, s73, exec_lo
	s_delay_alu instid0(SALU_CYCLE_1)
	s_or_b32 s72, s72, s75
	s_and_not1_b32 exec_lo, exec_lo, s45
	s_cbranch_execz .LBB4_7487
.LBB4_7483:                             ;   Parent Loop BB4_47 Depth=1
                                        ;     Parent Loop BB4_7453 Depth=2
                                        ; =>    This Inner Loop Header: Depth=3
	s_add_co_i32 s74, s74, 1
	s_delay_alu instid0(SALU_CYCLE_1) | instskip(SKIP_1) | instid1(SALU_CYCLE_1)
	s_cmp_lg_u32 s74, 0x2710
	s_cselect_b32 s75, -1, 0
	s_and_b32 vcc_lo, exec_lo, s75
	s_cbranch_vccz .LBB4_7485
; %bb.7484:                             ;   in Loop: Header=BB4_7483 Depth=3
	s_mov_b32 s77, -1
	s_or_b32 s73, s73, exec_lo
	s_and_saveexec_b32 s76, s75
	s_cbranch_execz .LBB4_7482
	s_branch .LBB4_7486
.LBB4_7485:                             ;   in Loop: Header=BB4_7483 Depth=3
	s_trap 2
	ds_load_b64 v[10:11], v0
	s_and_not1_b32 s75, s75, exec_lo
	s_mov_b32 s74, 0
	s_wait_loadcnt_dscnt 0x0
	flat_load_b32 v2, v[10:11] scope:SCOPE_SYS
	s_wait_loadcnt_dscnt 0x0
	global_inv scope:SCOPE_SYS
	v_cmp_eq_u32_e32 vcc_lo, 0, v2
	s_and_b32 s76, vcc_lo, exec_lo
	s_delay_alu instid0(SALU_CYCLE_1)
	s_or_b32 s75, s75, s76
	s_mov_b32 s77, -1
	s_or_b32 s73, s73, exec_lo
	s_and_saveexec_b32 s76, s75
	s_cbranch_execz .LBB4_7482
.LBB4_7486:                             ;   in Loop: Header=BB4_7483 Depth=3
	s_sleep 1
	s_trap 2
	ds_load_b64 v[10:11], v0
	s_wait_dscnt 0x0
	s_and_not1_b32 s73, s73, exec_lo
	v_cmp_ge_u64_e32 vcc_lo, v[10:11], v[48:49]
	s_or_not1_b32 s77, vcc_lo, exec_lo
	s_branch .LBB4_7482
.LBB4_7487:                             ;   in Loop: Header=BB4_7453 Depth=2
	s_or_b32 exec_lo, exec_lo, s45
	s_and_saveexec_b32 s45, s72
	s_delay_alu instid0(SALU_CYCLE_1)
	s_xor_b32 s45, exec_lo, s45
	s_cbranch_execz .LBB4_7489
; %bb.7488:                             ;   in Loop: Header=BB4_7453 Depth=2
	ds_store_b32 v0, v89
	s_trap 2
.LBB4_7489:                             ;   in Loop: Header=BB4_7453 Depth=2
	s_or_b32 exec_lo, exec_lo, s44
	;;#ASMSTART
	s_wakeup
	;;#ASMEND
.LBB4_7490:                             ;   in Loop: Header=BB4_7453 Depth=2
	s_or_b32 exec_lo, exec_lo, s41
.LBB4_7491:                             ;   in Loop: Header=BB4_7453 Depth=2
	s_and_not1_saveexec_b32 s18, s18
	s_cbranch_execz .LBB4_7493
; %bb.7492:                             ;   in Loop: Header=BB4_7453 Depth=2
	global_wb scope:SCOPE_DEV
	s_wait_storecnt 0x0
	s_wait_loadcnt_dscnt 0x0
	global_inv scope:SCOPE_DEV
	s_barrier_signal -1
	s_barrier_wait -1
.LBB4_7493:                             ;   in Loop: Header=BB4_7453 Depth=2
	s_or_b32 exec_lo, exec_lo, s18
.LBB4_7494:                             ;   in Loop: Header=BB4_7453 Depth=2
	s_delay_alu instid0(SALU_CYCLE_1) | instskip(SKIP_1) | instid1(VALU_DEP_1)
	s_or_b32 exec_lo, exec_lo, s13
	v_sub_nc_u32_e32 v2, v20, v8
	v_min_i32_e32 v21, v21, v2
	s_and_saveexec_b32 s13, s10
	s_delay_alu instid0(SALU_CYCLE_1)
	s_xor_b32 s18, exec_lo, s13
	s_cbranch_execz .LBB4_7498
; %bb.7495:                             ;   in Loop: Header=BB4_7453 Depth=2
	s_trap 2
	ds_load_b32 v2, v0
	v_cmp_lt_i32_e32 vcc_lo, 0, v21
	s_wait_dscnt 0x0
	v_readfirstlane_b32 s13, v2
	v_and_b32_e32 v2, 16, v30
	s_cmp_eq_u32 s13, 0
	s_delay_alu instid0(VALU_DEP_1) | instskip(SKIP_1) | instid1(SALU_CYCLE_1)
	v_cmp_ne_u32_e64 s13, 0, v2
	s_cselect_b32 s41, -1, 0
	s_and_b32 s41, vcc_lo, s41
	s_delay_alu instid0(SALU_CYCLE_1) | instskip(NEXT) | instid1(SALU_CYCLE_1)
	s_and_b32 s41, s13, s41
	s_and_saveexec_b32 s13, s41
	s_cbranch_execz .LBB4_7497
; %bb.7496:                             ;   in Loop: Header=BB4_7453 Depth=2
	global_wb scope:SCOPE_SYS
	s_wait_loadcnt 0x0
	s_wait_storecnt 0x0
	global_inv scope:SCOPE_SYS
.LBB4_7497:                             ;   in Loop: Header=BB4_7453 Depth=2
	s_or_b32 exec_lo, exec_lo, s13
.LBB4_7498:                             ;   in Loop: Header=BB4_7453 Depth=2
	s_and_not1_saveexec_b32 s13, s18
	s_cbranch_execz .LBB4_7517
; %bb.7499:                             ;   in Loop: Header=BB4_7453 Depth=2
	s_and_saveexec_b32 s18, s3
	s_delay_alu instid0(SALU_CYCLE_1)
	s_xor_b32 s18, exec_lo, s18
	s_cbranch_execz .LBB4_7514
; %bb.7500:                             ;   in Loop: Header=BB4_7453 Depth=2
	s_and_saveexec_b32 s41, s6
	s_cbranch_execz .LBB4_7513
; %bb.7501:                             ;   in Loop: Header=BB4_7453 Depth=2
	s_mov_b32 s45, exec_lo
	s_mov_b32 s44, exec_lo
	v_mbcnt_lo_u32_b32 v2, s45, 0
	;;#ASMSTART
	s_waitcnt lgkmcnt(0) vmcnt(0)
	;;#ASMEND
	s_delay_alu instid0(VALU_DEP_1)
	v_cmpx_eq_u32_e32 0, v2
	s_cbranch_execz .LBB4_7503
; %bb.7502:                             ;   in Loop: Header=BB4_7453 Depth=2
	s_bcnt1_i32_b32 s45, s45
	s_delay_alu instid0(SALU_CYCLE_1)
	v_mov_b32_e32 v2, s45
	s_wait_storecnt 0x0
	s_wait_loadcnt_dscnt 0x0
	ds_add_u64 v0, v[2:3]
	s_trap 2
.LBB4_7503:                             ;   in Loop: Header=BB4_7453 Depth=2
	s_or_b32 exec_lo, exec_lo, s44
	s_trap 2
	ds_load_b64 v[10:11], v0
	s_wait_dscnt 0x0
	v_add_nc_u64_e32 v[48:49], v[48:49], v[52:53]
	s_mov_b32 s44, exec_lo
	s_delay_alu instid0(VALU_DEP_1)
	v_cmpx_lt_u64_e64 v[10:11], v[48:49]
	s_cbranch_execz .LBB4_7512
; %bb.7504:                             ;   in Loop: Header=BB4_7453 Depth=2
	s_mov_b32 s45, 0
	s_mov_b32 s74, 0
                                        ; implicit-def: $sgpr72
                                        ; implicit-def: $sgpr73
	s_branch .LBB4_7506
.LBB4_7505:                             ;   in Loop: Header=BB4_7506 Depth=3
	s_or_b32 exec_lo, exec_lo, s76
	s_delay_alu instid0(SALU_CYCLE_1) | instskip(NEXT) | instid1(SALU_CYCLE_1)
	s_and_b32 s75, exec_lo, s77
	s_or_b32 s45, s75, s45
	s_and_not1_b32 s72, s72, exec_lo
	s_and_b32 s75, s73, exec_lo
	s_delay_alu instid0(SALU_CYCLE_1)
	s_or_b32 s72, s72, s75
	s_and_not1_b32 exec_lo, exec_lo, s45
	s_cbranch_execz .LBB4_7510
.LBB4_7506:                             ;   Parent Loop BB4_47 Depth=1
                                        ;     Parent Loop BB4_7453 Depth=2
                                        ; =>    This Inner Loop Header: Depth=3
	s_add_co_i32 s74, s74, 1
	s_delay_alu instid0(SALU_CYCLE_1) | instskip(SKIP_1) | instid1(SALU_CYCLE_1)
	s_cmp_lg_u32 s74, 0x2710
	s_cselect_b32 s75, -1, 0
	s_and_b32 vcc_lo, exec_lo, s75
	s_cbranch_vccz .LBB4_7508
; %bb.7507:                             ;   in Loop: Header=BB4_7506 Depth=3
	s_mov_b32 s77, -1
	s_or_b32 s73, s73, exec_lo
	s_and_saveexec_b32 s76, s75
	s_cbranch_execz .LBB4_7505
	s_branch .LBB4_7509
.LBB4_7508:                             ;   in Loop: Header=BB4_7506 Depth=3
	s_trap 2
	ds_load_b64 v[10:11], v0
	s_and_not1_b32 s75, s75, exec_lo
	s_mov_b32 s74, 0
	s_wait_storecnt 0x0
	s_wait_loadcnt_dscnt 0x0
	flat_load_b32 v2, v[10:11] scope:SCOPE_SYS
	s_wait_loadcnt_dscnt 0x0
	global_inv scope:SCOPE_SYS
	v_cmp_eq_u32_e32 vcc_lo, 0, v2
	s_and_b32 s76, vcc_lo, exec_lo
	s_delay_alu instid0(SALU_CYCLE_1)
	s_or_b32 s75, s75, s76
	s_mov_b32 s77, -1
	s_or_b32 s73, s73, exec_lo
	s_and_saveexec_b32 s76, s75
	s_cbranch_execz .LBB4_7505
.LBB4_7509:                             ;   in Loop: Header=BB4_7506 Depth=3
	s_sleep 1
	s_trap 2
	ds_load_b64 v[10:11], v0
	s_wait_dscnt 0x0
	s_and_not1_b32 s73, s73, exec_lo
	v_cmp_ge_u64_e32 vcc_lo, v[10:11], v[48:49]
	s_or_not1_b32 s77, vcc_lo, exec_lo
	s_branch .LBB4_7505
.LBB4_7510:                             ;   in Loop: Header=BB4_7453 Depth=2
	s_or_b32 exec_lo, exec_lo, s45
	s_and_saveexec_b32 s45, s72
	s_delay_alu instid0(SALU_CYCLE_1)
	s_xor_b32 s45, exec_lo, s45
	s_cbranch_execz .LBB4_7512
; %bb.7511:                             ;   in Loop: Header=BB4_7453 Depth=2
	ds_store_b32 v0, v89
	s_trap 2
.LBB4_7512:                             ;   in Loop: Header=BB4_7453 Depth=2
	s_or_b32 exec_lo, exec_lo, s44
	;;#ASMSTART
	s_wakeup
	;;#ASMEND
.LBB4_7513:                             ;   in Loop: Header=BB4_7453 Depth=2
	s_or_b32 exec_lo, exec_lo, s41
.LBB4_7514:                             ;   in Loop: Header=BB4_7453 Depth=2
	s_and_not1_saveexec_b32 s18, s18
	s_cbranch_execz .LBB4_7516
; %bb.7515:                             ;   in Loop: Header=BB4_7453 Depth=2
	;;#ASMSTART
	s_waitcnt lgkmcnt(0) vmcnt(0)
	;;#ASMEND
	s_barrier_signal -1
	s_barrier_wait -1
.LBB4_7516:                             ;   in Loop: Header=BB4_7453 Depth=2
	s_or_b32 exec_lo, exec_lo, s18
.LBB4_7517:                             ;   in Loop: Header=BB4_7453 Depth=2
	s_delay_alu instid0(SALU_CYCLE_1) | instskip(SKIP_2) | instid1(VALU_DEP_1)
	s_or_b32 exec_lo, exec_lo, s13
	v_and_b32_e32 v2, 32, v30
	s_mov_b32 s13, exec_lo
	v_cmpx_ne_u32_e32 0, v2
	s_cbranch_execz .LBB4_7452
; %bb.7518:                             ;   in Loop: Header=BB4_7453 Depth=2
	v_add_nc_u64_e32 v[114:115], 2, v[114:115]
	global_wb scope:SCOPE_SYS
	s_wait_storecnt 0x0
	s_wait_loadcnt_dscnt 0x0
	flat_store_b64 v[32:33], v[114:115] scope:SCOPE_SYS
	s_branch .LBB4_7452
.LBB4_7519:
	s_or_b32 exec_lo, exec_lo, s63
	s_clause 0x1
	scratch_load_b64 v[22:23], off, s33 offset:204
	scratch_load_b32 v10, off, s33 offset:212
.LBB4_7520:
	s_wait_xcnt 0x0
	s_or_b32 exec_lo, exec_lo, s47
	v_and_b32_e32 v0, 0x800, v30
	s_mov_b32 s1, exec_lo
	s_delay_alu instid0(VALU_DEP_1)
	v_cmpx_eq_u32_e32 0, v0
	s_cbranch_execz .LBB4_7553
; %bb.7521:
	v_and_b32_e32 v0, 48, v30
	s_mov_b32 s0, exec_lo
	s_delay_alu instid0(VALU_DEP_1)
	v_cmpx_ne_u32_e32 0, v0
	s_cbranch_execz .LBB4_7523
; %bb.7522:
	s_wait_loadcnt 0x1
	flat_store_b64 v[22:23], v[114:115] offset:104
.LBB4_7523:
	s_wait_xcnt 0x0
	s_or_b32 exec_lo, exec_lo, s0
	v_and_b32_e32 v0, 0x88, v30
	s_mov_b32 s2, exec_lo
	s_delay_alu instid0(VALU_DEP_1)
	v_cmpx_eq_u32_e32 0x88, v0
	s_cbranch_execz .LBB4_7533
; %bb.7524:
	v_add_nc_u32_e32 v0, 6, v114
	s_mov_b32 s3, 0
	s_delay_alu instid0(VALU_DEP_1) | instskip(NEXT) | instid1(VALU_DEP_1)
	v_and_b32_e32 v0, 7, v0
	v_mad_nc_u64_u32 v[2:3], v0, 24, v[6:7]
	v_and_b32_e32 v0, 64, v30
	s_delay_alu instid0(VALU_DEP_1)
	v_cmp_eq_u32_e64 s0, 0, v0
	flat_load_b64 v[4:5], v[2:3] offset:8 scope:SCOPE_SYS
	s_wait_loadcnt_dscnt 0x0
	v_cmp_ne_u64_e32 vcc_lo, -1, v[4:5]
	s_and_b32 s0, vcc_lo, s0
	s_wait_xcnt 0x0
	s_and_b32 exec_lo, exec_lo, s0
	s_cbranch_execz .LBB4_7533
; %bb.7525:
	s_mov_b32 s5, 0
                                        ; implicit-def: $sgpr0
                                        ; implicit-def: $sgpr4
	s_branch .LBB4_7528
.LBB4_7526:                             ;   in Loop: Header=BB4_7528 Depth=1
	flat_load_b64 v[4:5], v[2:3] offset:8 scope:SCOPE_SYS
	s_wait_loadcnt 0x0
	s_and_not1_b32 s4, s4, exec_lo
	s_wait_dscnt 0x0
	v_cmp_eq_u64_e32 vcc_lo, -1, v[4:5]
	s_or_not1_b32 s7, vcc_lo, exec_lo
.LBB4_7527:                             ;   in Loop: Header=BB4_7528 Depth=1
	s_wait_xcnt 0x0
	s_or_b32 exec_lo, exec_lo, s10
	s_delay_alu instid0(SALU_CYCLE_1) | instskip(NEXT) | instid1(SALU_CYCLE_1)
	s_and_b32 s6, exec_lo, s7
	s_or_b32 s3, s6, s3
	s_and_not1_b32 s0, s0, exec_lo
	s_and_b32 s6, s4, exec_lo
	s_delay_alu instid0(SALU_CYCLE_1)
	s_or_b32 s0, s0, s6
	s_and_not1_b32 exec_lo, exec_lo, s3
	s_cbranch_execz .LBB4_7531
.LBB4_7528:                             ; =>This Inner Loop Header: Depth=1
	s_cmp_lt_i32 s5, 0x270f
	s_cselect_b32 s6, -1, 0
	s_delay_alu instid0(SALU_CYCLE_1)
	s_and_b32 vcc_lo, exec_lo, s6
	s_cbranch_vccnz .LBB4_7530
; %bb.7529:                             ;   in Loop: Header=BB4_7528 Depth=1
	s_trap 2
	ds_load_b64 v[4:5], v0
	s_and_not1_b32 s6, s6, exec_lo
	s_mov_b32 s5, 0
	s_wait_storecnt_dscnt 0x0
	flat_load_b32 v0, v[4:5] scope:SCOPE_SYS
	s_wait_loadcnt_dscnt 0x0
	global_inv scope:SCOPE_SYS
	v_cmp_eq_u32_e32 vcc_lo, 0, v0
	s_and_b32 s7, vcc_lo, exec_lo
	s_delay_alu instid0(SALU_CYCLE_1)
	s_or_b32 s6, s6, s7
	s_mov_b32 s7, -1
	s_or_b32 s4, s4, exec_lo
	s_wait_xcnt 0x0
	s_and_saveexec_b32 s10, s6
	s_cbranch_execz .LBB4_7527
	s_branch .LBB4_7526
.LBB4_7530:                             ;   in Loop: Header=BB4_7528 Depth=1
	s_add_co_i32 s5, s5, 1
                                        ; implicit-def: $vgpr0
	s_mov_b32 s7, -1
	s_or_b32 s4, s4, exec_lo
	s_and_saveexec_b32 s10, s6
	s_cbranch_execz .LBB4_7527
	s_branch .LBB4_7526
.LBB4_7531:
	s_or_b32 exec_lo, exec_lo, s3
	s_and_saveexec_b32 s3, s0
	s_delay_alu instid0(SALU_CYCLE_1)
	s_xor_b32 s3, exec_lo, s3
	s_cbranch_execz .LBB4_7533
; %bb.7532:
	s_wait_loadcnt 0x0
	s_wait_storecnt 0x0
	ds_store_b32 v0, v0
	s_trap 2
.LBB4_7533:
	s_or_b32 exec_lo, exec_lo, s2
	v_and_b32_e32 v0, 0x2000, v30
	s_mov_b32 s0, exec_lo
	s_delay_alu instid0(VALU_DEP_1)
	v_cmpx_ne_u32_e32 0, v0
	s_cbranch_execz .LBB4_7535
; %bb.7534:
	s_trap 2
	scratch_load_b64 v[4:5], off, s33 offset:216 th:TH_LOAD_LU ; 8-byte Folded Reload
	ds_load_b64 v[2:3], v0
	s_wait_loadcnt_dscnt 0x0
	flat_store_b64 v[4:5], v[2:3] offset:16
.LBB4_7535:
	s_wait_xcnt 0x0
	s_or_b32 exec_lo, exec_lo, s0
	v_cmp_ne_u32_e32 vcc_lo, 32, v1
	s_and_b32 exec_lo, exec_lo, vcc_lo
	s_cbranch_execz .LBB4_7553
; %bb.7536:
	s_mov_b32 s0, exec_lo
	s_wait_loadcnt 0x0
	v_cmpx_ne_u32_e64 v1, v10
	s_xor_b32 s0, exec_lo, s0
	s_cbranch_execz .LBB4_7551
; %bb.7537:
	v_and_b32_e32 v0, 31, v31
	s_mov_b32 s2, exec_lo
	s_delay_alu instid0(VALU_DEP_1)
	v_cmpx_eq_u32_e32 0, v0
	s_cbranch_execz .LBB4_7550
; %bb.7538:
	s_mov_b32 s4, exec_lo
	s_mov_b32 s3, exec_lo
	v_mbcnt_lo_u32_b32 v0, s4, 0
	global_wb scope:SCOPE_DEV
	s_wait_storecnt_dscnt 0x0
	global_inv scope:SCOPE_DEV
	v_cmpx_eq_u32_e32 0, v0
	s_cbranch_execz .LBB4_7540
; %bb.7539:
	s_bcnt1_i32_b32 s4, s4
	s_delay_alu instid0(SALU_CYCLE_1)
	v_dual_mov_b32 v3, 0 :: v_dual_mov_b32 v2, s4
	s_wait_loadcnt 0x0
	ds_add_u64 v0, v[2:3]
	s_trap 2
.LBB4_7540:
	s_or_b32 exec_lo, exec_lo, s3
	s_trap 2
	ds_load_b64 v[2:3], v0
	s_wait_dscnt 0x0
	v_dual_mov_b32 v1, 0 :: v_dual_lshrrev_b32 v0, 5, v1
	s_mov_b32 s3, exec_lo
	s_delay_alu instid0(VALU_DEP_1) | instskip(NEXT) | instid1(VALU_DEP_1)
	v_add_nc_u64_e32 v[0:1], v[48:49], v[0:1]
	v_cmpx_lt_u64_e64 v[2:3], v[0:1]
	s_cbranch_execz .LBB4_7549
; %bb.7541:
	s_mov_b32 s4, 0
	s_mov_b32 s7, 0
                                        ; implicit-def: $sgpr5
                                        ; implicit-def: $sgpr6
	s_branch .LBB4_7543
.LBB4_7542:                             ;   in Loop: Header=BB4_7543 Depth=1
	s_or_b32 exec_lo, exec_lo, s11
	s_delay_alu instid0(SALU_CYCLE_1) | instskip(NEXT) | instid1(SALU_CYCLE_1)
	s_and_b32 s10, exec_lo, s12
	s_or_b32 s4, s10, s4
	s_and_not1_b32 s5, s5, exec_lo
	s_and_b32 s10, s6, exec_lo
	s_delay_alu instid0(SALU_CYCLE_1)
	s_or_b32 s5, s5, s10
	s_and_not1_b32 exec_lo, exec_lo, s4
	s_cbranch_execz .LBB4_7547
.LBB4_7543:                             ; =>This Inner Loop Header: Depth=1
	s_add_co_i32 s7, s7, 1
	s_delay_alu instid0(SALU_CYCLE_1) | instskip(SKIP_1) | instid1(SALU_CYCLE_1)
	s_cmp_lg_u32 s7, 0x2710
	s_cselect_b32 s10, -1, 0
	s_and_b32 vcc_lo, exec_lo, s10
	s_cbranch_vccz .LBB4_7545
; %bb.7544:                             ;   in Loop: Header=BB4_7543 Depth=1
	s_mov_b32 s12, -1
	s_or_b32 s6, s6, exec_lo
	s_and_saveexec_b32 s11, s10
	s_cbranch_execz .LBB4_7542
	s_branch .LBB4_7546
.LBB4_7545:                             ;   in Loop: Header=BB4_7543 Depth=1
	s_trap 2
	ds_load_b64 v[2:3], v0
	s_and_not1_b32 s10, s10, exec_lo
	s_mov_b32 s7, 0
	s_wait_loadcnt_dscnt 0x0
	flat_load_b32 v2, v[2:3] scope:SCOPE_SYS
	s_wait_loadcnt_dscnt 0x0
	global_inv scope:SCOPE_SYS
	v_cmp_eq_u32_e32 vcc_lo, 0, v2
	s_and_b32 s11, vcc_lo, exec_lo
	s_delay_alu instid0(SALU_CYCLE_1)
	s_or_b32 s10, s10, s11
	s_mov_b32 s12, -1
	s_or_b32 s6, s6, exec_lo
	s_and_saveexec_b32 s11, s10
	s_cbranch_execz .LBB4_7542
.LBB4_7546:                             ;   in Loop: Header=BB4_7543 Depth=1
	s_sleep 1
	s_trap 2
	ds_load_b64 v[2:3], v0
	s_wait_dscnt 0x0
	s_and_not1_b32 s6, s6, exec_lo
	v_cmp_ge_u64_e32 vcc_lo, v[2:3], v[0:1]
	s_or_not1_b32 s12, vcc_lo, exec_lo
	s_branch .LBB4_7542
.LBB4_7547:
	s_or_b32 exec_lo, exec_lo, s4
	s_and_saveexec_b32 s4, s5
	s_delay_alu instid0(SALU_CYCLE_1)
	s_xor_b32 s4, exec_lo, s4
	s_cbranch_execz .LBB4_7549
; %bb.7548:
	v_mov_b32_e32 v0, 1
	ds_store_b32 v0, v0
	s_trap 2
.LBB4_7549:
	s_or_b32 exec_lo, exec_lo, s3
	;;#ASMSTART
	s_wakeup
	;;#ASMEND
.LBB4_7550:
	s_or_b32 exec_lo, exec_lo, s2
.LBB4_7551:
	s_and_not1_saveexec_b32 s0, s0
	s_cbranch_execz .LBB4_7553
; %bb.7552:
	global_wb scope:SCOPE_DEV
	s_wait_storecnt 0x0
	s_wait_loadcnt_dscnt 0x0
	global_inv scope:SCOPE_DEV
	s_barrier_signal -1
	s_barrier_wait -1
.LBB4_7553:
	s_or_b32 exec_lo, exec_lo, s1
.LBB4_7554:
	s_and_not1_saveexec_b32 s21, s46
	s_cbranch_execz .LBB4_7556
; %bb.7555:
	s_get_pc_i64 s[0:1]
	s_add_nc_u64 s[0:1], s[0:1], __PRETTY_FUNCTION__._ZN10PrimitivesI14__hip_fp8_e4m37FuncSumIS0_E12FanSymmetricILi1EELi0E11ProtoSimpleILi2ELi2ELi0ELi2ELi0ELi0EELi0ELb0ELi0ELi0ELi0EEC2EiiPKiS9_PKvPvmhhhP15ncclDevWorkCollP14ncclDevWorkP2pii@rel64+4
	s_get_pc_i64 s[2:3]
	s_add_nc_u64 s[2:3], s[2:3], __assert_fail@rel64+4
	v_dual_mov_b32 v0, s0 :: v_dual_mov_b32 v1, s1
	s_swap_pc_i64 s[30:31], s[2:3]
	; divergent unreachable
.LBB4_7556:
	s_or_b32 exec_lo, exec_lo, s21
	s_clause 0x2e
	scratch_load_b32 v126, off, s33
	scratch_load_b32 v125, off, s33 offset:4
	scratch_load_b32 v124, off, s33 offset:8
	;; [unrolled: 1-line block ×46, first 2 shown]
	v_readlane_b32 s30, v127, 0
	v_readlane_b32 s31, v127, 1
	s_mov_b32 s32, s33
	s_wait_xcnt 0x0
	s_or_saveexec_b32 s0, -1
	scratch_load_b32 v127, off, s33 offset:224 ; 4-byte Folded Reload
	s_wait_xcnt 0x0
	s_mov_b32 exec_lo, s0
	s_mov_b32 s33, s91
	s_wait_loadcnt_dscnt 0x0
	s_set_pc_i64 s[30:31]
.Lfunc_end4:
	.size	_ZN12_GLOBAL__N_17runRingI14__hip_fp8_e4m37FuncSumIS1_E11ProtoSimpleILi2ELi2ELi0ELi2ELi0ELi0EELi0ELi0ELi2ELi0EEEviiP15ncclDevWorkColl, .Lfunc_end4-_ZN12_GLOBAL__N_17runRingI14__hip_fp8_e4m37FuncSumIS1_E11ProtoSimpleILi2ELi2ELi0ELi2ELi0ELi0EELi0ELi0ELi2ELi0EEEviiP15ncclDevWorkColl
                                        ; -- End function
	.set .L_ZN12_GLOBAL__N_17runRingI14__hip_fp8_e4m37FuncSumIS1_E11ProtoSimpleILi2ELi2ELi0ELi2ELi0ELi0EELi0ELi0ELi2ELi0EEEviiP15ncclDevWorkColl.num_vgpr, max(128, .L__assert_fail.num_vgpr)
	.set .L_ZN12_GLOBAL__N_17runRingI14__hip_fp8_e4m37FuncSumIS1_E11ProtoSimpleILi2ELi2ELi0ELi2ELi0ELi0EELi0ELi0ELi2ELi0EEEviiP15ncclDevWorkColl.num_agpr, max(0, .L__assert_fail.num_agpr)
	.set .L_ZN12_GLOBAL__N_17runRingI14__hip_fp8_e4m37FuncSumIS1_E11ProtoSimpleILi2ELi2ELi0ELi2ELi0ELi0EELi0ELi0ELi2ELi0EEEviiP15ncclDevWorkColl.numbered_sgpr, max(92, .L__assert_fail.numbered_sgpr)
	.set .L_ZN12_GLOBAL__N_17runRingI14__hip_fp8_e4m37FuncSumIS1_E11ProtoSimpleILi2ELi2ELi0ELi2ELi0ELi0EELi0ELi0ELi2ELi0EEEviiP15ncclDevWorkColl.num_named_barrier, max(0, .L__assert_fail.num_named_barrier)
	.set .L_ZN12_GLOBAL__N_17runRingI14__hip_fp8_e4m37FuncSumIS1_E11ProtoSimpleILi2ELi2ELi0ELi2ELi0ELi0EELi0ELi0ELi2ELi0EEEviiP15ncclDevWorkColl.private_seg_size, 240+max(.L__assert_fail.private_seg_size)
	.set .L_ZN12_GLOBAL__N_17runRingI14__hip_fp8_e4m37FuncSumIS1_E11ProtoSimpleILi2ELi2ELi0ELi2ELi0ELi0EELi0ELi0ELi2ELi0EEEviiP15ncclDevWorkColl.uses_vcc, or(1, .L__assert_fail.uses_vcc)
	.set .L_ZN12_GLOBAL__N_17runRingI14__hip_fp8_e4m37FuncSumIS1_E11ProtoSimpleILi2ELi2ELi0ELi2ELi0ELi0EELi0ELi0ELi2ELi0EEEviiP15ncclDevWorkColl.uses_flat_scratch, or(1, .L__assert_fail.uses_flat_scratch)
	.set .L_ZN12_GLOBAL__N_17runRingI14__hip_fp8_e4m37FuncSumIS1_E11ProtoSimpleILi2ELi2ELi0ELi2ELi0ELi0EELi0ELi0ELi2ELi0EEEviiP15ncclDevWorkColl.has_dyn_sized_stack, or(0, .L__assert_fail.has_dyn_sized_stack)
	.set .L_ZN12_GLOBAL__N_17runRingI14__hip_fp8_e4m37FuncSumIS1_E11ProtoSimpleILi2ELi2ELi0ELi2ELi0ELi0EELi0ELi0ELi2ELi0EEEviiP15ncclDevWorkColl.has_recursion, or(1, .L__assert_fail.has_recursion)
	.set .L_ZN12_GLOBAL__N_17runRingI14__hip_fp8_e4m37FuncSumIS1_E11ProtoSimpleILi2ELi2ELi0ELi2ELi0ELi0EELi0ELi0ELi2ELi0EEEviiP15ncclDevWorkColl.has_indirect_call, or(0, .L__assert_fail.has_indirect_call)
	.section	.AMDGPU.csdata,"",@progbits
; Function info:
; codeLenInByte = 241592
; TotalNumSgprs: 94
; NumVgprs: 128
; ScratchSize: 304
; MemoryBound: 1
	.text
	.p2align	2                               ; -- Begin function _Z50ncclDevFunc_AllReduce_RING_SIMPLE_Sum_f8e4m3_0_0_2v
	.type	_Z50ncclDevFunc_AllReduce_RING_SIMPLE_Sum_f8e4m3_0_0_2v,@function
_Z50ncclDevFunc_AllReduce_RING_SIMPLE_Sum_f8e4m3_0_0_2v: ; @_Z50ncclDevFunc_AllReduce_RING_SIMPLE_Sum_f8e4m3_0_0_2v
; %bb.0:
	s_wait_loadcnt_dscnt 0x0
	s_wait_kmcnt 0x0
	s_mov_b32 s0, s33
	s_mov_b32 s33, s32
	s_or_saveexec_b32 s1, -1
	scratch_store_b32 off, v42, s33 offset:12 ; 4-byte Folded Spill
	s_wait_xcnt 0x0
	s_mov_b32 exec_lo, s1
	v_writelane_b32 v42, s0, 4
	s_add_co_i32 s32, s32, 32
	s_clause 0x2
	scratch_store_b32 off, v40, s33 offset:8
	; meta instruction
	scratch_store_b32 off, v41, s33 offset:4
	; meta instruction
	scratch_store_b32 off, v127, s33
	v_writelane_b32 v42, s34, 0
	v_writelane_b32 v42, s35, 1
	;; [unrolled: 1-line block ×4, first 2 shown]
	s_trap 2
	ds_load_b32 v0, v0
	s_wait_xcnt 0x2
	v_mov_b32_e32 v40, v31
	s_wait_dscnt 0x0
	v_cmp_gt_i32_e32 vcc_lo, 1, v0
	s_cbranch_vccnz .LBB5_8
; %bb.1:
	s_wait_xcnt 0x1
	v_and_b32_e32 v41, 0x3ff, v40
	s_mov_b32 s94, s12
	s_mov_b64 s[92:93], s[8:9]
	s_mov_b32 s95, 0
	s_get_pc_i64 s[34:35]
	s_add_nc_u64 s[34:35], s[34:35], _ZN12_GLOBAL__N_17runRingI14__hip_fp8_e4m37FuncSumIS1_E11ProtoSimpleILi2ELi2ELi0ELi2ELi0ELi0EELi0ELi0ELi2ELi0EEEviiP15ncclDevWorkColl@rel64+4
	s_branch .LBB5_3
.LBB5_2:                                ;   in Loop: Header=BB5_3 Depth=1
	s_or_b32 exec_lo, exec_lo, vcc_hi
	s_trap 2
	ds_load_b32 v0, v0
	s_add_co_i32 s95, s95, 1
	s_wait_dscnt 0x0
	v_cmp_lt_i32_e32 vcc_lo, s95, v0
	s_cbranch_vccz .LBB5_8
.LBB5_3:                                ; =>This Inner Loop Header: Depth=1
	s_trap 2
	ds_load_b32 v0, v0
	s_cmp_eq_u32 s95, 0
	s_cbranch_scc1 .LBB5_6
; %bb.4:                                ;   in Loop: Header=BB5_3 Depth=1
	s_trap 2
	s_wait_dscnt 0x0
	ds_load_b32 v1, v0
	s_wait_dscnt 0x0
	v_xor_b32_e32 v1, v1, v0
	s_delay_alu instid0(VALU_DEP_1) | instskip(NEXT) | instid1(VALU_DEP_1)
	v_and_b32_e32 v1, 0xff0000, v1
	v_cmp_eq_u32_e32 vcc_lo, 0, v1
	s_cbranch_vccnz .LBB5_6
; %bb.5:                                ;   in Loop: Header=BB5_3 Depth=1
	s_wait_storecnt 0x0
	s_barrier_signal -1
	s_barrier_wait -1
	ds_load_b32 v0, v0
.LBB5_6:                                ;   in Loop: Header=BB5_3 Depth=1
	s_wait_dscnt 0x0
	v_lshrrev_b32_e32 v0, 11, v0
	s_mov_b32 vcc_hi, exec_lo
	s_delay_alu instid0(VALU_DEP_1) | instskip(SKIP_1) | instid1(VALU_DEP_1)
	v_and_b32_e32 v1, 0x1fe0, v0
	s_wait_xcnt 0x0
	v_cmpx_lt_u32_e64 v41, v1
	s_cbranch_execz .LBB5_2
; %bb.7:                                ;   in Loop: Header=BB5_3 Depth=1
	s_mov_b64 s[0:1], src_shared_base
	v_dual_mov_b32 v31, v40 :: v_dual_mov_b32 v0, v41
	v_mov_b32_e32 v3, s1
	s_mov_b64 s[8:9], s[92:93]
	s_mov_b32 s12, s94
	s_swap_pc_i64 s[30:31], s[34:35]
	s_branch .LBB5_2
.LBB5_8:
	s_clause 0x2
	scratch_load_b32 v127, off, s33
	scratch_load_b32 v41, off, s33 offset:4
	scratch_load_b32 v40, off, s33 offset:8
	v_readlane_b32 s30, v42, 2
	v_readlane_b32 s31, v42, 3
	;; [unrolled: 1-line block ×4, first 2 shown]
	s_mov_b32 s32, s33
	v_readlane_b32 s0, v42, 4
	s_wait_xcnt 0x0
	s_or_saveexec_b32 s1, -1
	scratch_load_b32 v42, off, s33 offset:12 ; 4-byte Folded Reload
	s_wait_xcnt 0x0
	s_mov_b32 exec_lo, s1
	s_mov_b32 s33, s0
	s_wait_loadcnt 0x0
	s_set_pc_i64 s[30:31]
.Lfunc_end5:
	.size	_Z50ncclDevFunc_AllReduce_RING_SIMPLE_Sum_f8e4m3_0_0_2v, .Lfunc_end5-_Z50ncclDevFunc_AllReduce_RING_SIMPLE_Sum_f8e4m3_0_0_2v
                                        ; -- End function
	.set .L_Z50ncclDevFunc_AllReduce_RING_SIMPLE_Sum_f8e4m3_0_0_2v.num_vgpr, max(128, .L_ZN12_GLOBAL__N_17runRingI14__hip_fp8_e4m37FuncSumIS1_E11ProtoSimpleILi2ELi2ELi0ELi2ELi0ELi0EELi0ELi0ELi2ELi0EEEviiP15ncclDevWorkColl.num_vgpr)
	.set .L_Z50ncclDevFunc_AllReduce_RING_SIMPLE_Sum_f8e4m3_0_0_2v.num_agpr, max(0, .L_ZN12_GLOBAL__N_17runRingI14__hip_fp8_e4m37FuncSumIS1_E11ProtoSimpleILi2ELi2ELi0ELi2ELi0ELi0EELi0ELi0ELi2ELi0EEEviiP15ncclDevWorkColl.num_agpr)
	.set .L_Z50ncclDevFunc_AllReduce_RING_SIMPLE_Sum_f8e4m3_0_0_2v.numbered_sgpr, max(96, .L_ZN12_GLOBAL__N_17runRingI14__hip_fp8_e4m37FuncSumIS1_E11ProtoSimpleILi2ELi2ELi0ELi2ELi0ELi0EELi0ELi0ELi2ELi0EEEviiP15ncclDevWorkColl.numbered_sgpr)
	.set .L_Z50ncclDevFunc_AllReduce_RING_SIMPLE_Sum_f8e4m3_0_0_2v.num_named_barrier, max(0, .L_ZN12_GLOBAL__N_17runRingI14__hip_fp8_e4m37FuncSumIS1_E11ProtoSimpleILi2ELi2ELi0ELi2ELi0ELi0EELi0ELi0ELi2ELi0EEEviiP15ncclDevWorkColl.num_named_barrier)
	.set .L_Z50ncclDevFunc_AllReduce_RING_SIMPLE_Sum_f8e4m3_0_0_2v.private_seg_size, 32+max(.L_ZN12_GLOBAL__N_17runRingI14__hip_fp8_e4m37FuncSumIS1_E11ProtoSimpleILi2ELi2ELi0ELi2ELi0ELi0EELi0ELi0ELi2ELi0EEEviiP15ncclDevWorkColl.private_seg_size)
	.set .L_Z50ncclDevFunc_AllReduce_RING_SIMPLE_Sum_f8e4m3_0_0_2v.uses_vcc, or(1, .L_ZN12_GLOBAL__N_17runRingI14__hip_fp8_e4m37FuncSumIS1_E11ProtoSimpleILi2ELi2ELi0ELi2ELi0ELi0EELi0ELi0ELi2ELi0EEEviiP15ncclDevWorkColl.uses_vcc)
	.set .L_Z50ncclDevFunc_AllReduce_RING_SIMPLE_Sum_f8e4m3_0_0_2v.uses_flat_scratch, or(1, .L_ZN12_GLOBAL__N_17runRingI14__hip_fp8_e4m37FuncSumIS1_E11ProtoSimpleILi2ELi2ELi0ELi2ELi0ELi0EELi0ELi0ELi2ELi0EEEviiP15ncclDevWorkColl.uses_flat_scratch)
	.set .L_Z50ncclDevFunc_AllReduce_RING_SIMPLE_Sum_f8e4m3_0_0_2v.has_dyn_sized_stack, or(0, .L_ZN12_GLOBAL__N_17runRingI14__hip_fp8_e4m37FuncSumIS1_E11ProtoSimpleILi2ELi2ELi0ELi2ELi0ELi0EELi0ELi0ELi2ELi0EEEviiP15ncclDevWorkColl.has_dyn_sized_stack)
	.set .L_Z50ncclDevFunc_AllReduce_RING_SIMPLE_Sum_f8e4m3_0_0_2v.has_recursion, or(1, .L_ZN12_GLOBAL__N_17runRingI14__hip_fp8_e4m37FuncSumIS1_E11ProtoSimpleILi2ELi2ELi0ELi2ELi0ELi0EELi0ELi0ELi2ELi0EEEviiP15ncclDevWorkColl.has_recursion)
	.set .L_Z50ncclDevFunc_AllReduce_RING_SIMPLE_Sum_f8e4m3_0_0_2v.has_indirect_call, or(0, .L_ZN12_GLOBAL__N_17runRingI14__hip_fp8_e4m37FuncSumIS1_E11ProtoSimpleILi2ELi2ELi0ELi2ELi0ELi0EELi0ELi0ELi2ELi0EEEviiP15ncclDevWorkColl.has_indirect_call)
	.section	.AMDGPU.csdata,"",@progbits
; Function info:
; codeLenInByte = 512
; TotalNumSgprs: 98
; NumVgprs: 128
; ScratchSize: 336
; MemoryBound: 0
	.text
	.p2align	2                               ; -- Begin function _ZN12_GLOBAL__N_17runRingI14__hip_fp8_e4m37FuncSumIS1_E11ProtoSimpleILi2ELi2ELi0ELi4ELi0ELi0EELi0ELi0ELi4ELi0EEEviiP15ncclDevWorkColl
	.type	_ZN12_GLOBAL__N_17runRingI14__hip_fp8_e4m37FuncSumIS1_E11ProtoSimpleILi2ELi2ELi0ELi4ELi0ELi0EELi0ELi0ELi4ELi0EEEviiP15ncclDevWorkColl,@function
_ZN12_GLOBAL__N_17runRingI14__hip_fp8_e4m37FuncSumIS1_E11ProtoSimpleILi2ELi2ELi0ELi4ELi0ELi0EELi0ELi0ELi4ELi0EEEviiP15ncclDevWorkColl: ; @_ZN12_GLOBAL__N_17runRingI14__hip_fp8_e4m37FuncSumIS1_E11ProtoSimpleILi2ELi2ELi0ELi4ELi0ELi0EELi0ELi0ELi4ELi0EEEviiP15ncclDevWorkColl
; %bb.0:
	s_wait_loadcnt_dscnt 0x0
	s_wait_kmcnt 0x0
	s_mov_b32 s91, s33
	s_mov_b32 s33, s32
	s_or_saveexec_b32 s0, -1
	scratch_store_b32 off, v127, s33 offset:344 ; 4-byte Folded Spill
	s_wait_xcnt 0x0
	s_mov_b32 exec_lo, s0
	s_addk_co_i32 s32, 0x160
	s_clause 0x2e
	scratch_store_b32 off, v40, s33 offset:184
	; meta instruction
	scratch_store_b32 off, v41, s33 offset:180
	; meta instruction
	;; [unrolled: 2-line block ×46, first 2 shown]
	scratch_store_b32 off, v126, s33
	v_writelane_b32 v127, s30, 0
	v_writelane_b32 v127, s31, 1
	s_wait_xcnt 0x2c
	v_mov_b32_e32 v42, v0
	s_trap 2
	flat_load_b32 v0, v[2:3]
	s_mov_b32 s0, exec_lo
                                        ; implicit-def: $vgpr14_vgpr15
                                        ; implicit-def: $vgpr6_vgpr7
                                        ; kill: killed $vgpr6_vgpr7
                                        ; implicit-def: $vgpr46_vgpr47
	s_wait_loadcnt_dscnt 0x0
	ds_load_b32 v10, v0
	v_and_b32_e32 v5, 0xff, v0
	s_wait_dscnt 0x0
	v_readfirstlane_b32 s16, v10
	s_wait_xcnt 0x0
	s_delay_alu instid0(VALU_DEP_2)
	v_cmpx_ne_u32_e64 v10, v5
	s_xor_b32 s0, exec_lo, s0
	s_cbranch_execz .LBB6_6
; %bb.1:
	v_bfe_u32 v4, v0, 8, 8
	v_not_b32_e32 v0, v5
	s_mov_b32 s1, exec_lo
                                        ; implicit-def: $vgpr14_vgpr15
                                        ; implicit-def: $vgpr6_vgpr7
                                        ; kill: killed $vgpr6_vgpr7
                                        ; implicit-def: $vgpr46_vgpr47
	s_delay_alu instid0(VALU_DEP_2)
	v_cmpx_ne_u32_e64 v10, v4
	s_xor_b32 s1, exec_lo, s1
	s_cbranch_execz .LBB6_3
; %bb.2:
	s_clause 0x1
	flat_load_b128 v[4:7], v[2:3] offset:72
	flat_load_b64 v[8:9], v[2:3] offset:96
	v_add_nc_u32_e32 v0, v10, v0
	s_wait_loadcnt_dscnt 0x101
	s_delay_alu instid0(VALU_DEP_1) | instskip(SKIP_3) | instid1(VALU_DEP_3)
	v_mad_nc_u64_u32 v[10:11], v6, v0, v[4:5]
	s_wait_loadcnt_dscnt 0x0
	v_lshrrev_b64 v[14:15], 12, v[8:9]
	v_mov_b64_e32 v[46:47], v[6:7]
	v_mad_u32 v4, v7, v0, v11
	v_ashrrev_i32_e32 v0, 31, v0
	s_delay_alu instid0(VALU_DEP_1)
	v_mad_u32 v11, v6, v0, v4
                                        ; implicit-def: $vgpr4
                                        ; implicit-def: $vgpr0
	scratch_store_b64 off, v[10:11], s33 offset:284 ; 8-byte Folded Spill
.LBB6_3:
	s_wait_xcnt 0x0
	s_and_not1_saveexec_b32 s1, s1
	s_cbranch_execz .LBB6_5
; %bb.4:
	s_clause 0x1
	flat_load_b128 v[6:9], v[2:3] offset:72
	flat_load_b128 v[46:49], v[2:3] offset:88
	s_wait_loadcnt_dscnt 0x0
	v_dual_add_nc_u32 v0, v4, v0 :: v_dual_lshrrev_b32 v14, 1, v49
	s_delay_alu instid0(VALU_DEP_1) | instskip(NEXT) | instid1(VALU_DEP_1)
	v_mad_nc_u64_u32 v[6:7], v8, v0, v[6:7]
	v_mad_u32 v4, v9, v0, v7
	v_ashrrev_i32_e32 v0, 31, v0
	s_delay_alu instid0(VALU_DEP_1)
	v_mad_u32 v7, v8, v0, v4
	scratch_store_b64 off, v[6:7], s33 offset:284 ; 8-byte Folded Spill
.LBB6_5:
	s_wait_xcnt 0x0
	s_or_b32 exec_lo, exec_lo, s1
.LBB6_6:
	s_and_not1_saveexec_b32 s0, s0
	s_cbranch_execz .LBB6_8
; %bb.7:
	s_clause 0x1
	flat_load_b64 v[4:5], v[2:3] offset:96
	flat_load_b64 v[46:47], v[2:3] offset:72
	s_wait_loadcnt_dscnt 0x101
	v_lshlrev_b64_e32 v[14:15], 9, v[4:5]
	v_mov_b64_e32 v[4:5], 0
	scratch_store_b64 off, v[4:5], s33 offset:284 ; 8-byte Folded Spill
.LBB6_8:
	s_wait_xcnt 0x0
	s_or_b32 exec_lo, exec_lo, s0
	s_trap 2
	ds_load_b64 v[4:5], v0
	s_mov_b32 s1, 0
	s_mov_b32 s2, exec_lo
	s_wait_dscnt 0x0
	v_cmp_ne_u32_e32 vcc_lo, -1, v4
	v_cndmask_b32_e64 v18, 0, 1, vcc_lo
	v_cmp_ne_u32_e32 vcc_lo, -1, v5
	s_delay_alu instid0(VALU_DEP_2) | instskip(NEXT) | instid1(VALU_DEP_1)
	v_add_co_ci_u32_e64 v0, null, 0, v18, vcc_lo
	v_lshlrev_b32_e32 v4, 1, v0
	s_delay_alu instid0(VALU_DEP_1)
	v_cmpx_le_u32_e64 v4, v1
	s_xor_b32 s46, exec_lo, s2
	s_cbranch_execnz .LBB6_9
; %bb.12265:
	s_add_pc_i64 .LBB6_12258-.Lpost_addpc22
.Lpost_addpc22:
.LBB6_9:
	s_clause 0x3
	flat_load_b128 v[10:13], v[2:3] offset:16
	flat_load_b64 v[16:17], v[2:3] offset:104
	flat_load_u16 v7, v[2:3] offset:8
	flat_load_b32 v6, v[2:3] offset:4
	s_trap 2
	s_load_b32 s0, s[8:9], 0x0
	s_bfe_u32 s2, ttmp6, 0x4000c
	s_and_b32 s3, ttmp6, 15
	s_add_co_i32 s2, s2, 1
	s_getreg_b32 s4, hwreg(HW_REG_IB_STS2, 6, 4)
	s_mul_i32 s2, ttmp9, s2
	v_dual_mov_b32 v4, 0 :: v_dual_mov_b32 v30, 4
	s_add_co_i32 s3, s3, s2
	s_cmp_eq_u32 s4, 0
	ds_load_b32 v5, v0
	s_cselect_b32 s2, ttmp9, s3
	s_wait_kmcnt 0x0
	s_cmp_lt_u32 s2, s0
	s_cselect_b32 s0, 12, 18
	s_delay_alu instid0(SALU_CYCLE_1)
	s_add_nc_u64 s[0:1], s[8:9], s[0:1]
	global_load_u16 v4, v4, s[0:1]
	s_wait_xcnt 0x0
	s_mov_b32 s1, exec_lo
	s_wait_dscnt 0x0
	v_readfirstlane_b32 s7, v5
	v_cmpx_ge_i32_e64 v42, v18
	s_cbranch_execz .LBB6_19
; %bb.10:
	v_cmp_ge_u32_e64 s0, v42, v0
                                        ; implicit-def: $vgpr30
	s_and_saveexec_b32 s2, s0
	s_delay_alu instid0(SALU_CYCLE_1)
	s_xor_b32 s0, exec_lo, s2
	s_cbranch_execz .LBB6_16
; %bb.11:
	v_cndmask_b32_e64 v5, 0, 1, vcc_lo
	s_mov_b32 s2, exec_lo
	s_delay_alu instid0(VALU_DEP_1) | instskip(NEXT) | instid1(VALU_DEP_1)
	v_sub_nc_u32_e32 v5, v1, v5
	v_cmpx_ge_u32_e64 v42, v5
	s_xor_b32 s2, exec_lo, s2
; %bb.12:
                                        ; implicit-def: $vgpr0
; %bb.13:
	s_delay_alu instid0(SALU_CYCLE_1)
	s_or_saveexec_b32 s2, s2
	v_mov_b32_e32 v30, 16
	s_xor_b32 exec_lo, exec_lo, s2
; %bb.14:
	v_sub_nc_u32_e32 v0, v1, v0
	s_delay_alu instid0(VALU_DEP_1)
	v_cmp_lt_i32_e32 vcc_lo, v42, v0
	v_cndmask_b32_e64 v30, 32, 0, vcc_lo
; %bb.15:
	s_or_b32 exec_lo, exec_lo, s2
.LBB6_16:
	s_and_not1_saveexec_b32 s0, s0
; %bb.17:
	v_mov_b32_e32 v30, 8
; %bb.18:
	s_or_b32 exec_lo, exec_lo, s0
.LBB6_19:
	s_delay_alu instid0(SALU_CYCLE_1) | instskip(NEXT) | instid1(VALU_DEP_1)
	s_or_b32 exec_lo, exec_lo, s1
	v_dual_mov_b32 v5, -1 :: v_dual_bitop2_b32 v0, 36, v30 bitop3:0x40
	s_delay_alu instid0(VALU_DEP_1)
	v_cmp_ne_u32_e32 vcc_lo, 0, v0
	s_and_saveexec_b32 s0, vcc_lo
	s_cbranch_execz .LBB6_21
; %bb.20:
	s_trap 2
	ds_load_b32 v5, v0
.LBB6_21:
	s_or_b32 exec_lo, exec_lo, s0
	v_and_b32_e32 v0, 24, v30
	s_mov_b32 s1, exec_lo
	s_delay_alu instid0(VALU_DEP_1)
	v_cmpx_ne_u32_e32 0, v0
	s_cbranch_execz .LBB6_23
; %bb.22:
	s_trap 2
	s_wait_dscnt 0x0
	ds_load_b32 v5, v0
.LBB6_23:
	s_or_b32 exec_lo, exec_lo, s1
	s_wait_loadcnt 0x1
	v_lshrrev_b64 v[8:9], 31, v[6:7]
	v_mov_b64_e32 v[20:21], 0
	v_mov_b64_e32 v[6:7], 0
                                        ; implicit-def: $vgpr62
                                        ; implicit-def: $vgpr60_vgpr61
                                        ; implicit-def: $vgpr68_vgpr69
                                        ; implicit-def: $vgpr82_vgpr83
                                        ; implicit-def: $vgpr64_vgpr65
	s_delay_alu instid0(VALU_DEP_3)
	v_and_b32_e32 v0, 3, v8
                                        ; implicit-def: $vgpr8_vgpr9
                                        ; kill: killed $vgpr8_vgpr9
	s_and_saveexec_b32 s0, vcc_lo
	s_cbranch_execz .LBB6_33
; %bb.24:
	s_trap 2
	ds_load_b64 v[6:7], v0
	v_and_b32_e32 v8, 0xffff, v0
	s_wait_dscnt 0x0
	v_readfirstlane_b32 s2, v6
	v_readfirstlane_b32 s3, v7
	flat_load_b64 v[6:7], v5, s[2:3] scale_offset
	s_wait_loadcnt_dscnt 0x0
	v_mad_nc_u64_u32 v[8:9], 0xa8, v8, v[6:7]
	flat_load_b32 v6, v[8:9] offset:640
	s_wait_loadcnt_dscnt 0x0
	v_cmp_eq_u32_e32 vcc_lo, 1, v6
                                        ; implicit-def: $vgpr6_vgpr7
                                        ; kill: killed $vgpr6_vgpr7
	s_wait_xcnt 0x0
	s_and_saveexec_b32 s1, vcc_lo
	s_cbranch_execz .LBB6_26
; %bb.25:
	flat_load_b64 v[20:21], v[8:9] offset:648
	v_or_b32_e32 v30, 0x2000, v30
	s_wait_loadcnt_dscnt 0x0
	flat_load_b64 v[6:7], v[20:21]
	s_trap 2
	scratch_store_b64 off, v[20:21], s33 offset:336 ; 8-byte Folded Spill
	s_wait_loadcnt_dscnt 0x0
	ds_store_b64 v0, v[6:7]
	flat_load_b64 v[6:7], v[20:21] offset:8
	s_wait_loadcnt_dscnt 0x0
	ds_store_b64 v0, v[6:7]
	flat_load_b64 v[6:7], v[20:21] offset:16
	s_wait_loadcnt_dscnt 0x0
	ds_store_b64 v0, v[6:7]
.LBB6_26:
	s_wait_xcnt 0x0
	s_or_b32 exec_lo, exec_lo, s1
	flat_load_b64 v[6:7], v[8:9] offset:608
	s_mov_b32 s1, exec_lo
                                        ; implicit-def: $vgpr64_vgpr65
	s_wait_loadcnt_dscnt 0x0
	v_add_nc_u64_e32 v[60:61], 3, v[6:7]
	v_and_b32_e32 v6, 32, v30
	s_delay_alu instid0(VALU_DEP_2) | instskip(SKIP_1) | instid1(VALU_DEP_2)
	v_and_b32_e32 v60, -4, v60
	s_wait_xcnt 0x0
	v_cmpx_ne_u32_e32 0, v6
	s_cbranch_execz .LBB6_28
; %bb.27:
	flat_load_b64 v[64:65], v[8:9] offset:560
	global_wb scope:SCOPE_SYS
	s_wait_storecnt 0x0
	s_wait_xcnt 0x0
	s_wait_loadcnt_dscnt 0x0
	flat_store_b64 v[64:65], v[60:61] scope:SCOPE_SYS
.LBB6_28:
	s_wait_xcnt 0x0
	s_or_b32 exec_lo, exec_lo, s1
	v_add_nc_u64_e32 v[20:21], 0x1f8, v[8:9]
	v_mov_b64_e32 v[6:7], 0
	v_and_b32_e32 v15, 4, v30
	s_mov_b32 s1, exec_lo
                                        ; implicit-def: $vgpr62
                                        ; implicit-def: $vgpr68_vgpr69
                                        ; implicit-def: $vgpr82_vgpr83
	s_delay_alu instid0(VALU_DEP_1)
	v_cmpx_ne_u32_e32 0, v15
	s_cbranch_execz .LBB6_32
; %bb.29:
	v_and_b32_e32 v6, 0x800, v30
	s_mov_b32 s2, exec_lo
	s_delay_alu instid0(VALU_DEP_1)
	v_cmpx_eq_u32_e32 0, v6
	s_cbranch_execz .LBB6_31
; %bb.30:
	s_trap 2
	ds_store_b64 v0, v[20:21]
.LBB6_31:
	s_or_b32 exec_lo, exec_lo, s2
	flat_load_b64 v[64:65], v[8:9] offset:552
	s_wait_loadcnt_dscnt 0x0
	flat_load_b64 v[82:83], v[64:65] scope:SCOPE_SYS
	s_clause 0x2
	flat_load_b64 v[6:7], v[8:9] offset:600
	flat_load_b32 v62, v[8:9] offset:576
	flat_load_b64 v[68:69], v[8:9] offset:520
	s_wait_xcnt 0x0
	v_or_b32_e32 v8, 0x100, v30
	s_wait_loadcnt_dscnt 0x202
	v_cmp_eq_u64_e32 vcc_lo, 0, v[6:7]
	s_delay_alu instid0(VALU_DEP_2)
	v_cndmask_b32_e32 v30, v8, v30, vcc_lo
.LBB6_32:
	s_or_b32 exec_lo, exec_lo, s1
.LBB6_33:
	s_delay_alu instid0(SALU_CYCLE_1) | instskip(NEXT) | instid1(VALU_DEP_1)
	s_or_b32 exec_lo, exec_lo, s0
	v_and_b32_e32 v8, 24, v30
	s_mov_b32 s0, exec_lo
                                        ; implicit-def: $vgpr70_vgpr71
	s_delay_alu instid0(VALU_DEP_1)
	v_cmpx_ne_u32_e32 0, v8
	s_cbranch_execz .LBB6_41
; %bb.34:
	s_trap 2
	ds_load_b64 v[6:7], v0
	v_and_b32_e32 v0, 0xffff, v0
	s_mov_b32 s1, exec_lo
                                        ; implicit-def: $vgpr70_vgpr71
	s_wait_dscnt 0x0
	v_readfirstlane_b32 s2, v6
	v_readfirstlane_b32 s3, v7
	flat_load_b64 v[6:7], v5, s[2:3] scale_offset
	s_wait_loadcnt_dscnt 0x0
	v_mad_nc_u64_u32 v[20:21], 0xa8, v0, v[6:7]
	v_or_b32_e32 v0, 0x100, v30
	flat_load_b128 v[6:9], v[20:21] offset:96
	s_wait_loadcnt_dscnt 0x0
	v_cmp_eq_u64_e32 vcc_lo, 0, v[6:7]
	v_cndmask_b32_e32 v30, v0, v30, vcc_lo
	s_delay_alu instid0(VALU_DEP_1) | instskip(SKIP_1) | instid1(VALU_DEP_1)
	v_and_b32_e32 v0, 16, v30
	s_wait_xcnt 0x0
	v_cmpx_ne_u32_e32 0, v0
	s_cbranch_execz .LBB6_36
; %bb.35:
	s_clause 0x2
	flat_load_b64 v[64:65], v[20:21] offset:48
	flat_load_b64 v[70:71], v[20:21] offset:120
	;; [unrolled: 1-line block ×3, first 2 shown]
.LBB6_36:
	s_wait_xcnt 0x0
	s_or_b32 exec_lo, exec_lo, s1
	v_add_nc_u64_e32 v[60:61], 3, v[8:9]
	v_and_b32_e32 v0, 8, v30
	s_mov_b32 s1, exec_lo
	s_delay_alu instid0(VALU_DEP_2) | instskip(NEXT) | instid1(VALU_DEP_2)
	v_and_b32_e32 v60, -4, v60
	v_cmpx_ne_u32_e32 0, v0
	s_cbranch_execz .LBB6_40
; %bb.37:
	v_and_b32_e32 v0, 0x800, v30
	s_mov_b32 s2, exec_lo
	s_delay_alu instid0(VALU_DEP_1)
	v_cmpx_eq_u32_e32 0, v0
	s_cbranch_execz .LBB6_39
; %bb.38:
	s_trap 2
	ds_store_b64 v0, v[20:21]
.LBB6_39:
	s_or_b32 exec_lo, exec_lo, s2
	s_wait_loadcnt_dscnt 0x202
	flat_load_b64 v[64:65], v[20:21] offset:56
	s_wait_loadcnt_dscnt 0x0
	flat_load_b64 v[82:83], v[64:65] scope:SCOPE_SYS
	s_clause 0x1
	flat_load_b32 v62, v[20:21] offset:72
	flat_load_b64 v[68:69], v[20:21] offset:16
.LBB6_40:
	s_wait_xcnt 0x0
	s_or_b32 exec_lo, exec_lo, s1
.LBB6_41:
	s_delay_alu instid0(SALU_CYCLE_1)
	s_or_b32 exec_lo, exec_lo, s0
	v_cmp_eq_u32_e64 s0, 0, v42
	s_and_saveexec_b32 s1, s0
	s_cbranch_execz .LBB6_43
; %bb.42:
	flat_load_b64 v[8:9], v[2:3] offset:32
	ds_store_2addr_b64 v0, v[12:13], v[10:11] offset1:1
	s_trap 2
	s_wait_loadcnt_dscnt 0x1
	ds_store_b64 v0, v[8:9]
	ds_store_b64 v0, v[16:17]
.LBB6_43:
	s_wait_xcnt 0x0
	s_or_b32 exec_lo, exec_lo, s1
	v_mov_b64_e32 v[80:81], 0
	s_wait_loadcnt 0x0
	v_and_b32_e32 v8, 0xffff, v4
	s_mov_b32 s47, exec_lo
	v_cmpx_lt_i64_e32 0, v[46:47]
	s_cbranch_execnz .LBB6_44
; %bb.12267:
	s_add_pc_i64 .LBB6_12224-.Lpost_addpc23
.Lpost_addpc23:
.LBB6_44:
	flat_load_b32 v0, v[2:3] offset:4
	s_wait_xcnt 0x0
	v_dual_mov_b32 v3, 0 :: v_dual_bitop2_b32 v4, 31, v31 bitop3:0x40
	s_wait_dscnt 0x2
	v_dual_ashrrev_i32 v63, 31, v62 :: v_dual_lshrrev_b32 v84, 5, v1
	s_ashr_i32 s17, s16, 31
	s_add_co_i32 s56, s16, s16
	s_not_b32 s6, s16
	s_wait_dscnt 0x1
	v_dual_ashrrev_i32 v5, 31, v42 :: v_dual_mov_b32 v43, 1
	v_dual_mov_b32 v103, v3 :: v_dual_lshlrev_b32 v112, 9, v84
	s_cmp_gt_i32 s16, 0
	v_and_b32_e32 v2, 0x3ffffe00, v14
	s_cselect_b32 s6, s6, -1
	v_and_b32_e32 v86, 0x1fe0, v1
	s_add_co_i32 s28, s6, s56
	v_cmp_eq_u32_e64 s6, 0, v4
	v_dual_lshrrev_b32 v4, 27, v5 :: v_dual_lshlrev_b32 v102, 12, v84
	v_add_nc_u32_e32 v10, 0xfffffe00, v112
	v_cmp_ne_u32_e64 s3, v1, v8
	v_subrev_nc_u32_e32 v118, 32, v86
	v_cmp_ge_i32_e32 vcc_lo, v42, v1
	v_cmp_eq_u32_e64 s1, 32, v1
	v_ashrrev_i32_e32 v11, 31, v10
	s_clause 0x2
	scratch_store_b64 off, v[2:3], s33 offset:232
	scratch_store_b32 off, v8, s33 offset:332
	scratch_store_b32 off, v1, s33 offset:316
	s_wait_xcnt 0x1
	v_mul_u64_e32 v[8:9], s[16:17], v[2:3]
	v_dual_add_nc_u32 v2, v42, v4 :: v_dual_ashrrev_i32 v119, 31, v118
	v_cmp_ne_u32_e64 s2, 32, v1
	s_ashr_i32 s10, s7, 31
	s_ashr_i32 s29, s28, 31
	v_and_b32_e32 v4, 0xffffffe0, v2
	v_ashrrev_i32_e32 v95, 5, v2
	s_lshr_b32 s10, s10, 25
	v_cmp_eq_u64_e64 s4, 0, v[70:71]
	s_add_co_i32 s7, s7, s10
	s_wait_xcnt 0x0
	v_dual_sub_nc_u32 v1, v42, v4 :: v_dual_lshlrev_b32 v2, 12, v95
	v_lshlrev_b32_e32 v4, 11, v95
	scratch_store_b64 off, v[10:11], s33 offset:264 ; 8-byte Folded Spill
	s_wait_xcnt 0x0
	v_add_nc_u64_e32 v[10:11], 0x200, v[10:11]
	s_ashr_i32 s57, s7, 7
	v_cmp_gt_i32_e64 s7, 1, v1
	v_cmp_lt_i32_e64 s11, v1, v18
	scratch_store_b32 off, v1, s33 offset:220 ; 4-byte Folded Spill
	v_cmp_le_i32_e64 s12, v1, v18
	s_cmp_gt_i32 s16, 2
	s_clause 0x1
	scratch_store_b64 off, v[10:11], s33 offset:188
	scratch_store_b32 off, v31, s33 offset:320
	s_cselect_b32 s58, -1, 0
	s_add_co_i32 s13, s16, 1
	v_cmp_ne_u64_e64 s5, 0, v[70:71]
	v_mov_b64_e32 v[76:77], 0
	v_mov_b64_e32 v[80:81], 0
	v_dual_mov_b32 v94, 0x90 :: v_dual_mov_b32 v85, v3
	v_bfrev_b32_e32 v125, 1
	v_dual_mov_b32 v113, v3 :: v_dual_lshlrev_b32 v114, 10, v84
	v_dual_mov_b32 v115, v3 :: v_dual_mov_b32 v87, v3
	v_dual_mov_b32 v117, v3 :: v_dual_lshlrev_b32 v116, 11, v84
	s_mov_b32 s19, 0
	s_mov_b64 s[20:21], 0xffffffff
	s_mov_b64 s[22:23], 0xffffffffffffff
	;; [unrolled: 1-line block ×3, first 2 shown]
	s_add_nc_u64 s[26:27], s[16:17], -1
	s_mov_b32 s63, 0
	s_wait_loadcnt_dscnt 0x0
	v_and_b32_e32 v0, 1, v0
	v_lshl_add_u32 v44, v1, 4, v2
	s_delay_alu instid0(VALU_DEP_2) | instskip(NEXT) | instid1(VALU_DEP_2)
	v_cmp_eq_u32_e64 s10, 1, v0
	v_sub_nc_u32_e32 v0, v44, v4
	v_ashrrev_i32_e32 v45, 31, v44
	s_xor_b32 s59, s10, -1
	s_wait_xcnt 0x2
	s_delay_alu instid0(VALU_DEP_2)
	v_ashrrev_i32_e32 v1, 31, v0
	scratch_store_b64 off, v[20:21], s33 offset:324 ; 8-byte Folded Spill
	s_cmp_ge_i32 s13, s16
	s_cselect_b32 s14, s16, 0
	scratch_store_b64 off, v[0:1], s33 offset:240 ; 8-byte Folded Spill
	s_wait_xcnt 0x0
	v_mov_b64_e32 v[0:1], v[46:47]
	s_trap 2
	scratch_store_b32 off, v42, s33 offset:212 ; 4-byte Folded Spill
	s_sub_co_i32 s42, s13, s14
	s_add_co_i32 s60, s16, -2
	s_xor_b32 s61, vcc_lo, -1
	s_ashr_i32 s40, s17, 31
	scratch_store_b128 off, v[0:3], s33 offset:292 ; 16-byte Folded Spill
	s_wait_xcnt 0x0
	v_mov_b64_e32 v[0:1], v[8:9]
	s_sub_co_i32 s62, 0, s16
	s_ashr_i32 s43, s42, 31
	s_clause 0x2
	scratch_store_b64 off, v[62:63], s33 offset:204
	scratch_store_b64 off, v[0:1], s33 offset:308
	scratch_store_b32 off, v95, s33 offset:216
	s_branch .LBB6_47
.LBB6_45:                               ;   in Loop: Header=BB6_47 Depth=1
	s_or_b32 exec_lo, exec_lo, s15
.LBB6_46:                               ;   in Loop: Header=BB6_47 Depth=1
	s_delay_alu instid0(SALU_CYCLE_1) | instskip(SKIP_3) | instid1(VALU_DEP_1)
	s_or_b32 exec_lo, exec_lo, s14
	scratch_load_b64 v[0:1], off, s33 offset:308 ; 8-byte Folded Reload
	s_wait_loadcnt 0x0
	v_add_nc_u64_e32 v[76:77], v[76:77], v[0:1]
	v_cmp_ge_i64_e32 vcc_lo, v[76:77], v[46:47]
	s_or_b32 s63, vcc_lo, s63
	s_wait_xcnt 0x0
	s_and_not1_b32 exec_lo, exec_lo, s63
	s_cbranch_execnz .LBB6_47
; %bb.12269:
	s_add_pc_i64 .LBB6_12223-.Lpost_addpc24
.Lpost_addpc24:
.LBB6_47:                               ; =>This Loop Header: Depth=1
                                        ;     Child Loop BB6_57 Depth 2
                                        ;       Child Loop BB6_65 Depth 3
                                        ;       Child Loop BB6_89 Depth 3
	;; [unrolled: 1-line block ×9, first 2 shown]
                                        ;     Child Loop BB6_199 Depth 2
                                        ;       Child Loop BB6_205 Depth 3
                                        ;       Child Loop BB6_229 Depth 3
	;; [unrolled: 1-line block ×3, first 2 shown]
                                        ;     Child Loop BB6_271 Depth 2
                                        ;       Child Loop BB6_274 Depth 3
                                        ;         Child Loop BB6_282 Depth 4
                                        ;         Child Loop BB6_310 Depth 4
	;; [unrolled: 1-line block ×9, first 2 shown]
                                        ;       Child Loop BB6_4088 Depth 3
                                        ;         Child Loop BB6_4094 Depth 4
                                        ;         Child Loop BB6_4122 Depth 4
	;; [unrolled: 1-line block ×3, first 2 shown]
                                        ;     Child Loop BB6_4163 Depth 2
                                        ;       Child Loop BB6_4171 Depth 3
                                        ;       Child Loop BB6_4199 Depth 3
                                        ;       Child Loop BB6_4218 Depth 3
                                        ;       Child Loop BB6_4246 Depth 3
                                        ;       Child Loop BB6_6234 Depth 3
                                        ;         Child Loop BB6_6731 Depth 4
                                        ;       Child Loop BB6_6741 Depth 3
                                        ;       Child Loop BB6_7897 Depth 3
                                        ;         Child Loop BB6_7934 Depth 4
                                        ;       Child Loop BB6_7947 Depth 3
                                        ;       Child Loop BB6_9936 Depth 3
	;; [unrolled: 1-line block ×6, first 2 shown]
                                        ;     Child Loop BB6_11680 Depth 2
                                        ;       Child Loop BB6_11686 Depth 3
                                        ;       Child Loop BB6_11714 Depth 3
	;; [unrolled: 1-line block ×3, first 2 shown]
                                        ;     Child Loop BB6_11755 Depth 2
                                        ;       Child Loop BB6_11758 Depth 3
                                        ;         Child Loop BB6_11766 Depth 4
                                        ;         Child Loop BB6_11794 Depth 4
	;; [unrolled: 1-line block ×5, first 2 shown]
                                        ;           Child Loop BB6_11846 Depth 5
                                        ;         Child Loop BB6_11855 Depth 4
                                        ;         Child Loop BB6_11860 Depth 4
                                        ;           Child Loop BB6_11861 Depth 5
                                        ;         Child Loop BB6_11873 Depth 4
                                        ;         Child Loop BB6_11878 Depth 4
	;; [unrolled: 1-line block ×6, first 2 shown]
                                        ;       Child Loop BB6_11939 Depth 3
                                        ;         Child Loop BB6_11945 Depth 4
                                        ;         Child Loop BB6_11973 Depth 4
	;; [unrolled: 1-line block ×3, first 2 shown]
                                        ;     Child Loop BB6_12017 Depth 2
                                        ;       Child Loop BB6_12025 Depth 3
                                        ;       Child Loop BB6_12049 Depth 3
	;; [unrolled: 1-line block ×9, first 2 shown]
                                        ;     Child Loop BB6_12157 Depth 2
                                        ;       Child Loop BB6_12163 Depth 3
                                        ;       Child Loop BB6_12187 Depth 3
	;; [unrolled: 1-line block ×3, first 2 shown]
	v_sub_nc_u64_e32 v[4:5], v[46:47], v[76:77]
	s_mov_b32 s44, exec_lo
	scratch_store_b64 off, v[4:5], s33 offset:224 ; 8-byte Folded Spill
	s_wait_xcnt 0x0
	v_cmpx_lt_i64_e64 v[4:5], v[0:1]
	s_cbranch_execz .LBB6_53
; %bb.48:                               ;   in Loop: Header=BB6_47 Depth=1
	scratch_load_b64 v[0:1], off, s33 offset:224 ; 8-byte Folded Reload
                                        ; implicit-def: $vgpr10_vgpr11
	s_mov_b32 s13, exec_lo
	s_wait_loadcnt 0x0
	v_add_nc_u64_e32 v[8:9], s[26:27], v[0:1]
	s_delay_alu instid0(VALU_DEP_1) | instskip(SKIP_1) | instid1(VALU_DEP_1)
	v_dual_mov_b32 v0, v3 :: v_dual_bitop2_b32 v1, s17, v9 bitop3:0x54
	s_wait_xcnt 0x0
	v_cmpx_ne_u64_e32 0, v[0:1]
	s_xor_b32 s45, exec_lo, s13
	s_cbranch_execz .LBB6_50
; %bb.49:                               ;   in Loop: Header=BB6_47 Depth=1
	s_mov_b32 s41, s40
	v_dual_mov_b32 v11, v3 :: v_dual_ashrrev_i32 v0, 31, v9
	s_add_nc_u64 s[14:15], s[16:17], s[40:41]
	v_mov_b32_e32 v15, v3
	s_xor_b64 s[14:15], s[14:15], s[40:41]
	s_delay_alu instid0(VALU_DEP_2) | instskip(SKIP_3) | instid1(VALU_DEP_1)
	v_mov_b32_e32 v1, v0
	s_cvt_f32_u32 s13, s14
	s_cvt_f32_u32 s18, s15
	s_sub_nc_u64 s[74:75], 0, s[14:15]
	v_add_nc_u64_e32 v[4:5], v[8:9], v[0:1]
	s_delay_alu instid0(SALU_CYCLE_1) | instskip(NEXT) | instid1(SALU_CYCLE_3)
	s_fmamk_f32 s13, s18, 0x4f800000, s13
	v_s_rcp_f32 s13, s13
	s_delay_alu instid0(VALU_DEP_1) | instskip(NEXT) | instid1(VALU_DEP_2)
	v_xor_b32_e32 v2, v4, v0
	v_xor_b32_e32 v10, v5, v0
	;; [unrolled: 1-line block ×3, first 2 shown]
	s_delay_alu instid0(TRANS32_DEP_1) | instskip(NEXT) | instid1(SALU_CYCLE_3)
	s_mul_f32 s13, s13, 0x5f7ffffc
	s_mul_f32 s18, s13, 0x2f800000
	s_delay_alu instid0(SALU_CYCLE_3) | instskip(NEXT) | instid1(SALU_CYCLE_3)
	s_trunc_f32 s18, s18
	s_fmamk_f32 s13, s18, 0xcf800000, s13
	s_cvt_u32_f32 s73, s18
	s_delay_alu instid0(SALU_CYCLE_2) | instskip(NEXT) | instid1(SALU_CYCLE_3)
	s_cvt_u32_f32 s72, s13
	s_mul_u64 s[76:77], s[74:75], s[72:73]
	s_delay_alu instid0(SALU_CYCLE_1)
	s_mul_hi_u32 s79, s72, s77
	s_mul_i32 s78, s72, s77
	s_mul_hi_u32 s18, s72, s76
	s_mul_i32 s41, s73, s76
	s_add_nc_u64 s[78:79], s[18:19], s[78:79]
	s_mul_hi_u32 s13, s73, s76
	s_mul_hi_u32 s88, s73, s77
	s_add_co_u32 s18, s78, s41
	s_add_co_ci_u32 s18, s79, s13
	s_mul_i32 s76, s73, s77
	s_add_co_ci_u32 s77, s88, 0
	s_delay_alu instid0(SALU_CYCLE_1) | instskip(NEXT) | instid1(SALU_CYCLE_1)
	s_add_nc_u64 s[76:77], s[18:19], s[76:77]
	s_add_co_u32 s72, s72, s76
	s_cselect_b32 s13, -1, 0
	s_delay_alu instid0(SALU_CYCLE_1) | instskip(SKIP_1) | instid1(SALU_CYCLE_1)
	s_cmp_lg_u32 s13, 0
	s_add_co_ci_u32 s73, s73, s77
	s_mul_u64 s[74:75], s[74:75], s[72:73]
	s_delay_alu instid0(SALU_CYCLE_1)
	s_mul_hi_u32 s77, s72, s75
	s_mul_i32 s76, s72, s75
	s_mul_hi_u32 s18, s72, s74
	s_mul_i32 s41, s73, s74
	s_add_nc_u64 s[76:77], s[18:19], s[76:77]
	s_mul_hi_u32 s13, s73, s74
	s_mul_hi_u32 s78, s73, s75
	s_add_co_u32 s18, s76, s41
	s_add_co_ci_u32 s18, s77, s13
	s_mul_i32 s74, s73, s75
	s_add_co_ci_u32 s75, s78, 0
	s_delay_alu instid0(SALU_CYCLE_1) | instskip(NEXT) | instid1(SALU_CYCLE_1)
	s_add_nc_u64 s[74:75], s[18:19], s[74:75]
	s_add_co_u32 s72, s72, s74
	s_cselect_b32 s13, -1, 0
	v_mul_hi_u32 v14, v2, s72
	s_cmp_lg_u32 s13, 0
	s_add_co_ci_u32 s18, s73, s75
	s_and_b64 s[74:75], s[72:73], s[20:21]
	v_mul_u64_e32 v[8:9], s[18:19], v[2:3]
	v_mul_u64_e32 v[4:5], s[74:75], v[10:11]
	;; [unrolled: 1-line block ×3, first 2 shown]
	s_delay_alu instid0(VALU_DEP_3) | instskip(NEXT) | instid1(VALU_DEP_1)
	v_add_nc_u64_e32 v[8:9], v[14:15], v[8:9]
	v_add_co_u32 v1, vcc_lo, v8, v4
	s_delay_alu instid0(VALU_DEP_2) | instskip(NEXT) | instid1(VALU_DEP_4)
	v_add_co_ci_u32_e32 v14, vcc_lo, v9, v5, vcc_lo
	v_add_co_ci_u32_e32 v13, vcc_lo, 0, v13, vcc_lo
	s_delay_alu instid0(VALU_DEP_1) | instskip(NEXT) | instid1(VALU_DEP_1)
	v_add_nc_u64_e32 v[4:5], v[14:15], v[12:13]
	v_mul_u64_e32 v[8:9], s[14:15], v[4:5]
	s_delay_alu instid0(VALU_DEP_1) | instskip(NEXT) | instid1(VALU_DEP_2)
	v_sub_nc_u32_e32 v1, v10, v9
	v_sub_co_u32 v2, vcc_lo, v2, v8
	s_delay_alu instid0(VALU_DEP_1) | instskip(NEXT) | instid1(VALU_DEP_3)
	v_sub_co_ci_u32_e64 v12, null, v10, v9, vcc_lo
	v_subrev_co_ci_u32_e64 v1, null, s15, v1, vcc_lo
	s_delay_alu instid0(VALU_DEP_3) | instskip(SKIP_1) | instid1(VALU_DEP_3)
	v_sub_co_u32 v8, s13, v2, s14
	v_add_nc_u64_e32 v[10:11], 1, v[4:5]
	v_subrev_co_ci_u32_e64 v1, null, 0, v1, s13
	s_delay_alu instid0(VALU_DEP_3) | instskip(SKIP_1) | instid1(VALU_DEP_3)
	v_cmp_le_u32_e32 vcc_lo, s14, v8
	v_cndmask_b32_e64 v8, 0, -1, vcc_lo
	v_cmp_le_u32_e32 vcc_lo, s15, v1
	v_cndmask_b32_e64 v9, 0, -1, vcc_lo
	;; [unrolled: 2-line block ×4, first 2 shown]
	v_cmp_eq_u32_e32 vcc_lo, s15, v1
	v_cndmask_b32_e32 v1, v9, v8, vcc_lo
	v_cmp_eq_u32_e32 vcc_lo, s15, v12
	v_add_nc_u64_e32 v[8:9], 2, v[4:5]
	v_cndmask_b32_e32 v2, v13, v2, vcc_lo
	s_delay_alu instid0(VALU_DEP_4) | instskip(NEXT) | instid1(VALU_DEP_2)
	v_cmp_ne_u32_e32 vcc_lo, 0, v1
	v_cmp_ne_u32_e64 s13, 0, v2
	s_delay_alu instid0(VALU_DEP_4) | instskip(NEXT) | instid1(VALU_DEP_1)
	v_dual_cndmask_b32 v1, v11, v9 :: v_dual_cndmask_b32 v2, v10, v8
                                        ; implicit-def: $vgpr8_vgpr9
	v_dual_cndmask_b32 v5, v5, v1, s13 :: v_dual_cndmask_b32 v2, v4, v2, s13
	s_delay_alu instid0(VALU_DEP_1) | instskip(NEXT) | instid1(VALU_DEP_2)
	v_dual_mov_b32 v1, v0 :: v_dual_bitop2_b32 v5, v5, v0 bitop3:0x14
	v_xor_b32_e32 v4, v2, v0
	s_delay_alu instid0(VALU_DEP_1)
	v_sub_nc_u64_e32 v[10:11], v[4:5], v[0:1]
.LBB6_50:                               ;   in Loop: Header=BB6_47 Depth=1
	s_and_not1_saveexec_b32 s13, s45
	s_cbranch_execz .LBB6_52
; %bb.51:                               ;   in Loop: Header=BB6_47 Depth=1
	v_cvt_f32_u32_e32 v0, s16
	s_delay_alu instid0(VALU_DEP_1) | instskip(SKIP_1) | instid1(TRANS32_DEP_1)
	v_rcp_iflag_f32_e32 v0, v0
	v_nop
	v_mul_f32_e32 v0, 0x4f7ffffe, v0
	s_delay_alu instid0(VALU_DEP_1) | instskip(NEXT) | instid1(VALU_DEP_1)
	v_cvt_u32_f32_e32 v0, v0
	v_mul_lo_u32 v1, s62, v0
	s_delay_alu instid0(VALU_DEP_1) | instskip(NEXT) | instid1(VALU_DEP_1)
	v_mul_hi_u32 v1, v0, v1
	v_add_nc_u32_e32 v0, v0, v1
	s_delay_alu instid0(VALU_DEP_1) | instskip(NEXT) | instid1(VALU_DEP_1)
	v_mul_hi_u32 v0, v8, v0
	v_mul_lo_u32 v1, v0, s16
	s_delay_alu instid0(VALU_DEP_1) | instskip(NEXT) | instid1(VALU_DEP_1)
	v_dual_add_nc_u32 v2, 1, v0 :: v_dual_sub_nc_u32 v1, v8, v1
	v_subrev_nc_u32_e32 v4, s16, v1
	v_cmp_le_u32_e32 vcc_lo, s16, v1
	s_delay_alu instid0(VALU_DEP_2) | instskip(NEXT) | instid1(VALU_DEP_1)
	v_dual_cndmask_b32 v1, v1, v4 :: v_dual_cndmask_b32 v0, v0, v2
	v_cmp_le_u32_e32 vcc_lo, s16, v1
	s_delay_alu instid0(VALU_DEP_2) | instskip(NEXT) | instid1(VALU_DEP_1)
	v_add_nc_u32_e32 v2, 1, v0
	v_cndmask_b32_e32 v2, v0, v2, vcc_lo
	s_delay_alu instid0(VALU_DEP_1)
	v_mov_b64_e32 v[10:11], v[2:3]
.LBB6_52:                               ;   in Loop: Header=BB6_47 Depth=1
	s_or_b32 exec_lo, exec_lo, s13
	s_delay_alu instid0(VALU_DEP_1) | instskip(NEXT) | instid1(VALU_DEP_1)
	v_add_nc_u64_e32 v[0:1], 15, v[10:11]
	v_and_b32_e32 v0, -16, v0
	scratch_store_b64 off, v[0:1], s33 offset:232 ; 8-byte Folded Spill
.LBB6_53:                               ;   in Loop: Header=BB6_47 Depth=1
	s_wait_xcnt 0x0
	s_or_b32 exec_lo, exec_lo, s44
	s_clause 0x2
	scratch_load_b64 v[4:5], off, s33 offset:232
	scratch_load_b64 v[8:9], off, s33 offset:284
	;; [unrolled: 1-line block ×3, first 2 shown]
	v_mov_b32_e32 v10, 0
	s_wait_loadcnt 0x2
	v_mul_u64_e32 v[12:13], s[28:29], v[4:5]
	s_wait_loadcnt 0x1
	v_add_nc_u64_e32 v[8:9], v[76:77], v[8:9]
	scratch_store_b64 off, v[8:9], s33 offset:196 ; 8-byte Folded Spill
	s_wait_loadcnt 0x0
	v_sub_nc_u64_e32 v[0:1], v[0:1], v[12:13]
	s_delay_alu instid0(VALU_DEP_1) | instskip(NEXT) | instid1(VALU_DEP_1)
	v_min_i64 v[4:5], v[4:5], v[0:1]
	v_max_i32_e32 v1, 0, v4
	v_cmp_lt_i32_e32 vcc_lo, 0, v4
	s_delay_alu instid0(VALU_DEP_2) | instskip(SKIP_1) | instid1(VALU_DEP_1)
	v_add_nc_u32_e32 v0, 31, v1
	s_and_b32 s13, s61, vcc_lo
	v_lshrrev_b32_e32 v0, 1, v0
	s_delay_alu instid0(VALU_DEP_1) | instskip(SKIP_1) | instid1(VALU_DEP_1)
	v_and_b32_e32 v2, 0x3ffffff0, v0
	s_wait_xcnt 0x0
	v_dual_mov_b32 v0, 0 :: v_dual_max_i32 v8, s57, v2
	s_and_saveexec_b32 s14, s13
	s_cbranch_execz .LBB6_195
; %bb.54:                               ;   in Loop: Header=BB6_47 Depth=1
	v_mov_b32_e32 v10, 0
	s_mov_b32 s41, 1
	s_mov_b32 s18, -1
	s_mov_b32 s15, 0
	s_branch .LBB6_57
.LBB6_55:                               ;   in Loop: Header=BB6_57 Depth=2
	s_wait_xcnt 0x0
	s_or_b32 exec_lo, exec_lo, s44
	v_add_nc_u64_e32 v[60:61], 2, v[60:61]
	global_wb scope:SCOPE_SYS
	s_wait_storecnt 0x0
	s_wait_loadcnt_dscnt 0x0
	flat_store_b64 v[64:65], v[60:61] scope:SCOPE_SYS
.LBB6_56:                               ;   in Loop: Header=BB6_57 Depth=2
	s_wait_xcnt 0x0
	s_or_b32 exec_lo, exec_lo, s13
	v_dual_add_nc_u32 v10, v8, v10 :: v_dual_mov_b32 v0, s41
	s_xor_b32 s13, s18, -1
	s_mov_b32 s18, 0
	s_mov_b32 s41, 2
	s_delay_alu instid0(VALU_DEP_1) | instskip(SKIP_1) | instid1(SALU_CYCLE_1)
	v_cmp_ge_i32_e32 vcc_lo, v10, v1
	s_or_b32 s13, s13, vcc_lo
	s_and_b32 s13, exec_lo, s13
	s_delay_alu instid0(SALU_CYCLE_1) | instskip(NEXT) | instid1(SALU_CYCLE_1)
	s_or_b32 s15, s13, s15
	s_and_not1_b32 exec_lo, exec_lo, s15
	s_cbranch_execz .LBB6_194
.LBB6_57:                               ;   Parent Loop BB6_47 Depth=1
                                        ; =>  This Loop Header: Depth=2
                                        ;       Child Loop BB6_65 Depth 3
                                        ;       Child Loop BB6_89 Depth 3
	;; [unrolled: 1-line block ×9, first 2 shown]
	s_and_saveexec_b32 s13, s0
	s_cbranch_execz .LBB6_59
; %bb.58:                               ;   in Loop: Header=BB6_57 Depth=2
	s_trap 2
	scratch_load_b64 v[14:15], off, s33 offset:196 ; 8-byte Folded Reload
	ds_load_b64 v[4:5], v0
	v_ashrrev_i32_e32 v11, 31, v10
	s_wait_loadcnt_dscnt 0x0
	v_add_nc_u64_e32 v[4:5], v[4:5], v[14:15]
	s_delay_alu instid0(VALU_DEP_1) | instskip(NEXT) | instid1(VALU_DEP_1)
	v_add_nc_u64_e32 v[4:5], v[4:5], v[12:13]
	v_add_nc_u64_e32 v[4:5], v[4:5], v[10:11]
	ds_store_b64 v0, v[4:5]
	v_mov_b64_e32 v[4:5], 0
	ds_store_b64 v0, v[4:5]
.LBB6_59:                               ;   in Loop: Header=BB6_57 Depth=2
	s_wait_xcnt 0x0
	s_or_b32 exec_lo, exec_lo, s13
	v_sub_nc_u32_e32 v0, v1, v10
	v_and_b32_e32 v2, 8, v30
	s_mov_b32 s44, exec_lo
	s_delay_alu instid0(VALU_DEP_2) | instskip(NEXT) | instid1(VALU_DEP_2)
	v_min_i32_e32 v8, v8, v0
	v_cmpx_ne_u32_e32 0, v2
	s_cbranch_execz .LBB6_81
; %bb.60:                               ;   in Loop: Header=BB6_57 Depth=2
	s_wait_loadcnt_dscnt 0x1
	v_add_nc_u64_e32 v[4:5], 8, v[82:83]
	v_add_nc_u64_e32 v[14:15], 2, v[60:61]
	s_mov_b32 s45, exec_lo
	s_delay_alu instid0(VALU_DEP_1)
	v_cmpx_lt_u64_e64 v[4:5], v[14:15]
	s_cbranch_execz .LBB6_72
; %bb.61:                               ;   in Loop: Header=BB6_57 Depth=2
	v_and_b32_e32 v0, 64, v30
	s_mov_b32 s72, 0
	s_mov_b32 s76, 0
                                        ; implicit-def: $sgpr73
                                        ; implicit-def: $sgpr74
                                        ; implicit-def: $sgpr75
	s_delay_alu instid0(VALU_DEP_1)
	v_cmp_eq_u32_e32 vcc_lo, 0, v0
	s_branch .LBB6_65
.LBB6_62:                               ;   in Loop: Header=BB6_65 Depth=3
	s_wait_loadcnt_dscnt 0x0
	v_add_nc_u64_e32 v[4:5], 8, v[82:83]
	s_or_b32 s79, s79, exec_lo
	s_delay_alu instid0(VALU_DEP_1)
	v_cmp_ge_u64_e64 s13, v[4:5], v[14:15]
	s_or_not1_b32 s78, s13, exec_lo
.LBB6_63:                               ;   in Loop: Header=BB6_65 Depth=3
	s_or_b32 exec_lo, exec_lo, s89
	s_delay_alu instid0(SALU_CYCLE_1)
	s_and_not1_b32 s13, s75, exec_lo
	s_and_b32 s75, s79, exec_lo
	s_and_not1_b32 s74, s74, exec_lo
	s_and_b32 s78, s78, exec_lo
	s_or_b32 s75, s13, s75
	s_or_b32 s74, s74, s78
.LBB6_64:                               ;   in Loop: Header=BB6_65 Depth=3
	s_or_b32 exec_lo, exec_lo, s77
	s_delay_alu instid0(SALU_CYCLE_1) | instskip(NEXT) | instid1(SALU_CYCLE_1)
	s_and_b32 s13, exec_lo, s74
	s_or_b32 s72, s13, s72
	s_and_not1_b32 s13, s73, exec_lo
	s_and_b32 s73, s75, exec_lo
	s_delay_alu instid0(SALU_CYCLE_1)
	s_or_b32 s73, s13, s73
	s_and_not1_b32 exec_lo, exec_lo, s72
	s_cbranch_execz .LBB6_69
.LBB6_65:                               ;   Parent Loop BB6_47 Depth=1
                                        ;     Parent Loop BB6_57 Depth=2
                                        ; =>    This Inner Loop Header: Depth=3
	s_sleep 1
	s_wait_loadcnt_dscnt 0x0
	flat_load_b64 v[82:83], v[64:65] scope:SCOPE_SYS
	s_or_b32 s75, s75, exec_lo
	s_or_b32 s74, s74, exec_lo
                                        ; implicit-def: $vgpr2
	s_wait_xcnt 0x0
	s_and_saveexec_b32 s77, vcc_lo
	s_cbranch_execz .LBB6_64
; %bb.66:                               ;   in Loop: Header=BB6_65 Depth=3
	s_cmp_lt_i32 s76, 0x270f
	s_mov_b32 s78, -1
	s_cselect_b32 s88, -1, 0
	s_cmp_gt_i32 s76, 0x270e
	s_cbranch_scc0 .LBB6_68
; %bb.67:                               ;   in Loop: Header=BB6_65 Depth=3
	s_trap 2
	ds_load_b64 v[4:5], v0
	s_and_not1_b32 s76, s88, exec_lo
	s_mov_b32 s79, 0
	s_wait_storecnt 0x0
	s_wait_loadcnt_dscnt 0x0
	flat_load_b32 v2, v[4:5] scope:SCOPE_SYS
	s_wait_loadcnt_dscnt 0x0
	global_inv scope:SCOPE_SYS
	v_cmp_eq_u32_e64 s13, 0, v2
	s_and_b32 s13, s13, exec_lo
	s_delay_alu instid0(SALU_CYCLE_1)
	s_or_b32 s88, s76, s13
	s_mov_b32 s76, 0
	s_wait_xcnt 0x0
	s_and_saveexec_b32 s89, s88
	s_cbranch_execz .LBB6_63
	s_branch .LBB6_62
.LBB6_68:                               ;   in Loop: Header=BB6_65 Depth=3
	s_add_co_i32 s76, s76, 1
	s_mov_b32 s79, -1
                                        ; implicit-def: $vgpr2
	s_and_saveexec_b32 s89, s88
	s_cbranch_execz .LBB6_63
	s_branch .LBB6_62
.LBB6_69:                               ;   in Loop: Header=BB6_57 Depth=2
	s_or_b32 exec_lo, exec_lo, s72
	s_xor_b32 s13, s73, -1
	s_delay_alu instid0(SALU_CYCLE_1) | instskip(NEXT) | instid1(SALU_CYCLE_1)
	s_and_saveexec_b32 s72, s13
	s_xor_b32 s13, exec_lo, s72
	s_cbranch_execz .LBB6_71
; %bb.70:                               ;   in Loop: Header=BB6_57 Depth=2
	v_or_b32_e32 v30, 64, v30
	s_wait_storecnt 0x0
	s_wait_loadcnt_dscnt 0x0
	ds_store_b32 v0, v2
	s_trap 2
.LBB6_71:                               ;   in Loop: Header=BB6_57 Depth=2
	s_or_b32 exec_lo, exec_lo, s13
.LBB6_72:                               ;   in Loop: Header=BB6_57 Depth=2
	s_delay_alu instid0(SALU_CYCLE_1)
	s_or_b32 exec_lo, exec_lo, s45
	v_and_b32_e32 v0, 0x100, v30
	v_and_b32_e32 v2, 7, v60
	s_mov_b32 s13, -1
	s_mov_b32 s45, exec_lo
	;;#ASMSTART
	s_wakeup
	;;#ASMEND
                                        ; implicit-def: $vgpr16_vgpr17
	v_cmpx_ne_u32_e32 0, v0
	s_cbranch_execz .LBB6_76
; %bb.73:                               ;   in Loop: Header=BB6_57 Depth=2
	v_mad_nc_u64_u32 v[18:19], v2, 24, v[6:7]
	v_ashrrev_i32_e32 v9, 31, v8
	s_mov_b32 s72, exec_lo
                                        ; implicit-def: $vgpr16_vgpr17
	s_clause 0x1
	flat_load_b32 v0, v[18:19]
	flat_store_b64 v[18:19], v[8:9] offset:8
	s_wait_loadcnt_dscnt 0x1
	v_cmp_ne_u32_e32 vcc_lo, 1, v0
	s_wait_xcnt 0x0
	v_cmpx_eq_u32_e32 1, v0
	s_cbranch_execz .LBB6_75
; %bb.74:                               ;   in Loop: Header=BB6_57 Depth=2
	flat_load_b32 v16, v[18:19] offset:4 scope:SCOPE_SYS
	s_wait_loadcnt_dscnt 0x0
	v_ashrrev_i32_e32 v17, 31, v16
.LBB6_75:                               ;   in Loop: Header=BB6_57 Depth=2
	s_wait_xcnt 0x0
	s_or_b32 exec_lo, exec_lo, s72
	s_delay_alu instid0(SALU_CYCLE_1)
	s_or_not1_b32 s13, vcc_lo, exec_lo
.LBB6_76:                               ;   in Loop: Header=BB6_57 Depth=2
	s_or_b32 exec_lo, exec_lo, s45
	s_and_saveexec_b32 s45, s13
; %bb.77:                               ;   in Loop: Header=BB6_57 Depth=2
	v_mul_u64_e32 v[16:17], v[2:3], v[62:63]
; %bb.78:                               ;   in Loop: Header=BB6_57 Depth=2
	s_or_b32 exec_lo, exec_lo, s45
	s_delay_alu instid0(VALU_DEP_1)
	v_add_nc_u64_e32 v[4:5], v[68:69], v[16:17]
	v_and_b32_e32 v0, 0x2000, v30
	s_mov_b32 s13, exec_lo
	ds_store_b64 v0, v[4:5] offset:784
	v_cmpx_ne_u32_e32 0, v0
	s_cbranch_execz .LBB6_80
; %bb.79:                               ;   in Loop: Header=BB6_57 Depth=2
	ds_load_b64 v[4:5], v0 offset:872
	s_wait_dscnt 0x0
	v_add_nc_u64_e32 v[4:5], 1, v[4:5]
	ds_store_b64 v0, v[4:5] offset:872
.LBB6_80:                               ;   in Loop: Header=BB6_57 Depth=2
	s_or_b32 exec_lo, exec_lo, s13
	v_mov_b64_e32 v[60:61], v[14:15]
.LBB6_81:                               ;   in Loop: Header=BB6_57 Depth=2
	s_or_b32 exec_lo, exec_lo, s44
	s_and_saveexec_b32 s13, s2
	s_cbranch_execz .LBB6_100
; %bb.82:                               ;   in Loop: Header=BB6_57 Depth=2
	s_and_saveexec_b32 s44, s3
	s_delay_alu instid0(SALU_CYCLE_1)
	s_xor_b32 s44, exec_lo, s44
	s_cbranch_execz .LBB6_97
; %bb.83:                               ;   in Loop: Header=BB6_57 Depth=2
	s_and_saveexec_b32 s45, s6
	s_cbranch_execz .LBB6_96
; %bb.84:                               ;   in Loop: Header=BB6_57 Depth=2
	s_mov_b32 s73, exec_lo
	s_mov_b32 s72, exec_lo
	v_mbcnt_lo_u32_b32 v0, s73, 0
	global_wb scope:SCOPE_DEV
	s_wait_storecnt 0x0
	s_wait_loadcnt_dscnt 0x0
	global_inv scope:SCOPE_DEV
	v_cmpx_eq_u32_e32 0, v0
	s_cbranch_execz .LBB6_86
; %bb.85:                               ;   in Loop: Header=BB6_57 Depth=2
	s_bcnt1_i32_b32 s73, s73
	s_delay_alu instid0(SALU_CYCLE_1)
	v_mov_b32_e32 v2, s73
	s_wait_loadcnt 0x0
	ds_add_u64 v0, v[2:3]
	s_trap 2
.LBB6_86:                               ;   in Loop: Header=BB6_57 Depth=2
	s_or_b32 exec_lo, exec_lo, s72
	s_trap 2
	ds_load_b64 v[4:5], v0
	s_wait_dscnt 0x0
	v_add_nc_u64_e32 v[80:81], v[80:81], v[84:85]
	s_mov_b32 s72, exec_lo
	s_delay_alu instid0(VALU_DEP_1)
	v_cmpx_lt_u64_e64 v[4:5], v[80:81]
	s_cbranch_execz .LBB6_95
; %bb.87:                               ;   in Loop: Header=BB6_57 Depth=2
	s_mov_b32 s73, 0
	s_mov_b32 s76, 0
                                        ; implicit-def: $sgpr74
                                        ; implicit-def: $sgpr75
	s_branch .LBB6_89
.LBB6_88:                               ;   in Loop: Header=BB6_89 Depth=3
	s_or_b32 exec_lo, exec_lo, s78
	s_delay_alu instid0(SALU_CYCLE_1) | instskip(NEXT) | instid1(SALU_CYCLE_1)
	s_and_b32 s77, exec_lo, s79
	s_or_b32 s73, s77, s73
	s_and_not1_b32 s74, s74, exec_lo
	s_and_b32 s77, s75, exec_lo
	s_delay_alu instid0(SALU_CYCLE_1)
	s_or_b32 s74, s74, s77
	s_and_not1_b32 exec_lo, exec_lo, s73
	s_cbranch_execz .LBB6_93
.LBB6_89:                               ;   Parent Loop BB6_47 Depth=1
                                        ;     Parent Loop BB6_57 Depth=2
                                        ; =>    This Inner Loop Header: Depth=3
	s_add_co_i32 s76, s76, 1
	s_delay_alu instid0(SALU_CYCLE_1) | instskip(SKIP_1) | instid1(SALU_CYCLE_1)
	s_cmp_lg_u32 s76, 0x2710
	s_cselect_b32 s77, -1, 0
	s_and_b32 vcc_lo, exec_lo, s77
	s_cbranch_vccz .LBB6_91
; %bb.90:                               ;   in Loop: Header=BB6_89 Depth=3
	s_mov_b32 s79, -1
	s_or_b32 s75, s75, exec_lo
	s_and_saveexec_b32 s78, s77
	s_cbranch_execz .LBB6_88
	s_branch .LBB6_92
.LBB6_91:                               ;   in Loop: Header=BB6_89 Depth=3
	s_trap 2
	ds_load_b64 v[4:5], v0
	s_and_not1_b32 s77, s77, exec_lo
	s_mov_b32 s76, 0
	s_wait_loadcnt_dscnt 0x0
	flat_load_b32 v0, v[4:5] scope:SCOPE_SYS
	s_wait_loadcnt_dscnt 0x0
	global_inv scope:SCOPE_SYS
	v_cmp_eq_u32_e32 vcc_lo, 0, v0
	s_and_b32 s78, vcc_lo, exec_lo
	s_delay_alu instid0(SALU_CYCLE_1)
	s_or_b32 s77, s77, s78
	s_mov_b32 s79, -1
	s_or_b32 s75, s75, exec_lo
	s_wait_xcnt 0x0
	s_and_saveexec_b32 s78, s77
	s_cbranch_execz .LBB6_88
.LBB6_92:                               ;   in Loop: Header=BB6_89 Depth=3
	s_sleep 1
	s_trap 2
	ds_load_b64 v[4:5], v0
	s_wait_dscnt 0x0
	s_and_not1_b32 s75, s75, exec_lo
	v_cmp_ge_u64_e32 vcc_lo, v[4:5], v[80:81]
	s_or_not1_b32 s79, vcc_lo, exec_lo
	s_branch .LBB6_88
.LBB6_93:                               ;   in Loop: Header=BB6_57 Depth=2
	s_or_b32 exec_lo, exec_lo, s73
	s_and_saveexec_b32 s73, s74
	s_delay_alu instid0(SALU_CYCLE_1)
	s_xor_b32 s73, exec_lo, s73
	s_cbranch_execz .LBB6_95
; %bb.94:                               ;   in Loop: Header=BB6_57 Depth=2
	ds_store_b32 v0, v43
	s_trap 2
.LBB6_95:                               ;   in Loop: Header=BB6_57 Depth=2
	s_or_b32 exec_lo, exec_lo, s72
	;;#ASMSTART
	s_wakeup
	;;#ASMEND
.LBB6_96:                               ;   in Loop: Header=BB6_57 Depth=2
	s_or_b32 exec_lo, exec_lo, s45
.LBB6_97:                               ;   in Loop: Header=BB6_57 Depth=2
	s_and_not1_saveexec_b32 s44, s44
	s_cbranch_execz .LBB6_99
; %bb.98:                               ;   in Loop: Header=BB6_57 Depth=2
	global_wb scope:SCOPE_DEV
	s_wait_storecnt 0x0
	s_wait_loadcnt_dscnt 0x0
	global_inv scope:SCOPE_DEV
	s_barrier_signal -1
	s_barrier_wait -1
.LBB6_99:                               ;   in Loop: Header=BB6_57 Depth=2
	s_or_b32 exec_lo, exec_lo, s44
.LBB6_100:                              ;   in Loop: Header=BB6_57 Depth=2
	s_delay_alu instid0(SALU_CYCLE_1) | instskip(SKIP_4) | instid1(VALU_DEP_1)
	s_or_b32 exec_lo, exec_lo, s13
	s_trap 2
	ds_load_b32 v4, v0
	v_and_b32_e32 v0, 0x4000, v30
	s_xor_b32 s13, s1, -1
	v_cmp_ne_u32_e32 vcc_lo, 0, v0
	s_and_b32 s44, s13, vcc_lo
	s_delay_alu instid0(SALU_CYCLE_1)
	s_and_saveexec_b32 s13, s44
	s_cbranch_execz .LBB6_119
; %bb.101:                              ;   in Loop: Header=BB6_57 Depth=2
	s_and_saveexec_b32 s44, s3
	s_delay_alu instid0(SALU_CYCLE_1)
	s_xor_b32 s44, exec_lo, s44
	s_cbranch_execz .LBB6_116
; %bb.102:                              ;   in Loop: Header=BB6_57 Depth=2
	s_and_saveexec_b32 s45, s6
	s_cbranch_execz .LBB6_115
; %bb.103:                              ;   in Loop: Header=BB6_57 Depth=2
	s_mov_b32 s73, exec_lo
	s_mov_b32 s72, exec_lo
	v_mbcnt_lo_u32_b32 v0, s73, 0
	global_wb scope:SCOPE_DEV
	s_wait_storecnt 0x0
	s_wait_loadcnt_dscnt 0x0
	global_inv scope:SCOPE_DEV
	v_cmpx_eq_u32_e32 0, v0
	s_cbranch_execz .LBB6_105
; %bb.104:                              ;   in Loop: Header=BB6_57 Depth=2
	s_bcnt1_i32_b32 s73, s73
	s_delay_alu instid0(SALU_CYCLE_1)
	v_mov_b32_e32 v2, s73
	s_wait_loadcnt 0x0
	ds_add_u64 v0, v[2:3]
	s_trap 2
.LBB6_105:                              ;   in Loop: Header=BB6_57 Depth=2
	s_or_b32 exec_lo, exec_lo, s72
	s_trap 2
	ds_load_b64 v[14:15], v0
	s_wait_dscnt 0x0
	v_add_nc_u64_e32 v[80:81], v[80:81], v[84:85]
	s_mov_b32 s72, exec_lo
	s_delay_alu instid0(VALU_DEP_1)
	v_cmpx_lt_u64_e64 v[14:15], v[80:81]
	s_cbranch_execz .LBB6_114
; %bb.106:                              ;   in Loop: Header=BB6_57 Depth=2
	s_mov_b32 s73, 0
	s_mov_b32 s76, 0
                                        ; implicit-def: $sgpr74
                                        ; implicit-def: $sgpr75
	s_branch .LBB6_108
.LBB6_107:                              ;   in Loop: Header=BB6_108 Depth=3
	s_or_b32 exec_lo, exec_lo, s78
	s_delay_alu instid0(SALU_CYCLE_1) | instskip(NEXT) | instid1(SALU_CYCLE_1)
	s_and_b32 s77, exec_lo, s79
	s_or_b32 s73, s77, s73
	s_and_not1_b32 s74, s74, exec_lo
	s_and_b32 s77, s75, exec_lo
	s_delay_alu instid0(SALU_CYCLE_1)
	s_or_b32 s74, s74, s77
	s_and_not1_b32 exec_lo, exec_lo, s73
	s_cbranch_execz .LBB6_112
.LBB6_108:                              ;   Parent Loop BB6_47 Depth=1
                                        ;     Parent Loop BB6_57 Depth=2
                                        ; =>    This Inner Loop Header: Depth=3
	s_add_co_i32 s76, s76, 1
	s_delay_alu instid0(SALU_CYCLE_1) | instskip(SKIP_1) | instid1(SALU_CYCLE_1)
	s_cmp_lg_u32 s76, 0x2710
	s_cselect_b32 s77, -1, 0
	s_and_b32 vcc_lo, exec_lo, s77
	s_cbranch_vccz .LBB6_110
; %bb.109:                              ;   in Loop: Header=BB6_108 Depth=3
	s_mov_b32 s79, -1
	s_or_b32 s75, s75, exec_lo
	s_and_saveexec_b32 s78, s77
	s_cbranch_execz .LBB6_107
	s_branch .LBB6_111
.LBB6_110:                              ;   in Loop: Header=BB6_108 Depth=3
	s_trap 2
	ds_load_b64 v[14:15], v0
	s_and_not1_b32 s77, s77, exec_lo
	s_mov_b32 s76, 0
	s_wait_loadcnt_dscnt 0x0
	flat_load_b32 v0, v[14:15] scope:SCOPE_SYS
	s_wait_loadcnt_dscnt 0x0
	global_inv scope:SCOPE_SYS
	v_cmp_eq_u32_e32 vcc_lo, 0, v0
	s_and_b32 s78, vcc_lo, exec_lo
	s_delay_alu instid0(SALU_CYCLE_1)
	s_or_b32 s77, s77, s78
	s_mov_b32 s79, -1
	s_or_b32 s75, s75, exec_lo
	s_wait_xcnt 0x0
	s_and_saveexec_b32 s78, s77
	s_cbranch_execz .LBB6_107
.LBB6_111:                              ;   in Loop: Header=BB6_108 Depth=3
	s_sleep 1
	s_trap 2
	ds_load_b64 v[14:15], v0
	s_wait_dscnt 0x0
	s_and_not1_b32 s75, s75, exec_lo
	v_cmp_ge_u64_e32 vcc_lo, v[14:15], v[80:81]
	s_or_not1_b32 s79, vcc_lo, exec_lo
	s_branch .LBB6_107
.LBB6_112:                              ;   in Loop: Header=BB6_57 Depth=2
	s_or_b32 exec_lo, exec_lo, s73
	s_and_saveexec_b32 s73, s74
	s_delay_alu instid0(SALU_CYCLE_1)
	s_xor_b32 s73, exec_lo, s73
	s_cbranch_execz .LBB6_114
; %bb.113:                              ;   in Loop: Header=BB6_57 Depth=2
	ds_store_b32 v0, v43
	s_trap 2
.LBB6_114:                              ;   in Loop: Header=BB6_57 Depth=2
	s_or_b32 exec_lo, exec_lo, s72
	;;#ASMSTART
	s_wakeup
	;;#ASMEND
.LBB6_115:                              ;   in Loop: Header=BB6_57 Depth=2
	s_or_b32 exec_lo, exec_lo, s45
.LBB6_116:                              ;   in Loop: Header=BB6_57 Depth=2
	s_and_not1_saveexec_b32 s44, s44
	s_cbranch_execz .LBB6_118
; %bb.117:                              ;   in Loop: Header=BB6_57 Depth=2
	global_wb scope:SCOPE_DEV
	s_wait_storecnt 0x0
	s_wait_loadcnt_dscnt 0x0
	global_inv scope:SCOPE_DEV
	s_barrier_signal -1
	s_barrier_wait -1
.LBB6_118:                              ;   in Loop: Header=BB6_57 Depth=2
	s_or_b32 exec_lo, exec_lo, s44
.LBB6_119:                              ;   in Loop: Header=BB6_57 Depth=2
	s_delay_alu instid0(SALU_CYCLE_1)
	s_or_b32 exec_lo, exec_lo, s13
	s_trap 2
	ds_load_b64 v[14:15], v0
	s_wait_dscnt 0x0
	v_cmp_eq_u64_e32 vcc_lo, 0, v[14:15]
	s_cbranch_vccnz .LBB6_127
; %bb.120:                              ;   in Loop: Header=BB6_57 Depth=2
	s_trap 2
	ds_load_b64 v[16:17], v0
	s_wait_dscnt 0x0
	v_cmp_eq_u64_e32 vcc_lo, 0, v[16:17]
	s_cbranch_vccnz .LBB6_127
; %bb.121:                              ;   in Loop: Header=BB6_57 Depth=2
	s_mov_b32 s13, -1
	s_and_saveexec_b32 s44, s7
	s_cbranch_execz .LBB6_123
; %bb.122:                              ;   in Loop: Header=BB6_57 Depth=2
	ds_load_b32 v0, v0 offset:720
	s_wait_dscnt 0x0
	v_and_b32_e32 v0, 15, v0
	s_delay_alu instid0(VALU_DEP_1)
	v_cmp_eq_u32_e32 vcc_lo, 0, v0
	s_or_not1_b32 s13, vcc_lo, exec_lo
.LBB6_123:                              ;   in Loop: Header=BB6_57 Depth=2
	s_or_b32 exec_lo, exec_lo, s44
	s_and_saveexec_b32 s44, s11
	s_cbranch_execz .LBB6_125
; %bb.124:                              ;   in Loop: Header=BB6_57 Depth=2
	ds_load_b32 v0, v0 offset:784
	s_wait_dscnt 0x0
	v_and_b32_e32 v0, 15, v0
	s_delay_alu instid0(VALU_DEP_1) | instskip(SKIP_3) | instid1(SALU_CYCLE_1)
	v_cmp_eq_u32_e32 vcc_lo, 0, v0
	s_and_b32 s45, s13, vcc_lo
	s_and_not1_b32 s13, s13, exec_lo
	s_and_b32 s45, s45, exec_lo
	s_or_b32 s13, s13, s45
.LBB6_125:                              ;   in Loop: Header=BB6_57 Depth=2
	s_or_b32 exec_lo, exec_lo, s44
	v_cmp_eq_u32_e32 vcc_lo, 0, v4
	s_xor_b32 s13, s13, -1
	v_mov_b32_e32 v18, v95
	v_cndmask_b32_e64 v0, 0, 1, s13
	s_mov_b32 s45, -1
	v_dual_cndmask_b32 v2, 0, v8, vcc_lo :: v_dual_mov_b32 v4, 0
	v_mov_b32_e32 v9, v42
	s_delay_alu instid0(VALU_DEP_3) | instskip(NEXT) | instid1(VALU_DEP_3)
	v_cmp_ne_u32_e32 vcc_lo, 0, v0
	v_mov_b32_e32 v5, v2
	s_cbranch_vccz .LBB6_132
; %bb.126:                              ;   in Loop: Header=BB6_57 Depth=2
	s_and_saveexec_b32 s13, s45
	s_cbranch_execnz .LBB6_145
	s_branch .LBB6_153
.LBB6_127:                              ;   in Loop: Header=BB6_57 Depth=2
	s_mov_b32 s13, 0
	s_and_saveexec_b32 s44, s2
	s_cbranch_execnz .LBB6_154
.LBB6_128:                              ;   in Loop: Header=BB6_57 Depth=2
	s_or_b32 exec_lo, exec_lo, s44
                                        ; implicit-def: $vgpr0
	s_and_saveexec_b32 s44, s10
	s_delay_alu instid0(SALU_CYCLE_1)
	s_xor_b32 s44, exec_lo, s44
	s_cbranch_execz .LBB6_172
.LBB6_129:                              ;   in Loop: Header=BB6_57 Depth=2
	v_and_b32_e32 v0, 16, v30
	s_delay_alu instid0(VALU_DEP_1) | instskip(SKIP_2) | instid1(SALU_CYCLE_1)
	v_cmp_ne_u32_e32 vcc_lo, 0, v0
	v_and_b32_e32 v0, 16, v30
	s_and_b32 s45, vcc_lo, s13
	s_and_saveexec_b32 s13, s45
	s_cbranch_execz .LBB6_131
; %bb.130:                              ;   in Loop: Header=BB6_57 Depth=2
	v_mov_b32_e32 v0, 1
	global_wb scope:SCOPE_SYS
	s_wait_storecnt 0x0
	s_wait_loadcnt_dscnt 0x0
	global_inv scope:SCOPE_SYS
.LBB6_131:                              ;   in Loop: Header=BB6_57 Depth=2
	s_or_b32 exec_lo, exec_lo, s13
	s_and_not1_saveexec_b32 s13, s44
	s_cbranch_execz .LBB6_191
	s_branch .LBB6_173
.LBB6_132:                              ;   in Loop: Header=BB6_57 Depth=2
	v_ashrrev_i32_e32 v0, 31, v2
	s_mov_b32 s13, exec_lo
	s_delay_alu instid0(VALU_DEP_1) | instskip(NEXT) | instid1(VALU_DEP_1)
	v_lshrrev_b32_e32 v0, 20, v0
	v_add_nc_u32_e32 v0, v2, v0
	s_delay_alu instid0(VALU_DEP_1) | instskip(NEXT) | instid1(VALU_DEP_1)
	v_ashrrev_i32_e32 v0, 12, v0
	v_sub_nc_u32_e32 v22, v0, v95
	s_delay_alu instid0(VALU_DEP_1)
	v_cmpx_lt_i32_e32 0, v22
	s_cbranch_execz .LBB6_136
; %bb.133:                              ;   in Loop: Header=BB6_57 Depth=2
	v_mov_b64_e32 v[18:19], v[16:17]
	v_mov_b64_e32 v[20:21], v[14:15]
	s_mov_b32 s44, 0
.LBB6_134:                              ;   Parent Loop BB6_47 Depth=1
                                        ;     Parent Loop BB6_57 Depth=2
                                        ; =>    This Inner Loop Header: Depth=3
	s_delay_alu instid0(VALU_DEP_1)
	v_add_nc_u64_e32 v[4:5], v[44:45], v[20:21]
	v_sub_nc_u32_e32 v22, v22, v84
	v_add_nc_u64_e32 v[20:21], v[20:21], v[102:103]
	s_clause 0x7
	global_load_b128 v[24:27], v[4:5], off th:TH_LOAD_NT
	global_load_b128 v[32:35], v[4:5], off offset:512 th:TH_LOAD_NT
	global_load_b128 v[36:39], v[4:5], off offset:1024 th:TH_LOAD_NT
	;; [unrolled: 1-line block ×7, first 2 shown]
	s_wait_xcnt 0x0
	v_add_nc_u64_e32 v[4:5], v[44:45], v[18:19]
	v_add_nc_u64_e32 v[18:19], v[18:19], v[102:103]
	v_cmp_gt_i32_e32 vcc_lo, 1, v22
	s_wait_loadcnt 0x7
	global_store_b128 v[4:5], v[24:27], off th:TH_STORE_NT
	s_wait_loadcnt 0x6
	global_store_b128 v[4:5], v[32:35], off offset:512 th:TH_STORE_NT
	s_wait_loadcnt 0x5
	global_store_b128 v[4:5], v[36:39], off offset:1024 th:TH_STORE_NT
	;; [unrolled: 2-line block ×7, first 2 shown]
	s_or_b32 s44, vcc_lo, s44
	s_wait_xcnt 0x0
	s_and_not1_b32 exec_lo, exec_lo, s44
	s_cbranch_execnz .LBB6_134
; %bb.135:                              ;   in Loop: Header=BB6_57 Depth=2
	s_or_b32 exec_lo, exec_lo, s44
.LBB6_136:                              ;   in Loop: Header=BB6_57 Depth=2
	s_delay_alu instid0(SALU_CYCLE_1) | instskip(SKIP_3) | instid1(VALU_DEP_1)
	s_or_b32 exec_lo, exec_lo, s13
	v_dual_mov_b32 v4, 0 :: v_dual_lshlrev_b32 v11, 12, v0
	s_mov_b32 s45, 0
	s_mov_b32 s44, exec_lo
                                        ; implicit-def: $vgpr5
                                        ; implicit-def: $vgpr9
                                        ; implicit-def: $vgpr18
	v_cmpx_ne_u32_e64 v2, v11
	s_cbranch_execz .LBB6_144
; %bb.137:                              ;   in Loop: Header=BB6_57 Depth=2
	scratch_load_b32 v4, off, s33 offset:220 ; 4-byte Folded Reload
	v_dual_lshlrev_b32 v0, 5, v22 :: v_dual_sub_nc_u32 v9, v2, v11
	s_mov_b32 s45, exec_lo
	s_delay_alu instid0(VALU_DEP_1) | instskip(NEXT) | instid1(VALU_DEP_1)
	v_ashrrev_i32_e32 v5, 31, v9
	v_lshrrev_b32_e32 v5, 23, v5
	s_delay_alu instid0(VALU_DEP_1) | instskip(NEXT) | instid1(VALU_DEP_1)
	v_add_nc_u32_e32 v5, v9, v5
	v_and_b32_e32 v20, 0xfffffe00, v5
	s_delay_alu instid0(VALU_DEP_1) | instskip(SKIP_2) | instid1(VALU_DEP_1)
	v_sub_nc_u32_e32 v22, v9, v20
	s_wait_loadcnt 0x0
	v_sub_nc_u32_e32 v0, v4, v0
	v_ashrrev_i32_e32 v4, 31, v0
	s_delay_alu instid0(VALU_DEP_1) | instskip(NEXT) | instid1(VALU_DEP_1)
	v_lshrrev_b32_e32 v4, 27, v4
	v_add_nc_u32_e32 v4, v0, v4
	s_delay_alu instid0(VALU_DEP_1) | instskip(NEXT) | instid1(VALU_DEP_1)
	v_and_b32_e32 v18, 0xffffffe0, v4
	v_dual_sub_nc_u32 v21, v0, v18 :: v_dual_ashrrev_i32 v0, 5, v4
	v_ashrrev_i32_e32 v18, 9, v5
	v_cmp_lt_i32_e32 vcc_lo, 15, v22
	s_delay_alu instid0(VALU_DEP_3) | instskip(NEXT) | instid1(VALU_DEP_3)
	v_lshlrev_b32_e32 v4, 4, v21
	v_add_co_ci_u32_e64 v18, null, 0, v18, vcc_lo
	s_delay_alu instid0(VALU_DEP_2) | instskip(NEXT) | instid1(VALU_DEP_1)
	v_lshl_add_u32 v5, v0, 9, v4
	v_dual_sub_nc_u32 v0, v18, v0 :: v_dual_sub_nc_u32 v4, v9, v5
	s_wait_xcnt 0x0
	s_delay_alu instid0(VALU_DEP_1)
	v_cmpx_lt_i32_e32 15, v4
	s_cbranch_execz .LBB6_141
; %bb.138:                              ;   in Loop: Header=BB6_57 Depth=2
	v_add_nc_u32_e32 v18, v5, v11
	s_mov_b32 s72, 0
	s_delay_alu instid0(VALU_DEP_1)
	v_ashrrev_i32_e32 v19, 31, v18
.LBB6_139:                              ;   Parent Loop BB6_47 Depth=1
                                        ;     Parent Loop BB6_57 Depth=2
                                        ; =>    This Inner Loop Header: Depth=3
	s_delay_alu instid0(VALU_DEP_1) | instskip(SKIP_4) | instid1(VALU_DEP_4)
	v_add_nc_u64_e32 v[24:25], v[14:15], v[18:19]
	v_sub_nc_u32_e32 v4, v4, v112
	v_add_nc_u64_e32 v[28:29], v[16:17], v[18:19]
	v_add_nc_u64_e32 v[18:19], v[18:19], v[112:113]
	v_sub_nc_u32_e32 v0, v0, v84
	v_cmp_gt_i32_e64 s13, 16, v4
	global_load_b128 v[24:27], v[24:25], off th:TH_LOAD_NT
	s_or_b32 s72, s13, s72
	s_wait_loadcnt 0x0
	global_store_b128 v[28:29], v[24:27], off th:TH_STORE_NT
	s_wait_xcnt 0x0
	s_and_not1_b32 exec_lo, exec_lo, s72
	s_cbranch_execnz .LBB6_139
; %bb.140:                              ;   in Loop: Header=BB6_57 Depth=2
	s_or_b32 exec_lo, exec_lo, s72
.LBB6_141:                              ;   in Loop: Header=BB6_57 Depth=2
	s_delay_alu instid0(SALU_CYCLE_1) | instskip(SKIP_3) | instid1(VALU_DEP_1)
	s_or_b32 exec_lo, exec_lo, s45
	v_dual_mov_b32 v4, 0 :: v_dual_bitop2_b32 v19, 15, v2 bitop3:0x40
	s_mov_b32 s45, 0
	s_mov_b32 s72, exec_lo
                                        ; implicit-def: $vgpr9
                                        ; implicit-def: $vgpr18
	v_cndmask_b32_e32 v5, v22, v19, vcc_lo
	s_delay_alu instid0(VALU_DEP_1)
	v_cmpx_ne_u32_e32 0, v5
	s_cbranch_execz .LBB6_143
; %bb.142:                              ;   in Loop: Header=BB6_57 Depth=2
	v_cmp_lt_i32_e64 s13, 0, v0
	s_mov_b32 s45, exec_lo
	v_cndmask_b32_e64 v4, 0, v84, s13
	s_delay_alu instid0(VALU_DEP_1) | instskip(NEXT) | instid1(VALU_DEP_1)
	v_dual_sub_nc_u32 v0, v4, v0 :: v_dual_sub_nc_u32 v4, v22, v19
	v_lshl_add_u32 v9, v0, 5, v21
	s_delay_alu instid0(VALU_DEP_1) | instskip(NEXT) | instid1(VALU_DEP_1)
	v_dual_cndmask_b32 v4, 0, v4, vcc_lo :: v_dual_ashrrev_i32 v0, 31, v9
	v_add3_u32 v4, v20, v11, v4
	s_delay_alu instid0(VALU_DEP_2) | instskip(NEXT) | instid1(VALU_DEP_1)
	v_lshrrev_b32_e32 v0, 27, v0
	v_add_nc_u32_e32 v0, v9, v0
	s_delay_alu instid0(VALU_DEP_1)
	v_ashrrev_i32_e32 v18, 5, v0
.LBB6_143:                              ;   in Loop: Header=BB6_57 Depth=2
	s_or_b32 exec_lo, exec_lo, s72
	s_delay_alu instid0(SALU_CYCLE_1)
	s_and_b32 s45, s45, exec_lo
.LBB6_144:                              ;   in Loop: Header=BB6_57 Depth=2
	s_or_b32 exec_lo, exec_lo, s44
	s_and_saveexec_b32 s13, s45
	s_cbranch_execz .LBB6_153
.LBB6_145:                              ;   in Loop: Header=BB6_57 Depth=2
	v_ashrrev_i32_e32 v0, 31, v5
	s_mov_b32 s44, exec_lo
	s_delay_alu instid0(VALU_DEP_1) | instskip(NEXT) | instid1(VALU_DEP_1)
	v_lshrrev_b32_e32 v0, 22, v0
	v_add_nc_u32_e32 v0, v5, v0
	s_delay_alu instid0(VALU_DEP_1) | instskip(NEXT) | instid1(VALU_DEP_1)
	v_dual_ashrrev_i32 v21, 10, v0 :: v_dual_ashrrev_i32 v0, 31, v9
	v_dual_sub_nc_u32 v11, v21, v18 :: v_dual_lshrrev_b32 v20, 27, v0
	s_delay_alu instid0(VALU_DEP_1)
	v_cmpx_lt_i32_e32 0, v11
	s_cbranch_execz .LBB6_149
; %bb.146:                              ;   in Loop: Header=BB6_57 Depth=2
	s_delay_alu instid0(VALU_DEP_2) | instskip(SKIP_1) | instid1(VALU_DEP_1)
	v_dual_add_nc_u32 v0, v9, v20 :: v_dual_lshlrev_b32 v18, 10, v18
	s_mov_b32 s45, 0
	v_and_b32_e32 v0, 0xffffffe0, v0
	s_delay_alu instid0(VALU_DEP_1) | instskip(NEXT) | instid1(VALU_DEP_1)
	v_sub_nc_u32_e32 v0, v9, v0
	v_add3_u32 v18, v4, v0, v18
	s_delay_alu instid0(VALU_DEP_1)
	v_ashrrev_i32_e32 v19, 31, v18
.LBB6_147:                              ;   Parent Loop BB6_47 Depth=1
                                        ;     Parent Loop BB6_57 Depth=2
                                        ; =>    This Inner Loop Header: Depth=3
	s_delay_alu instid0(VALU_DEP_1)
	v_add_nc_u64_e32 v[22:23], v[18:19], v[14:15]
	v_sub_nc_u32_e32 v11, v11, v84
	v_add_nc_u64_e32 v[14:15], v[14:15], v[114:115]
	s_clause 0x1f
	flat_load_u8 v0, v[22:23] th:TH_LOAD_NT
	flat_load_u8 v24, v[22:23] offset:32 th:TH_LOAD_NT
	flat_load_u8 v25, v[22:23] offset:64 th:TH_LOAD_NT
	;; [unrolled: 1-line block ×31, first 2 shown]
	s_wait_xcnt 0x0
	v_add_nc_u64_e32 v[22:23], v[18:19], v[16:17]
	v_add_nc_u64_e32 v[16:17], v[16:17], v[114:115]
	v_cmp_gt_i32_e32 vcc_lo, 1, v11
	s_wait_loadcnt_dscnt 0x1f1f
	flat_store_b8 v[22:23], v0 th:TH_STORE_NT
	s_wait_loadcnt_dscnt 0x1e1f
	flat_store_b8 v[22:23], v24 offset:32 th:TH_STORE_NT
	s_wait_loadcnt_dscnt 0x1d1f
	flat_store_b8 v[22:23], v25 offset:64 th:TH_STORE_NT
	;; [unrolled: 2-line block ×31, first 2 shown]
	s_or_b32 s45, vcc_lo, s45
	s_wait_xcnt 0x0
	s_and_not1_b32 exec_lo, exec_lo, s45
	s_cbranch_execnz .LBB6_147
; %bb.148:                              ;   in Loop: Header=BB6_57 Depth=2
	s_or_b32 exec_lo, exec_lo, s45
.LBB6_149:                              ;   in Loop: Header=BB6_57 Depth=2
	s_delay_alu instid0(SALU_CYCLE_1) | instskip(SKIP_1) | instid1(VALU_DEP_1)
	s_or_b32 exec_lo, exec_lo, s44
	v_lshlrev_b32_e32 v0, 10, v21
	v_cmp_ne_u32_e32 vcc_lo, v5, v0
	s_and_b32 exec_lo, exec_lo, vcc_lo
	s_cbranch_execz .LBB6_153
; %bb.150:                              ;   in Loop: Header=BB6_57 Depth=2
	v_dual_add_nc_u32 v14, v9, v20 :: v_dual_lshlrev_b32 v11, 5, v11
	s_delay_alu instid0(VALU_DEP_1) | instskip(NEXT) | instid1(VALU_DEP_1)
	v_and_b32_e32 v14, 0xffffffe0, v14
	v_sub_nc_u32_e32 v9, v9, v14
	s_delay_alu instid0(VALU_DEP_1) | instskip(NEXT) | instid1(VALU_DEP_1)
	v_sub_nc_u32_e32 v9, v9, v11
	v_add_nc_u32_e32 v9, v0, v9
	s_delay_alu instid0(VALU_DEP_1) | instskip(NEXT) | instid1(VALU_DEP_1)
	v_sub_nc_u32_e32 v0, v5, v9
	v_cmp_lt_i32_e32 vcc_lo, 0, v0
	s_and_b32 exec_lo, exec_lo, vcc_lo
	s_cbranch_execz .LBB6_153
; %bb.151:                              ;   in Loop: Header=BB6_57 Depth=2
	s_trap 2
	ds_load_b64 v[14:15], v0
	v_add_nc_u32_e32 v16, v9, v4
	s_mov_b32 s44, 0
	s_delay_alu instid0(VALU_DEP_1)
	v_ashrrev_i32_e32 v17, 31, v16
.LBB6_152:                              ;   Parent Loop BB6_47 Depth=1
                                        ;     Parent Loop BB6_57 Depth=2
                                        ; =>    This Inner Loop Header: Depth=3
	s_wait_dscnt 0x0
	s_delay_alu instid0(VALU_DEP_1) | instskip(SKIP_2) | instid1(VALU_DEP_2)
	v_add_nc_u64_e32 v[4:5], v[14:15], v[16:17]
	v_sub_nc_u32_e32 v0, v0, v86
	v_add_nc_u64_e32 v[16:17], v[16:17], v[86:87]
	v_cmp_gt_i32_e32 vcc_lo, 1, v0
	flat_load_u8 v9, v[4:5] th:TH_LOAD_NT
	s_or_b32 s44, vcc_lo, s44
	s_wait_loadcnt_dscnt 0x0
	flat_store_b8 v[4:5], v9 th:TH_STORE_NT
	s_wait_xcnt 0x0
	s_and_not1_b32 exec_lo, exec_lo, s44
	s_cbranch_execnz .LBB6_152
.LBB6_153:                              ;   in Loop: Header=BB6_57 Depth=2
	s_or_b32 exec_lo, exec_lo, s13
	v_cmp_lt_i32_e64 s13, 0, v2
	s_and_saveexec_b32 s44, s2
	s_cbranch_execz .LBB6_128
.LBB6_154:                              ;   in Loop: Header=BB6_57 Depth=2
	s_and_saveexec_b32 s45, s3
	s_delay_alu instid0(SALU_CYCLE_1)
	s_xor_b32 s45, exec_lo, s45
	s_cbranch_execz .LBB6_169
; %bb.155:                              ;   in Loop: Header=BB6_57 Depth=2
	s_and_saveexec_b32 s72, s6
	s_cbranch_execz .LBB6_168
; %bb.156:                              ;   in Loop: Header=BB6_57 Depth=2
	s_mov_b32 s74, exec_lo
	s_mov_b32 s73, exec_lo
	v_mbcnt_lo_u32_b32 v0, s74, 0
	global_wb scope:SCOPE_DEV
	s_wait_storecnt 0x0
	s_wait_loadcnt_dscnt 0x0
	global_inv scope:SCOPE_DEV
	v_cmpx_eq_u32_e32 0, v0
	s_cbranch_execz .LBB6_158
; %bb.157:                              ;   in Loop: Header=BB6_57 Depth=2
	s_bcnt1_i32_b32 s74, s74
	s_delay_alu instid0(SALU_CYCLE_1)
	v_mov_b32_e32 v2, s74
	s_wait_loadcnt 0x0
	ds_add_u64 v0, v[2:3]
	s_trap 2
.LBB6_158:                              ;   in Loop: Header=BB6_57 Depth=2
	s_or_b32 exec_lo, exec_lo, s73
	s_trap 2
	ds_load_b64 v[4:5], v0
	s_wait_dscnt 0x0
	v_add_nc_u64_e32 v[80:81], v[80:81], v[84:85]
	s_mov_b32 s73, exec_lo
	s_delay_alu instid0(VALU_DEP_1)
	v_cmpx_lt_u64_e64 v[4:5], v[80:81]
	s_cbranch_execz .LBB6_167
; %bb.159:                              ;   in Loop: Header=BB6_57 Depth=2
	s_mov_b32 s74, 0
	s_mov_b32 s77, 0
                                        ; implicit-def: $sgpr75
                                        ; implicit-def: $sgpr76
	s_branch .LBB6_161
.LBB6_160:                              ;   in Loop: Header=BB6_161 Depth=3
	s_or_b32 exec_lo, exec_lo, s79
	s_delay_alu instid0(SALU_CYCLE_1) | instskip(NEXT) | instid1(SALU_CYCLE_1)
	s_and_b32 s78, exec_lo, s88
	s_or_b32 s74, s78, s74
	s_and_not1_b32 s75, s75, exec_lo
	s_and_b32 s78, s76, exec_lo
	s_delay_alu instid0(SALU_CYCLE_1)
	s_or_b32 s75, s75, s78
	s_and_not1_b32 exec_lo, exec_lo, s74
	s_cbranch_execz .LBB6_165
.LBB6_161:                              ;   Parent Loop BB6_47 Depth=1
                                        ;     Parent Loop BB6_57 Depth=2
                                        ; =>    This Inner Loop Header: Depth=3
	s_add_co_i32 s77, s77, 1
	s_delay_alu instid0(SALU_CYCLE_1) | instskip(SKIP_1) | instid1(SALU_CYCLE_1)
	s_cmp_lg_u32 s77, 0x2710
	s_cselect_b32 s78, -1, 0
	s_and_b32 vcc_lo, exec_lo, s78
	s_cbranch_vccz .LBB6_163
; %bb.162:                              ;   in Loop: Header=BB6_161 Depth=3
	s_mov_b32 s88, -1
	s_or_b32 s76, s76, exec_lo
	s_and_saveexec_b32 s79, s78
	s_cbranch_execz .LBB6_160
	s_branch .LBB6_164
.LBB6_163:                              ;   in Loop: Header=BB6_161 Depth=3
	s_trap 2
	ds_load_b64 v[4:5], v0
	s_and_not1_b32 s78, s78, exec_lo
	s_mov_b32 s77, 0
	s_wait_loadcnt_dscnt 0x0
	flat_load_b32 v0, v[4:5] scope:SCOPE_SYS
	s_wait_loadcnt_dscnt 0x0
	global_inv scope:SCOPE_SYS
	v_cmp_eq_u32_e32 vcc_lo, 0, v0
	s_and_b32 s79, vcc_lo, exec_lo
	s_delay_alu instid0(SALU_CYCLE_1)
	s_or_b32 s78, s78, s79
	s_mov_b32 s88, -1
	s_or_b32 s76, s76, exec_lo
	s_wait_xcnt 0x0
	s_and_saveexec_b32 s79, s78
	s_cbranch_execz .LBB6_160
.LBB6_164:                              ;   in Loop: Header=BB6_161 Depth=3
	s_sleep 1
	s_trap 2
	ds_load_b64 v[4:5], v0
	s_wait_dscnt 0x0
	s_and_not1_b32 s76, s76, exec_lo
	v_cmp_ge_u64_e32 vcc_lo, v[4:5], v[80:81]
	s_or_not1_b32 s88, vcc_lo, exec_lo
	s_branch .LBB6_160
.LBB6_165:                              ;   in Loop: Header=BB6_57 Depth=2
	s_or_b32 exec_lo, exec_lo, s74
	s_and_saveexec_b32 s74, s75
	s_delay_alu instid0(SALU_CYCLE_1)
	s_xor_b32 s74, exec_lo, s74
	s_cbranch_execz .LBB6_167
; %bb.166:                              ;   in Loop: Header=BB6_57 Depth=2
	ds_store_b32 v0, v43
	s_trap 2
.LBB6_167:                              ;   in Loop: Header=BB6_57 Depth=2
	s_or_b32 exec_lo, exec_lo, s73
	;;#ASMSTART
	s_wakeup
	;;#ASMEND
.LBB6_168:                              ;   in Loop: Header=BB6_57 Depth=2
	s_or_b32 exec_lo, exec_lo, s72
.LBB6_169:                              ;   in Loop: Header=BB6_57 Depth=2
	s_and_not1_saveexec_b32 s45, s45
	s_cbranch_execz .LBB6_171
; %bb.170:                              ;   in Loop: Header=BB6_57 Depth=2
	global_wb scope:SCOPE_DEV
	s_wait_storecnt 0x0
	s_wait_loadcnt_dscnt 0x0
	global_inv scope:SCOPE_DEV
	s_barrier_signal -1
	s_barrier_wait -1
.LBB6_171:                              ;   in Loop: Header=BB6_57 Depth=2
	s_or_b32 exec_lo, exec_lo, s45
	s_delay_alu instid0(SALU_CYCLE_1) | instskip(SKIP_1) | instid1(SALU_CYCLE_1)
	s_or_b32 exec_lo, exec_lo, s44
                                        ; implicit-def: $vgpr0
	s_and_saveexec_b32 s44, s10
	s_xor_b32 s44, exec_lo, s44
	s_cbranch_execnz .LBB6_129
.LBB6_172:                              ;   in Loop: Header=BB6_57 Depth=2
	s_and_not1_saveexec_b32 s13, s44
	s_cbranch_execz .LBB6_191
.LBB6_173:                              ;   in Loop: Header=BB6_57 Depth=2
	s_and_saveexec_b32 s44, s3
	s_delay_alu instid0(SALU_CYCLE_1)
	s_xor_b32 s44, exec_lo, s44
	s_cbranch_execz .LBB6_188
; %bb.174:                              ;   in Loop: Header=BB6_57 Depth=2
	s_and_saveexec_b32 s45, s6
	s_cbranch_execz .LBB6_187
; %bb.175:                              ;   in Loop: Header=BB6_57 Depth=2
	s_mov_b32 s73, exec_lo
	s_mov_b32 s72, exec_lo
	v_mbcnt_lo_u32_b32 v0, s73, 0
	;;#ASMSTART
	s_waitcnt lgkmcnt(0) vmcnt(0)
	;;#ASMEND
	s_delay_alu instid0(VALU_DEP_1)
	v_cmpx_eq_u32_e32 0, v0
	s_cbranch_execz .LBB6_177
; %bb.176:                              ;   in Loop: Header=BB6_57 Depth=2
	s_bcnt1_i32_b32 s73, s73
	s_delay_alu instid0(SALU_CYCLE_1)
	v_mov_b32_e32 v2, s73
	s_wait_storecnt 0x0
	s_wait_loadcnt_dscnt 0x0
	ds_add_u64 v0, v[2:3]
	s_trap 2
.LBB6_177:                              ;   in Loop: Header=BB6_57 Depth=2
	s_or_b32 exec_lo, exec_lo, s72
	s_trap 2
	ds_load_b64 v[4:5], v0
	s_wait_dscnt 0x0
	v_add_nc_u64_e32 v[80:81], v[80:81], v[84:85]
	s_mov_b32 s72, exec_lo
	s_delay_alu instid0(VALU_DEP_1)
	v_cmpx_lt_u64_e64 v[4:5], v[80:81]
	s_cbranch_execz .LBB6_186
; %bb.178:                              ;   in Loop: Header=BB6_57 Depth=2
	s_mov_b32 s73, 0
	s_mov_b32 s76, 0
                                        ; implicit-def: $sgpr74
                                        ; implicit-def: $sgpr75
	s_branch .LBB6_180
.LBB6_179:                              ;   in Loop: Header=BB6_180 Depth=3
	s_or_b32 exec_lo, exec_lo, s78
	s_delay_alu instid0(SALU_CYCLE_1) | instskip(NEXT) | instid1(SALU_CYCLE_1)
	s_and_b32 s77, exec_lo, s79
	s_or_b32 s73, s77, s73
	s_and_not1_b32 s74, s74, exec_lo
	s_and_b32 s77, s75, exec_lo
	s_delay_alu instid0(SALU_CYCLE_1)
	s_or_b32 s74, s74, s77
	s_and_not1_b32 exec_lo, exec_lo, s73
	s_cbranch_execz .LBB6_184
.LBB6_180:                              ;   Parent Loop BB6_47 Depth=1
                                        ;     Parent Loop BB6_57 Depth=2
                                        ; =>    This Inner Loop Header: Depth=3
	s_add_co_i32 s76, s76, 1
	s_delay_alu instid0(SALU_CYCLE_1) | instskip(SKIP_1) | instid1(SALU_CYCLE_1)
	s_cmp_lg_u32 s76, 0x2710
	s_cselect_b32 s77, -1, 0
	s_and_b32 vcc_lo, exec_lo, s77
	s_cbranch_vccz .LBB6_182
; %bb.181:                              ;   in Loop: Header=BB6_180 Depth=3
	s_mov_b32 s79, -1
	s_or_b32 s75, s75, exec_lo
	s_and_saveexec_b32 s78, s77
	s_cbranch_execz .LBB6_179
	s_branch .LBB6_183
.LBB6_182:                              ;   in Loop: Header=BB6_180 Depth=3
	s_trap 2
	ds_load_b64 v[4:5], v0
	s_and_not1_b32 s77, s77, exec_lo
	s_mov_b32 s76, 0
	s_wait_storecnt 0x0
	s_wait_loadcnt_dscnt 0x0
	flat_load_b32 v0, v[4:5] scope:SCOPE_SYS
	s_wait_loadcnt_dscnt 0x0
	global_inv scope:SCOPE_SYS
	v_cmp_eq_u32_e32 vcc_lo, 0, v0
	s_and_b32 s78, vcc_lo, exec_lo
	s_delay_alu instid0(SALU_CYCLE_1)
	s_or_b32 s77, s77, s78
	s_mov_b32 s79, -1
	s_or_b32 s75, s75, exec_lo
	s_wait_xcnt 0x0
	s_and_saveexec_b32 s78, s77
	s_cbranch_execz .LBB6_179
.LBB6_183:                              ;   in Loop: Header=BB6_180 Depth=3
	s_sleep 1
	s_trap 2
	ds_load_b64 v[4:5], v0
	s_wait_dscnt 0x0
	s_and_not1_b32 s75, s75, exec_lo
	v_cmp_ge_u64_e32 vcc_lo, v[4:5], v[80:81]
	s_or_not1_b32 s79, vcc_lo, exec_lo
	s_branch .LBB6_179
.LBB6_184:                              ;   in Loop: Header=BB6_57 Depth=2
	s_or_b32 exec_lo, exec_lo, s73
	s_and_saveexec_b32 s73, s74
	s_delay_alu instid0(SALU_CYCLE_1)
	s_xor_b32 s73, exec_lo, s73
	s_cbranch_execz .LBB6_186
; %bb.185:                              ;   in Loop: Header=BB6_57 Depth=2
	ds_store_b32 v0, v43
	s_trap 2
.LBB6_186:                              ;   in Loop: Header=BB6_57 Depth=2
	s_or_b32 exec_lo, exec_lo, s72
	;;#ASMSTART
	s_wakeup
	;;#ASMEND
.LBB6_187:                              ;   in Loop: Header=BB6_57 Depth=2
	s_or_b32 exec_lo, exec_lo, s45
.LBB6_188:                              ;   in Loop: Header=BB6_57 Depth=2
	s_and_not1_saveexec_b32 s44, s44
	s_cbranch_execz .LBB6_190
; %bb.189:                              ;   in Loop: Header=BB6_57 Depth=2
	;;#ASMSTART
	s_waitcnt lgkmcnt(0) vmcnt(0)
	;;#ASMEND
	s_barrier_signal -1
	s_barrier_wait -1
.LBB6_190:                              ;   in Loop: Header=BB6_57 Depth=2
	s_or_b32 exec_lo, exec_lo, s44
	v_and_b32_e32 v0, 16, v30
.LBB6_191:                              ;   in Loop: Header=BB6_57 Depth=2
	s_or_b32 exec_lo, exec_lo, s13
	s_delay_alu instid0(SALU_CYCLE_1) | instskip(NEXT) | instid1(VALU_DEP_1)
	s_mov_b32 s13, exec_lo
	v_cmpx_ne_u32_e32 0, v0
	s_cbranch_execz .LBB6_56
; %bb.192:                              ;   in Loop: Header=BB6_57 Depth=2
	s_and_saveexec_b32 s44, s5
	s_cbranch_execz .LBB6_55
; %bb.193:                              ;   in Loop: Header=BB6_57 Depth=2
	global_wb scope:SCOPE_SYS
	s_wait_storecnt 0x0
	s_wait_loadcnt_dscnt 0x0
	flat_store_b32 v[70:71], v43 scope:SCOPE_SYS
	s_branch .LBB6_55
.LBB6_194:                              ;   in Loop: Header=BB6_47 Depth=1
	s_or_b32 exec_lo, exec_lo, s15
.LBB6_195:                              ;   in Loop: Header=BB6_47 Depth=1
	s_delay_alu instid0(SALU_CYCLE_1) | instskip(NEXT) | instid1(SALU_CYCLE_1)
	s_or_b32 exec_lo, exec_lo, s14
	s_mov_b32 s14, exec_lo
	v_cmpx_gt_i32_e32 2, v0
	s_cbranch_execz .LBB6_267
; %bb.196:                              ;   in Loop: Header=BB6_47 Depth=1
	v_cmp_eq_u32_e64 s18, 0, v0
	s_mov_b32 s15, 0
	s_branch .LBB6_199
.LBB6_197:                              ;   in Loop: Header=BB6_199 Depth=2
	s_wait_xcnt 0x0
	s_or_b32 exec_lo, exec_lo, s18
	v_add_nc_u64_e32 v[60:61], 2, v[60:61]
	global_wb scope:SCOPE_SYS
	s_wait_storecnt 0x0
	s_wait_loadcnt_dscnt 0x0
	flat_store_b64 v[64:65], v[60:61] scope:SCOPE_SYS
.LBB6_198:                              ;   in Loop: Header=BB6_199 Depth=2
	s_wait_xcnt 0x0
	s_or_b32 exec_lo, exec_lo, s13
	v_add_nc_u32_e32 v10, v8, v10
	s_mov_b32 s18, 0
	s_and_not1_b32 exec_lo, exec_lo, s15
	s_cbranch_execz .LBB6_266
.LBB6_199:                              ;   Parent Loop BB6_47 Depth=1
                                        ; =>  This Loop Header: Depth=2
                                        ;       Child Loop BB6_205 Depth 3
                                        ;       Child Loop BB6_229 Depth 3
                                        ;       Child Loop BB6_252 Depth 3
	s_delay_alu instid0(VALU_DEP_1) | instskip(SKIP_2) | instid1(VALU_DEP_2)
	v_sub_nc_u32_e32 v0, v1, v10
	v_and_b32_e32 v2, 8, v30
	s_mov_b32 s41, exec_lo
	v_min_i32_e32 v8, v8, v0
	s_delay_alu instid0(VALU_DEP_2)
	v_cmpx_ne_u32_e32 0, v2
	s_cbranch_execz .LBB6_221
; %bb.200:                              ;   in Loop: Header=BB6_199 Depth=2
	s_wait_loadcnt_dscnt 0x1
	v_add_nc_u64_e32 v[4:5], 8, v[82:83]
	v_add_nc_u64_e32 v[12:13], 2, v[60:61]
	s_mov_b32 s44, exec_lo
	s_delay_alu instid0(VALU_DEP_1)
	v_cmpx_lt_u64_e64 v[4:5], v[12:13]
	s_cbranch_execz .LBB6_212
; %bb.201:                              ;   in Loop: Header=BB6_199 Depth=2
	v_and_b32_e32 v0, 64, v30
	s_mov_b32 s45, 0
	s_mov_b32 s75, 0
                                        ; implicit-def: $sgpr72
                                        ; implicit-def: $sgpr73
                                        ; implicit-def: $sgpr74
	s_delay_alu instid0(VALU_DEP_1)
	v_cmp_eq_u32_e32 vcc_lo, 0, v0
	s_branch .LBB6_205
.LBB6_202:                              ;   in Loop: Header=BB6_205 Depth=3
	s_wait_loadcnt_dscnt 0x0
	v_add_nc_u64_e32 v[4:5], 8, v[82:83]
	s_or_b32 s78, s78, exec_lo
	s_delay_alu instid0(VALU_DEP_1)
	v_cmp_ge_u64_e64 s13, v[4:5], v[12:13]
	s_or_not1_b32 s77, s13, exec_lo
.LBB6_203:                              ;   in Loop: Header=BB6_205 Depth=3
	s_or_b32 exec_lo, exec_lo, s88
	s_delay_alu instid0(SALU_CYCLE_1)
	s_and_not1_b32 s13, s74, exec_lo
	s_and_b32 s74, s78, exec_lo
	s_and_not1_b32 s73, s73, exec_lo
	s_and_b32 s77, s77, exec_lo
	s_or_b32 s74, s13, s74
	s_or_b32 s73, s73, s77
.LBB6_204:                              ;   in Loop: Header=BB6_205 Depth=3
	s_or_b32 exec_lo, exec_lo, s76
	s_delay_alu instid0(SALU_CYCLE_1) | instskip(NEXT) | instid1(SALU_CYCLE_1)
	s_and_b32 s13, exec_lo, s73
	s_or_b32 s45, s13, s45
	s_and_not1_b32 s13, s72, exec_lo
	s_and_b32 s72, s74, exec_lo
	s_delay_alu instid0(SALU_CYCLE_1)
	s_or_b32 s72, s13, s72
	s_and_not1_b32 exec_lo, exec_lo, s45
	s_cbranch_execz .LBB6_209
.LBB6_205:                              ;   Parent Loop BB6_47 Depth=1
                                        ;     Parent Loop BB6_199 Depth=2
                                        ; =>    This Inner Loop Header: Depth=3
	s_sleep 1
	s_wait_loadcnt_dscnt 0x0
	flat_load_b64 v[82:83], v[64:65] scope:SCOPE_SYS
	s_or_b32 s74, s74, exec_lo
	s_or_b32 s73, s73, exec_lo
                                        ; implicit-def: $vgpr2
	s_wait_xcnt 0x0
	s_and_saveexec_b32 s76, vcc_lo
	s_cbranch_execz .LBB6_204
; %bb.206:                              ;   in Loop: Header=BB6_205 Depth=3
	s_cmp_lt_i32 s75, 0x270f
	s_mov_b32 s77, -1
	s_cselect_b32 s79, -1, 0
	s_cmp_gt_i32 s75, 0x270e
	s_cbranch_scc0 .LBB6_208
; %bb.207:                              ;   in Loop: Header=BB6_205 Depth=3
	s_trap 2
	ds_load_b64 v[4:5], v0
	s_and_not1_b32 s75, s79, exec_lo
	s_mov_b32 s78, 0
	s_wait_storecnt 0x0
	s_wait_loadcnt_dscnt 0x0
	flat_load_b32 v2, v[4:5] scope:SCOPE_SYS
	s_wait_loadcnt_dscnt 0x0
	global_inv scope:SCOPE_SYS
	v_cmp_eq_u32_e64 s13, 0, v2
	s_and_b32 s13, s13, exec_lo
	s_delay_alu instid0(SALU_CYCLE_1)
	s_or_b32 s79, s75, s13
	s_mov_b32 s75, 0
	s_wait_xcnt 0x0
	s_and_saveexec_b32 s88, s79
	s_cbranch_execz .LBB6_203
	s_branch .LBB6_202
.LBB6_208:                              ;   in Loop: Header=BB6_205 Depth=3
	s_add_co_i32 s75, s75, 1
	s_mov_b32 s78, -1
                                        ; implicit-def: $vgpr2
	s_and_saveexec_b32 s88, s79
	s_cbranch_execz .LBB6_203
	s_branch .LBB6_202
.LBB6_209:                              ;   in Loop: Header=BB6_199 Depth=2
	s_or_b32 exec_lo, exec_lo, s45
	s_xor_b32 s13, s72, -1
	s_delay_alu instid0(SALU_CYCLE_1) | instskip(NEXT) | instid1(SALU_CYCLE_1)
	s_and_saveexec_b32 s45, s13
	s_xor_b32 s13, exec_lo, s45
	s_cbranch_execz .LBB6_211
; %bb.210:                              ;   in Loop: Header=BB6_199 Depth=2
	v_or_b32_e32 v30, 64, v30
	s_wait_storecnt 0x0
	s_wait_loadcnt_dscnt 0x0
	ds_store_b32 v0, v2
	s_trap 2
.LBB6_211:                              ;   in Loop: Header=BB6_199 Depth=2
	s_or_b32 exec_lo, exec_lo, s13
.LBB6_212:                              ;   in Loop: Header=BB6_199 Depth=2
	s_delay_alu instid0(SALU_CYCLE_1)
	s_or_b32 exec_lo, exec_lo, s44
	v_and_b32_e32 v0, 0x100, v30
	v_and_b32_e32 v2, 7, v60
	s_mov_b32 s13, -1
	s_mov_b32 s44, exec_lo
	;;#ASMSTART
	s_wakeup
	;;#ASMEND
                                        ; implicit-def: $vgpr14_vgpr15
	v_cmpx_ne_u32_e32 0, v0
	s_cbranch_execz .LBB6_216
; %bb.213:                              ;   in Loop: Header=BB6_199 Depth=2
	v_mad_nc_u64_u32 v[16:17], v2, 24, v[6:7]
	v_ashrrev_i32_e32 v9, 31, v8
	s_mov_b32 s45, exec_lo
                                        ; implicit-def: $vgpr14_vgpr15
	s_clause 0x1
	flat_load_b32 v0, v[16:17]
	flat_store_b64 v[16:17], v[8:9] offset:8
	s_wait_loadcnt_dscnt 0x1
	v_cmp_ne_u32_e32 vcc_lo, 1, v0
	s_wait_xcnt 0x0
	v_cmpx_eq_u32_e32 1, v0
	s_cbranch_execz .LBB6_215
; %bb.214:                              ;   in Loop: Header=BB6_199 Depth=2
	flat_load_b32 v14, v[16:17] offset:4 scope:SCOPE_SYS
	s_wait_loadcnt_dscnt 0x0
	v_ashrrev_i32_e32 v15, 31, v14
.LBB6_215:                              ;   in Loop: Header=BB6_199 Depth=2
	s_wait_xcnt 0x0
	s_or_b32 exec_lo, exec_lo, s45
	s_delay_alu instid0(SALU_CYCLE_1)
	s_or_not1_b32 s13, vcc_lo, exec_lo
.LBB6_216:                              ;   in Loop: Header=BB6_199 Depth=2
	s_or_b32 exec_lo, exec_lo, s44
	s_and_saveexec_b32 s44, s13
; %bb.217:                              ;   in Loop: Header=BB6_199 Depth=2
	v_mul_u64_e32 v[14:15], v[2:3], v[62:63]
; %bb.218:                              ;   in Loop: Header=BB6_199 Depth=2
	s_or_b32 exec_lo, exec_lo, s44
	s_delay_alu instid0(VALU_DEP_1)
	v_add_nc_u64_e32 v[4:5], v[68:69], v[14:15]
	v_and_b32_e32 v0, 0x2000, v30
	s_mov_b32 s13, exec_lo
	ds_store_b64 v0, v[4:5] offset:784
	v_cmpx_ne_u32_e32 0, v0
	s_cbranch_execz .LBB6_220
; %bb.219:                              ;   in Loop: Header=BB6_199 Depth=2
	ds_load_b64 v[4:5], v0 offset:872
	s_wait_dscnt 0x0
	v_add_nc_u64_e32 v[4:5], 1, v[4:5]
	ds_store_b64 v0, v[4:5] offset:872
.LBB6_220:                              ;   in Loop: Header=BB6_199 Depth=2
	s_or_b32 exec_lo, exec_lo, s13
	v_mov_b64_e32 v[60:61], v[12:13]
.LBB6_221:                              ;   in Loop: Header=BB6_199 Depth=2
	s_or_b32 exec_lo, exec_lo, s41
	s_xor_b32 s13, s18, -1
	s_delay_alu instid0(SALU_CYCLE_1) | instskip(NEXT) | instid1(SALU_CYCLE_1)
	s_and_b32 s13, exec_lo, s13
	s_or_b32 s15, s13, s15
	s_and_saveexec_b32 s13, s2
	s_cbranch_execz .LBB6_240
; %bb.222:                              ;   in Loop: Header=BB6_199 Depth=2
	s_and_saveexec_b32 s18, s3
	s_delay_alu instid0(SALU_CYCLE_1)
	s_xor_b32 s18, exec_lo, s18
	s_cbranch_execz .LBB6_237
; %bb.223:                              ;   in Loop: Header=BB6_199 Depth=2
	s_and_saveexec_b32 s41, s6
	s_cbranch_execz .LBB6_236
; %bb.224:                              ;   in Loop: Header=BB6_199 Depth=2
	s_mov_b32 s45, exec_lo
	s_mov_b32 s44, exec_lo
	v_mbcnt_lo_u32_b32 v0, s45, 0
	global_wb scope:SCOPE_DEV
	s_wait_storecnt 0x0
	s_wait_loadcnt_dscnt 0x0
	global_inv scope:SCOPE_DEV
	v_cmpx_eq_u32_e32 0, v0
	s_cbranch_execz .LBB6_226
; %bb.225:                              ;   in Loop: Header=BB6_199 Depth=2
	s_bcnt1_i32_b32 s45, s45
	s_delay_alu instid0(SALU_CYCLE_1)
	v_mov_b32_e32 v2, s45
	s_wait_loadcnt 0x0
	ds_add_u64 v0, v[2:3]
	s_trap 2
.LBB6_226:                              ;   in Loop: Header=BB6_199 Depth=2
	s_or_b32 exec_lo, exec_lo, s44
	s_trap 2
	ds_load_b64 v[4:5], v0
	s_wait_dscnt 0x0
	v_add_nc_u64_e32 v[80:81], v[80:81], v[84:85]
	s_mov_b32 s44, exec_lo
	s_delay_alu instid0(VALU_DEP_1)
	v_cmpx_lt_u64_e64 v[4:5], v[80:81]
	s_cbranch_execz .LBB6_235
; %bb.227:                              ;   in Loop: Header=BB6_199 Depth=2
	s_mov_b32 s45, 0
	s_mov_b32 s74, 0
                                        ; implicit-def: $sgpr72
                                        ; implicit-def: $sgpr73
	s_branch .LBB6_229
.LBB6_228:                              ;   in Loop: Header=BB6_229 Depth=3
	s_or_b32 exec_lo, exec_lo, s76
	s_delay_alu instid0(SALU_CYCLE_1) | instskip(NEXT) | instid1(SALU_CYCLE_1)
	s_and_b32 s75, exec_lo, s77
	s_or_b32 s45, s75, s45
	s_and_not1_b32 s72, s72, exec_lo
	s_and_b32 s75, s73, exec_lo
	s_delay_alu instid0(SALU_CYCLE_1)
	s_or_b32 s72, s72, s75
	s_and_not1_b32 exec_lo, exec_lo, s45
	s_cbranch_execz .LBB6_233
.LBB6_229:                              ;   Parent Loop BB6_47 Depth=1
                                        ;     Parent Loop BB6_199 Depth=2
                                        ; =>    This Inner Loop Header: Depth=3
	s_add_co_i32 s74, s74, 1
	s_delay_alu instid0(SALU_CYCLE_1) | instskip(SKIP_1) | instid1(SALU_CYCLE_1)
	s_cmp_lg_u32 s74, 0x2710
	s_cselect_b32 s75, -1, 0
	s_and_b32 vcc_lo, exec_lo, s75
	s_cbranch_vccz .LBB6_231
; %bb.230:                              ;   in Loop: Header=BB6_229 Depth=3
	s_mov_b32 s77, -1
	s_or_b32 s73, s73, exec_lo
	s_and_saveexec_b32 s76, s75
	s_cbranch_execz .LBB6_228
	s_branch .LBB6_232
.LBB6_231:                              ;   in Loop: Header=BB6_229 Depth=3
	s_trap 2
	ds_load_b64 v[4:5], v0
	s_and_not1_b32 s75, s75, exec_lo
	s_mov_b32 s74, 0
	s_wait_loadcnt_dscnt 0x0
	flat_load_b32 v0, v[4:5] scope:SCOPE_SYS
	s_wait_loadcnt_dscnt 0x0
	global_inv scope:SCOPE_SYS
	v_cmp_eq_u32_e32 vcc_lo, 0, v0
	s_and_b32 s76, vcc_lo, exec_lo
	s_delay_alu instid0(SALU_CYCLE_1)
	s_or_b32 s75, s75, s76
	s_mov_b32 s77, -1
	s_or_b32 s73, s73, exec_lo
	s_wait_xcnt 0x0
	s_and_saveexec_b32 s76, s75
	s_cbranch_execz .LBB6_228
.LBB6_232:                              ;   in Loop: Header=BB6_229 Depth=3
	s_sleep 1
	s_trap 2
	ds_load_b64 v[4:5], v0
	s_wait_dscnt 0x0
	s_and_not1_b32 s73, s73, exec_lo
	v_cmp_ge_u64_e32 vcc_lo, v[4:5], v[80:81]
	s_or_not1_b32 s77, vcc_lo, exec_lo
	s_branch .LBB6_228
.LBB6_233:                              ;   in Loop: Header=BB6_199 Depth=2
	s_or_b32 exec_lo, exec_lo, s45
	s_and_saveexec_b32 s45, s72
	s_delay_alu instid0(SALU_CYCLE_1)
	s_xor_b32 s45, exec_lo, s45
	s_cbranch_execz .LBB6_235
; %bb.234:                              ;   in Loop: Header=BB6_199 Depth=2
	ds_store_b32 v0, v43
	s_trap 2
.LBB6_235:                              ;   in Loop: Header=BB6_199 Depth=2
	s_or_b32 exec_lo, exec_lo, s44
	;;#ASMSTART
	s_wakeup
	;;#ASMEND
.LBB6_236:                              ;   in Loop: Header=BB6_199 Depth=2
	s_or_b32 exec_lo, exec_lo, s41
.LBB6_237:                              ;   in Loop: Header=BB6_199 Depth=2
	s_and_not1_saveexec_b32 s18, s18
	s_cbranch_execz .LBB6_239
; %bb.238:                              ;   in Loop: Header=BB6_199 Depth=2
	global_wb scope:SCOPE_DEV
	s_wait_storecnt 0x0
	s_wait_loadcnt_dscnt 0x0
	global_inv scope:SCOPE_DEV
	s_barrier_signal -1
	s_barrier_wait -1
.LBB6_239:                              ;   in Loop: Header=BB6_199 Depth=2
	s_or_b32 exec_lo, exec_lo, s18
.LBB6_240:                              ;   in Loop: Header=BB6_199 Depth=2
	s_delay_alu instid0(SALU_CYCLE_1) | instskip(SKIP_1) | instid1(SALU_CYCLE_1)
	s_or_b32 exec_lo, exec_lo, s13
                                        ; implicit-def: $vgpr0
	s_and_saveexec_b32 s13, s10
	s_xor_b32 s18, exec_lo, s13
	s_cbranch_execz .LBB6_244
; %bb.241:                              ;   in Loop: Header=BB6_199 Depth=2
	s_trap 2
	ds_load_b32 v0, v0
	v_cmp_lt_i32_e32 vcc_lo, 0, v8
	s_wait_dscnt 0x0
	v_readfirstlane_b32 s13, v0
	v_and_b32_e32 v0, 16, v30
	s_cmp_eq_u32 s13, 0
	s_delay_alu instid0(VALU_DEP_1) | instskip(SKIP_3) | instid1(SALU_CYCLE_1)
	v_cmp_ne_u32_e64 s13, 0, v0
	s_cselect_b32 s41, -1, 0
	v_and_b32_e32 v0, 16, v30
	s_and_b32 s41, vcc_lo, s41
	s_and_b32 s41, s13, s41
	s_delay_alu instid0(SALU_CYCLE_1)
	s_and_saveexec_b32 s13, s41
	s_cbranch_execz .LBB6_243
; %bb.242:                              ;   in Loop: Header=BB6_199 Depth=2
	v_mov_b32_e32 v0, 1
	global_wb scope:SCOPE_SYS
	s_wait_loadcnt 0x0
	s_wait_storecnt 0x0
	global_inv scope:SCOPE_SYS
.LBB6_243:                              ;   in Loop: Header=BB6_199 Depth=2
	s_or_b32 exec_lo, exec_lo, s13
	s_and_not1_saveexec_b32 s13, s18
	s_cbranch_execz .LBB6_263
	s_branch .LBB6_245
.LBB6_244:                              ;   in Loop: Header=BB6_199 Depth=2
	s_and_not1_saveexec_b32 s13, s18
	s_cbranch_execz .LBB6_263
.LBB6_245:                              ;   in Loop: Header=BB6_199 Depth=2
	s_and_saveexec_b32 s18, s3
	s_delay_alu instid0(SALU_CYCLE_1)
	s_xor_b32 s18, exec_lo, s18
	s_cbranch_execz .LBB6_260
; %bb.246:                              ;   in Loop: Header=BB6_199 Depth=2
	s_and_saveexec_b32 s41, s6
	s_cbranch_execz .LBB6_259
; %bb.247:                              ;   in Loop: Header=BB6_199 Depth=2
	s_mov_b32 s45, exec_lo
	s_mov_b32 s44, exec_lo
	v_mbcnt_lo_u32_b32 v0, s45, 0
	;;#ASMSTART
	s_waitcnt lgkmcnt(0) vmcnt(0)
	;;#ASMEND
	s_delay_alu instid0(VALU_DEP_1)
	v_cmpx_eq_u32_e32 0, v0
	s_cbranch_execz .LBB6_249
; %bb.248:                              ;   in Loop: Header=BB6_199 Depth=2
	s_bcnt1_i32_b32 s45, s45
	s_delay_alu instid0(SALU_CYCLE_1)
	v_mov_b32_e32 v2, s45
	s_wait_storecnt 0x0
	s_wait_loadcnt_dscnt 0x0
	ds_add_u64 v0, v[2:3]
	s_trap 2
.LBB6_249:                              ;   in Loop: Header=BB6_199 Depth=2
	s_or_b32 exec_lo, exec_lo, s44
	s_trap 2
	ds_load_b64 v[4:5], v0
	s_wait_dscnt 0x0
	v_add_nc_u64_e32 v[80:81], v[80:81], v[84:85]
	s_mov_b32 s44, exec_lo
	s_delay_alu instid0(VALU_DEP_1)
	v_cmpx_lt_u64_e64 v[4:5], v[80:81]
	s_cbranch_execz .LBB6_258
; %bb.250:                              ;   in Loop: Header=BB6_199 Depth=2
	s_mov_b32 s45, 0
	s_mov_b32 s74, 0
                                        ; implicit-def: $sgpr72
                                        ; implicit-def: $sgpr73
	s_branch .LBB6_252
.LBB6_251:                              ;   in Loop: Header=BB6_252 Depth=3
	s_or_b32 exec_lo, exec_lo, s76
	s_delay_alu instid0(SALU_CYCLE_1) | instskip(NEXT) | instid1(SALU_CYCLE_1)
	s_and_b32 s75, exec_lo, s77
	s_or_b32 s45, s75, s45
	s_and_not1_b32 s72, s72, exec_lo
	s_and_b32 s75, s73, exec_lo
	s_delay_alu instid0(SALU_CYCLE_1)
	s_or_b32 s72, s72, s75
	s_and_not1_b32 exec_lo, exec_lo, s45
	s_cbranch_execz .LBB6_256
.LBB6_252:                              ;   Parent Loop BB6_47 Depth=1
                                        ;     Parent Loop BB6_199 Depth=2
                                        ; =>    This Inner Loop Header: Depth=3
	s_add_co_i32 s74, s74, 1
	s_delay_alu instid0(SALU_CYCLE_1) | instskip(SKIP_1) | instid1(SALU_CYCLE_1)
	s_cmp_lg_u32 s74, 0x2710
	s_cselect_b32 s75, -1, 0
	s_and_b32 vcc_lo, exec_lo, s75
	s_cbranch_vccz .LBB6_254
; %bb.253:                              ;   in Loop: Header=BB6_252 Depth=3
	s_mov_b32 s77, -1
	s_or_b32 s73, s73, exec_lo
	s_and_saveexec_b32 s76, s75
	s_cbranch_execz .LBB6_251
	s_branch .LBB6_255
.LBB6_254:                              ;   in Loop: Header=BB6_252 Depth=3
	s_trap 2
	ds_load_b64 v[4:5], v0
	s_and_not1_b32 s75, s75, exec_lo
	s_mov_b32 s74, 0
	s_wait_storecnt 0x0
	s_wait_loadcnt_dscnt 0x0
	flat_load_b32 v0, v[4:5] scope:SCOPE_SYS
	s_wait_loadcnt_dscnt 0x0
	global_inv scope:SCOPE_SYS
	v_cmp_eq_u32_e32 vcc_lo, 0, v0
	s_and_b32 s76, vcc_lo, exec_lo
	s_delay_alu instid0(SALU_CYCLE_1)
	s_or_b32 s75, s75, s76
	s_mov_b32 s77, -1
	s_or_b32 s73, s73, exec_lo
	s_wait_xcnt 0x0
	s_and_saveexec_b32 s76, s75
	s_cbranch_execz .LBB6_251
.LBB6_255:                              ;   in Loop: Header=BB6_252 Depth=3
	s_sleep 1
	s_trap 2
	ds_load_b64 v[4:5], v0
	s_wait_dscnt 0x0
	s_and_not1_b32 s73, s73, exec_lo
	v_cmp_ge_u64_e32 vcc_lo, v[4:5], v[80:81]
	s_or_not1_b32 s77, vcc_lo, exec_lo
	s_branch .LBB6_251
.LBB6_256:                              ;   in Loop: Header=BB6_199 Depth=2
	s_or_b32 exec_lo, exec_lo, s45
	s_and_saveexec_b32 s45, s72
	s_delay_alu instid0(SALU_CYCLE_1)
	s_xor_b32 s45, exec_lo, s45
	s_cbranch_execz .LBB6_258
; %bb.257:                              ;   in Loop: Header=BB6_199 Depth=2
	ds_store_b32 v0, v43
	s_trap 2
.LBB6_258:                              ;   in Loop: Header=BB6_199 Depth=2
	s_or_b32 exec_lo, exec_lo, s44
	;;#ASMSTART
	s_wakeup
	;;#ASMEND
.LBB6_259:                              ;   in Loop: Header=BB6_199 Depth=2
	s_or_b32 exec_lo, exec_lo, s41
.LBB6_260:                              ;   in Loop: Header=BB6_199 Depth=2
	s_and_not1_saveexec_b32 s18, s18
	s_cbranch_execz .LBB6_262
; %bb.261:                              ;   in Loop: Header=BB6_199 Depth=2
	;;#ASMSTART
	s_waitcnt lgkmcnt(0) vmcnt(0)
	;;#ASMEND
	s_barrier_signal -1
	s_barrier_wait -1
.LBB6_262:                              ;   in Loop: Header=BB6_199 Depth=2
	s_or_b32 exec_lo, exec_lo, s18
	v_and_b32_e32 v0, 16, v30
.LBB6_263:                              ;   in Loop: Header=BB6_199 Depth=2
	s_or_b32 exec_lo, exec_lo, s13
	s_delay_alu instid0(SALU_CYCLE_1) | instskip(NEXT) | instid1(VALU_DEP_1)
	s_mov_b32 s13, exec_lo
	v_cmpx_ne_u32_e32 0, v0
	s_cbranch_execz .LBB6_198
; %bb.264:                              ;   in Loop: Header=BB6_199 Depth=2
	s_and_saveexec_b32 s18, s5
	s_cbranch_execz .LBB6_197
; %bb.265:                              ;   in Loop: Header=BB6_199 Depth=2
	global_wb scope:SCOPE_SYS
	s_wait_storecnt 0x0
	s_wait_loadcnt_dscnt 0x0
	flat_store_b32 v[70:71], v43 scope:SCOPE_SYS
	s_branch .LBB6_197
.LBB6_266:                              ;   in Loop: Header=BB6_47 Depth=1
	s_or_b32 exec_lo, exec_lo, s15
.LBB6_267:                              ;   in Loop: Header=BB6_47 Depth=1
	s_delay_alu instid0(SALU_CYCLE_1) | instskip(NEXT) | instid1(SALU_CYCLE_1)
	s_or_b32 exec_lo, exec_lo, s14
	s_and_not1_b32 vcc_lo, exec_lo, s58
	scratch_store_b64 off, v[76:77], s33 offset:272 ; 8-byte Folded Spill
	s_cbranch_vccnz .LBB6_4160
; %bb.268:                              ;   in Loop: Header=BB6_47 Depth=1
	s_mov_b32 s18, 2
	s_branch .LBB6_271
.LBB6_269:                              ;   in Loop: Header=BB6_271 Depth=2
	s_or_b32 exec_lo, exec_lo, s15
.LBB6_270:                              ;   in Loop: Header=BB6_271 Depth=2
	s_delay_alu instid0(SALU_CYCLE_1) | instskip(SKIP_1) | instid1(SALU_CYCLE_1)
	s_or_b32 exec_lo, exec_lo, s14
	s_add_co_i32 s18, s18, 1
	s_cmp_eq_u32 s18, s16
	s_cbranch_scc1 .LBB6_4160
.LBB6_271:                              ;   Parent Loop BB6_47 Depth=1
                                        ; =>  This Loop Header: Depth=2
                                        ;       Child Loop BB6_274 Depth 3
                                        ;         Child Loop BB6_282 Depth 4
                                        ;         Child Loop BB6_310 Depth 4
	;; [unrolled: 1-line block ×9, first 2 shown]
                                        ;       Child Loop BB6_4088 Depth 3
                                        ;         Child Loop BB6_4094 Depth 4
                                        ;         Child Loop BB6_4122 Depth 4
                                        ;         Child Loop BB6_4141 Depth 4
	s_clause 0x1
	scratch_load_b64 v[4:5], off, s33 offset:232
	scratch_load_b64 v[0:1], off, s33 offset:224
	s_sub_co_i32 s13, s56, s18
	s_mov_b32 s44, 0
	s_cmp_ge_i32 s13, s16
	s_wait_xcnt 0x2
	v_mov_b32_e32 v76, 0
	s_cselect_b32 s14, s16, 0
	s_delay_alu instid0(SALU_CYCLE_1) | instskip(NEXT) | instid1(SALU_CYCLE_1)
	s_sub_co_i32 s14, s13, s14
	s_ashr_i32 s15, s14, 31
	s_wait_loadcnt 0x1
	v_mul_u64_e32 v[78:79], s[14:15], v[4:5]
	s_wait_loadcnt 0x0
	s_delay_alu instid0(VALU_DEP_1) | instskip(NEXT) | instid1(VALU_DEP_1)
	v_sub_nc_u64_e32 v[0:1], v[0:1], v[78:79]
	v_min_i64 v[4:5], v[4:5], v[0:1]
	s_delay_alu instid0(VALU_DEP_1) | instskip(SKIP_1) | instid1(VALU_DEP_2)
	v_max_i32_e32 v110, 0, v4
	v_cmp_lt_i32_e32 vcc_lo, 0, v4
	v_add_nc_u32_e32 v0, 31, v110
	s_and_b32 s13, s61, vcc_lo
	s_delay_alu instid0(VALU_DEP_1) | instskip(NEXT) | instid1(VALU_DEP_1)
	v_lshrrev_b32_e32 v0, 1, v0
	v_and_b32_e32 v1, 0x3ffffff0, v0
	s_delay_alu instid0(VALU_DEP_1)
	v_dual_mov_b32 v0, 0 :: v_dual_max_i32 v74, s57, v1
	s_wait_xcnt 0x0
	s_and_saveexec_b32 s41, s13
	s_cbranch_execz .LBB6_4085
; %bb.272:                              ;   in Loop: Header=BB6_271 Depth=2
	v_mov_b32_e32 v76, 0
	s_mov_b32 s72, 1
	s_mov_b32 s45, -1
	s_branch .LBB6_274
.LBB6_273:                              ;   in Loop: Header=BB6_274 Depth=3
	s_wait_xcnt 0x0
	s_or_b32 exec_lo, exec_lo, s13
	v_dual_add_nc_u32 v76, v74, v76 :: v_dual_mov_b32 v0, s72
	s_xor_b32 s13, s45, -1
	s_mov_b32 s45, 0
	s_mov_b32 s72, 2
	s_delay_alu instid0(VALU_DEP_1) | instskip(SKIP_1) | instid1(SALU_CYCLE_1)
	v_cmp_ge_i32_e32 vcc_lo, v76, v110
	s_or_b32 s13, s13, vcc_lo
	s_and_b32 s13, exec_lo, s13
	s_delay_alu instid0(SALU_CYCLE_1) | instskip(NEXT) | instid1(SALU_CYCLE_1)
	s_or_b32 s44, s13, s44
	s_and_not1_b32 exec_lo, exec_lo, s44
	s_cbranch_execz .LBB6_4084
.LBB6_274:                              ;   Parent Loop BB6_47 Depth=1
                                        ;     Parent Loop BB6_271 Depth=2
                                        ; =>    This Loop Header: Depth=3
                                        ;         Child Loop BB6_282 Depth 4
                                        ;         Child Loop BB6_310 Depth 4
	;; [unrolled: 1-line block ×9, first 2 shown]
	s_and_saveexec_b32 s13, s0
	s_cbranch_execz .LBB6_276
; %bb.275:                              ;   in Loop: Header=BB6_274 Depth=3
	s_trap 2
	scratch_load_b64 v[4:5], off, s33 offset:196 ; 8-byte Folded Reload
	ds_load_b64 v[0:1], v0
	v_ashrrev_i32_e32 v77, 31, v76
	s_wait_loadcnt_dscnt 0x0
	v_add_nc_u64_e32 v[0:1], v[0:1], v[4:5]
	s_delay_alu instid0(VALU_DEP_1) | instskip(NEXT) | instid1(VALU_DEP_1)
	v_add_nc_u64_e32 v[0:1], v[0:1], v[78:79]
	v_add_nc_u64_e32 v[0:1], v[0:1], v[76:77]
	ds_store_b64 v0, v[0:1]
	v_mov_b64_e32 v[0:1], 0
	ds_store_b64 v0, v[0:1]
.LBB6_276:                              ;   in Loop: Header=BB6_274 Depth=3
	s_wait_xcnt 0x0
	s_or_b32 exec_lo, exec_lo, s13
	v_dual_sub_nc_u32 v0, v110, v76 :: v_dual_bitop2_b32 v1, 12, v30 bitop3:0x40
	s_mov_b32 s14, exec_lo
	s_delay_alu instid0(VALU_DEP_1) | instskip(NEXT) | instid1(VALU_DEP_2)
	v_min_i32_e32 v74, v74, v0
	v_cmpx_ne_u32_e32 0, v1
	s_cbranch_execz .LBB6_302
; %bb.277:                              ;   in Loop: Header=BB6_274 Depth=3
	v_and_b32_e32 v2, 8, v30
	v_add_nc_u64_e32 v[8:9], 2, v[60:61]
	s_mov_b32 s15, exec_lo
	s_wait_loadcnt_dscnt 0x1
	s_delay_alu instid0(VALU_DEP_2) | instskip(NEXT) | instid1(VALU_DEP_1)
	v_add_nc_u64_e32 v[0:1], v[82:83], v[2:3]
	v_cmpx_lt_u64_e64 v[0:1], v[8:9]
	s_cbranch_execz .LBB6_289
; %bb.278:                              ;   in Loop: Header=BB6_274 Depth=3
	v_and_b32_e32 v0, 64, v30
	s_mov_b32 s73, 0
	s_mov_b32 s77, 0
                                        ; implicit-def: $sgpr74
                                        ; implicit-def: $sgpr75
                                        ; implicit-def: $sgpr76
	s_delay_alu instid0(VALU_DEP_1)
	v_cmp_eq_u32_e32 vcc_lo, 0, v0
	s_branch .LBB6_282
.LBB6_279:                              ;   in Loop: Header=BB6_282 Depth=4
	s_wait_loadcnt_dscnt 0x0
	v_add_nc_u64_e32 v[4:5], v[82:83], v[2:3]
	s_or_b32 s88, s88, exec_lo
	s_delay_alu instid0(VALU_DEP_1)
	v_cmp_ge_u64_e64 s13, v[4:5], v[8:9]
	s_or_not1_b32 s79, s13, exec_lo
.LBB6_280:                              ;   in Loop: Header=BB6_282 Depth=4
	s_or_b32 exec_lo, exec_lo, s90
	s_delay_alu instid0(SALU_CYCLE_1)
	s_and_not1_b32 s13, s76, exec_lo
	s_and_b32 s76, s88, exec_lo
	s_and_not1_b32 s75, s75, exec_lo
	s_and_b32 s79, s79, exec_lo
	s_or_b32 s76, s13, s76
	s_or_b32 s75, s75, s79
.LBB6_281:                              ;   in Loop: Header=BB6_282 Depth=4
	s_or_b32 exec_lo, exec_lo, s78
	s_delay_alu instid0(SALU_CYCLE_1) | instskip(NEXT) | instid1(SALU_CYCLE_1)
	s_and_b32 s13, exec_lo, s75
	s_or_b32 s73, s13, s73
	s_and_not1_b32 s13, s74, exec_lo
	s_and_b32 s74, s76, exec_lo
	s_delay_alu instid0(SALU_CYCLE_1)
	s_or_b32 s74, s13, s74
	s_and_not1_b32 exec_lo, exec_lo, s73
	s_cbranch_execz .LBB6_286
.LBB6_282:                              ;   Parent Loop BB6_47 Depth=1
                                        ;     Parent Loop BB6_271 Depth=2
                                        ;       Parent Loop BB6_274 Depth=3
                                        ; =>      This Inner Loop Header: Depth=4
	s_sleep 1
	s_wait_loadcnt_dscnt 0x0
	flat_load_b64 v[82:83], v[64:65] scope:SCOPE_SYS
	s_or_b32 s76, s76, exec_lo
	s_or_b32 s75, s75, exec_lo
                                        ; implicit-def: $vgpr1
	s_wait_xcnt 0x0
	s_and_saveexec_b32 s78, vcc_lo
	s_cbranch_execz .LBB6_281
; %bb.283:                              ;   in Loop: Header=BB6_282 Depth=4
	s_cmp_lt_i32 s77, 0x270f
	s_mov_b32 s79, -1
	s_cselect_b32 s89, -1, 0
	s_cmp_gt_i32 s77, 0x270e
	s_cbranch_scc0 .LBB6_285
; %bb.284:                              ;   in Loop: Header=BB6_282 Depth=4
	s_trap 2
	ds_load_b64 v[0:1], v0
	s_and_not1_b32 s77, s89, exec_lo
	s_mov_b32 s88, 0
	s_wait_storecnt 0x0
	s_wait_loadcnt_dscnt 0x0
	flat_load_b32 v1, v[0:1] scope:SCOPE_SYS
	s_wait_loadcnt_dscnt 0x0
	global_inv scope:SCOPE_SYS
	v_cmp_eq_u32_e64 s13, 0, v1
	s_and_b32 s13, s13, exec_lo
	s_delay_alu instid0(SALU_CYCLE_1)
	s_or_b32 s89, s77, s13
	s_mov_b32 s77, 0
	s_wait_xcnt 0x0
	s_and_saveexec_b32 s90, s89
	s_cbranch_execz .LBB6_280
	s_branch .LBB6_279
.LBB6_285:                              ;   in Loop: Header=BB6_282 Depth=4
	s_add_co_i32 s77, s77, 1
	s_mov_b32 s88, -1
                                        ; implicit-def: $vgpr1
	s_and_saveexec_b32 s90, s89
	s_cbranch_execz .LBB6_280
	s_branch .LBB6_279
.LBB6_286:                              ;   in Loop: Header=BB6_274 Depth=3
	s_or_b32 exec_lo, exec_lo, s73
	s_xor_b32 s13, s74, -1
	s_delay_alu instid0(SALU_CYCLE_1) | instskip(NEXT) | instid1(SALU_CYCLE_1)
	s_and_saveexec_b32 s73, s13
	s_xor_b32 s13, exec_lo, s73
	s_cbranch_execz .LBB6_288
; %bb.287:                              ;   in Loop: Header=BB6_274 Depth=3
	v_or_b32_e32 v30, 64, v30
	s_wait_storecnt 0x0
	s_wait_loadcnt_dscnt 0x0
	ds_store_b32 v0, v1
	s_trap 2
.LBB6_288:                              ;   in Loop: Header=BB6_274 Depth=3
	s_or_b32 exec_lo, exec_lo, s13
.LBB6_289:                              ;   in Loop: Header=BB6_274 Depth=3
	s_delay_alu instid0(SALU_CYCLE_1) | instskip(SKIP_3) | instid1(VALU_DEP_1)
	s_or_b32 exec_lo, exec_lo, s15
	v_and_b32_e32 v0, 0x108, v30
	s_mov_b32 s13, exec_lo
	;;#ASMSTART
	s_wakeup
	;;#ASMEND
                                        ; implicit-def: $vgpr10_vgpr11
	v_cmpx_ne_u32_e32 0x108, v0
	s_xor_b32 s13, exec_lo, s13
; %bb.290:                              ;   in Loop: Header=BB6_274 Depth=3
	v_dual_mov_b32 v11, v3 :: v_dual_bitop2_b32 v10, 7, v60 bitop3:0x40
                                        ; implicit-def: $vgpr60_vgpr61
; %bb.291:                              ;   in Loop: Header=BB6_274 Depth=3
	s_and_not1_saveexec_b32 s13, s13
	s_cbranch_execz .LBB6_293
; %bb.292:                              ;   in Loop: Header=BB6_274 Depth=3
	v_dual_ashrrev_i32 v75, 31, v74 :: v_dual_bitop2_b32 v10, 7, v60 bitop3:0x40
	v_mov_b32_e32 v11, v3
	s_delay_alu instid0(VALU_DEP_2)
	v_mad_nc_u64_u32 v[0:1], v10, 24, v[6:7]
	flat_store_b64 v[0:1], v[74:75] offset:8
.LBB6_293:                              ;   in Loop: Header=BB6_274 Depth=3
	s_wait_xcnt 0x0
	s_or_b32 exec_lo, exec_lo, s13
	v_and_b32_e32 v0, 0x100, v30
	s_mov_b32 s13, -1
	s_mov_b32 s15, exec_lo
                                        ; implicit-def: $vgpr12_vgpr13
	s_delay_alu instid0(VALU_DEP_1)
	v_cmpx_ne_u32_e32 0, v0
	s_cbranch_execz .LBB6_297
; %bb.294:                              ;   in Loop: Header=BB6_274 Depth=3
	v_mad_nc_u64_u32 v[14:15], v10, 24, v[6:7]
	s_mov_b32 s73, exec_lo
                                        ; implicit-def: $vgpr12_vgpr13
	s_delay_alu instid0(VALU_DEP_1)
	v_mad_u32 v15, v11, 24, v15
	flat_load_b32 v0, v[14:15]
	s_wait_loadcnt_dscnt 0x0
	v_cmp_ne_u32_e32 vcc_lo, 1, v0
	s_wait_xcnt 0x0
	v_cmpx_eq_u32_e32 1, v0
	s_cbranch_execz .LBB6_296
; %bb.295:                              ;   in Loop: Header=BB6_274 Depth=3
	flat_load_b32 v12, v[14:15] offset:4 scope:SCOPE_SYS
	s_wait_loadcnt_dscnt 0x0
	v_ashrrev_i32_e32 v13, 31, v12
.LBB6_296:                              ;   in Loop: Header=BB6_274 Depth=3
	s_wait_xcnt 0x0
	s_or_b32 exec_lo, exec_lo, s73
	s_delay_alu instid0(SALU_CYCLE_1)
	s_or_not1_b32 s13, vcc_lo, exec_lo
.LBB6_297:                              ;   in Loop: Header=BB6_274 Depth=3
	s_or_b32 exec_lo, exec_lo, s15
	s_and_saveexec_b32 s15, s13
	s_cbranch_execz .LBB6_299
; %bb.298:                              ;   in Loop: Header=BB6_274 Depth=3
	scratch_load_b64 v[0:1], off, s33 offset:204 ; 8-byte Folded Reload
	s_wait_loadcnt 0x0
	v_mul_u64_e32 v[12:13], v[10:11], v[0:1]
.LBB6_299:                              ;   in Loop: Header=BB6_274 Depth=3
	s_wait_xcnt 0x0
	s_or_b32 exec_lo, exec_lo, s15
	v_cmp_eq_u32_e32 vcc_lo, 0, v2
	s_delay_alu instid0(VALU_DEP_2) | instskip(SKIP_3) | instid1(VALU_DEP_1)
	v_add_nc_u64_e32 v[0:1], v[68:69], v[12:13]
	v_and_b32_e32 v4, 0x2000, v30
	s_mov_b32 s13, exec_lo
	v_cndmask_b32_e32 v2, 0xc8, v94, vcc_lo
	v_add_nc_u32_e32 v2, v0, v2
	ds_store_b64 v2, v[0:1] offset:584
	v_cmpx_ne_u32_e32 0, v4
	s_cbranch_execz .LBB6_301
; %bb.300:                              ;   in Loop: Header=BB6_274 Depth=3
	ds_load_b64 v[0:1], v0 offset:872
	s_wait_dscnt 0x0
	v_add_nc_u64_e32 v[0:1], 1, v[0:1]
	ds_store_b64 v0, v[0:1] offset:872
.LBB6_301:                              ;   in Loop: Header=BB6_274 Depth=3
	s_or_b32 exec_lo, exec_lo, s13
	v_mov_b64_e32 v[60:61], v[8:9]
.LBB6_302:                              ;   in Loop: Header=BB6_274 Depth=3
	s_or_b32 exec_lo, exec_lo, s14
	s_and_saveexec_b32 s13, s2
	s_cbranch_execz .LBB6_321
; %bb.303:                              ;   in Loop: Header=BB6_274 Depth=3
	s_and_saveexec_b32 s14, s3
	s_delay_alu instid0(SALU_CYCLE_1)
	s_xor_b32 s14, exec_lo, s14
	s_cbranch_execz .LBB6_318
; %bb.304:                              ;   in Loop: Header=BB6_274 Depth=3
	s_and_saveexec_b32 s15, s6
	s_cbranch_execz .LBB6_317
; %bb.305:                              ;   in Loop: Header=BB6_274 Depth=3
	s_mov_b32 s74, exec_lo
	s_mov_b32 s73, exec_lo
	v_mbcnt_lo_u32_b32 v0, s74, 0
	global_wb scope:SCOPE_DEV
	s_wait_storecnt 0x0
	s_wait_loadcnt_dscnt 0x0
	global_inv scope:SCOPE_DEV
	v_cmpx_eq_u32_e32 0, v0
	s_cbranch_execz .LBB6_307
; %bb.306:                              ;   in Loop: Header=BB6_274 Depth=3
	s_bcnt1_i32_b32 s74, s74
	s_delay_alu instid0(SALU_CYCLE_1)
	v_mov_b32_e32 v2, s74
	s_wait_loadcnt 0x0
	ds_add_u64 v0, v[2:3]
	s_trap 2
.LBB6_307:                              ;   in Loop: Header=BB6_274 Depth=3
	s_or_b32 exec_lo, exec_lo, s73
	s_trap 2
	ds_load_b64 v[0:1], v0
	s_wait_dscnt 0x0
	v_add_nc_u64_e32 v[80:81], v[80:81], v[84:85]
	s_mov_b32 s73, exec_lo
	s_delay_alu instid0(VALU_DEP_1)
	v_cmpx_lt_u64_e64 v[0:1], v[80:81]
	s_cbranch_execz .LBB6_316
; %bb.308:                              ;   in Loop: Header=BB6_274 Depth=3
	s_mov_b32 s74, 0
	s_mov_b32 s77, 0
                                        ; implicit-def: $sgpr75
                                        ; implicit-def: $sgpr76
	s_branch .LBB6_310
.LBB6_309:                              ;   in Loop: Header=BB6_310 Depth=4
	s_or_b32 exec_lo, exec_lo, s79
	s_delay_alu instid0(SALU_CYCLE_1) | instskip(NEXT) | instid1(SALU_CYCLE_1)
	s_and_b32 s78, exec_lo, s88
	s_or_b32 s74, s78, s74
	s_and_not1_b32 s75, s75, exec_lo
	s_and_b32 s78, s76, exec_lo
	s_delay_alu instid0(SALU_CYCLE_1)
	s_or_b32 s75, s75, s78
	s_and_not1_b32 exec_lo, exec_lo, s74
	s_cbranch_execz .LBB6_314
.LBB6_310:                              ;   Parent Loop BB6_47 Depth=1
                                        ;     Parent Loop BB6_271 Depth=2
                                        ;       Parent Loop BB6_274 Depth=3
                                        ; =>      This Inner Loop Header: Depth=4
	s_add_co_i32 s77, s77, 1
	s_delay_alu instid0(SALU_CYCLE_1) | instskip(SKIP_1) | instid1(SALU_CYCLE_1)
	s_cmp_lg_u32 s77, 0x2710
	s_cselect_b32 s78, -1, 0
	s_and_b32 vcc_lo, exec_lo, s78
	s_cbranch_vccz .LBB6_312
; %bb.311:                              ;   in Loop: Header=BB6_310 Depth=4
	s_mov_b32 s88, -1
	s_or_b32 s76, s76, exec_lo
	s_and_saveexec_b32 s79, s78
	s_cbranch_execz .LBB6_309
	s_branch .LBB6_313
.LBB6_312:                              ;   in Loop: Header=BB6_310 Depth=4
	s_trap 2
	ds_load_b64 v[0:1], v0
	s_and_not1_b32 s78, s78, exec_lo
	s_mov_b32 s77, 0
	s_wait_loadcnt_dscnt 0x0
	flat_load_b32 v0, v[0:1] scope:SCOPE_SYS
	s_wait_loadcnt_dscnt 0x0
	global_inv scope:SCOPE_SYS
	v_cmp_eq_u32_e32 vcc_lo, 0, v0
	s_and_b32 s79, vcc_lo, exec_lo
	s_delay_alu instid0(SALU_CYCLE_1)
	s_or_b32 s78, s78, s79
	s_mov_b32 s88, -1
	s_or_b32 s76, s76, exec_lo
	s_wait_xcnt 0x0
	s_and_saveexec_b32 s79, s78
	s_cbranch_execz .LBB6_309
.LBB6_313:                              ;   in Loop: Header=BB6_310 Depth=4
	s_sleep 1
	s_trap 2
	ds_load_b64 v[0:1], v0
	s_wait_dscnt 0x0
	s_and_not1_b32 s76, s76, exec_lo
	v_cmp_ge_u64_e32 vcc_lo, v[0:1], v[80:81]
	s_or_not1_b32 s88, vcc_lo, exec_lo
	s_branch .LBB6_309
.LBB6_314:                              ;   in Loop: Header=BB6_274 Depth=3
	s_or_b32 exec_lo, exec_lo, s74
	s_and_saveexec_b32 s74, s75
	s_delay_alu instid0(SALU_CYCLE_1)
	s_xor_b32 s74, exec_lo, s74
	s_cbranch_execz .LBB6_316
; %bb.315:                              ;   in Loop: Header=BB6_274 Depth=3
	ds_store_b32 v0, v43
	s_trap 2
.LBB6_316:                              ;   in Loop: Header=BB6_274 Depth=3
	s_or_b32 exec_lo, exec_lo, s73
	;;#ASMSTART
	s_wakeup
	;;#ASMEND
.LBB6_317:                              ;   in Loop: Header=BB6_274 Depth=3
	s_or_b32 exec_lo, exec_lo, s15
.LBB6_318:                              ;   in Loop: Header=BB6_274 Depth=3
	s_and_not1_saveexec_b32 s14, s14
	s_cbranch_execz .LBB6_320
; %bb.319:                              ;   in Loop: Header=BB6_274 Depth=3
	global_wb scope:SCOPE_DEV
	s_wait_storecnt 0x0
	s_wait_loadcnt_dscnt 0x0
	global_inv scope:SCOPE_DEV
	s_barrier_signal -1
	s_barrier_wait -1
.LBB6_320:                              ;   in Loop: Header=BB6_274 Depth=3
	s_or_b32 exec_lo, exec_lo, s14
.LBB6_321:                              ;   in Loop: Header=BB6_274 Depth=3
	s_delay_alu instid0(SALU_CYCLE_1) | instskip(SKIP_4) | instid1(VALU_DEP_1)
	s_or_b32 exec_lo, exec_lo, s13
	s_trap 2
	ds_load_b32 v1, v0
	v_and_b32_e32 v0, 0x4000, v30
	s_xor_b32 s13, s1, -1
	v_cmp_ne_u32_e32 vcc_lo, 0, v0
	s_and_b32 s14, s13, vcc_lo
	s_delay_alu instid0(SALU_CYCLE_1)
	s_and_saveexec_b32 s13, s14
	s_cbranch_execz .LBB6_340
; %bb.322:                              ;   in Loop: Header=BB6_274 Depth=3
	s_and_saveexec_b32 s14, s3
	s_delay_alu instid0(SALU_CYCLE_1)
	s_xor_b32 s14, exec_lo, s14
	s_cbranch_execz .LBB6_337
; %bb.323:                              ;   in Loop: Header=BB6_274 Depth=3
	s_and_saveexec_b32 s15, s6
	s_cbranch_execz .LBB6_336
; %bb.324:                              ;   in Loop: Header=BB6_274 Depth=3
	s_mov_b32 s74, exec_lo
	s_mov_b32 s73, exec_lo
	v_mbcnt_lo_u32_b32 v0, s74, 0
	global_wb scope:SCOPE_DEV
	s_wait_storecnt 0x0
	s_wait_loadcnt_dscnt 0x0
	global_inv scope:SCOPE_DEV
	v_cmpx_eq_u32_e32 0, v0
	s_cbranch_execz .LBB6_326
; %bb.325:                              ;   in Loop: Header=BB6_274 Depth=3
	s_bcnt1_i32_b32 s74, s74
	s_delay_alu instid0(SALU_CYCLE_1)
	v_mov_b32_e32 v2, s74
	s_wait_loadcnt 0x0
	ds_add_u64 v0, v[2:3]
	s_trap 2
.LBB6_326:                              ;   in Loop: Header=BB6_274 Depth=3
	s_or_b32 exec_lo, exec_lo, s73
	s_trap 2
	ds_load_b64 v[4:5], v0
	s_wait_dscnt 0x0
	v_add_nc_u64_e32 v[80:81], v[80:81], v[84:85]
	s_mov_b32 s73, exec_lo
	s_delay_alu instid0(VALU_DEP_1)
	v_cmpx_lt_u64_e64 v[4:5], v[80:81]
	s_cbranch_execz .LBB6_335
; %bb.327:                              ;   in Loop: Header=BB6_274 Depth=3
	s_mov_b32 s74, 0
	s_mov_b32 s77, 0
                                        ; implicit-def: $sgpr75
                                        ; implicit-def: $sgpr76
	s_branch .LBB6_329
.LBB6_328:                              ;   in Loop: Header=BB6_329 Depth=4
	s_or_b32 exec_lo, exec_lo, s79
	s_delay_alu instid0(SALU_CYCLE_1) | instskip(NEXT) | instid1(SALU_CYCLE_1)
	s_and_b32 s78, exec_lo, s88
	s_or_b32 s74, s78, s74
	s_and_not1_b32 s75, s75, exec_lo
	s_and_b32 s78, s76, exec_lo
	s_delay_alu instid0(SALU_CYCLE_1)
	s_or_b32 s75, s75, s78
	s_and_not1_b32 exec_lo, exec_lo, s74
	s_cbranch_execz .LBB6_333
.LBB6_329:                              ;   Parent Loop BB6_47 Depth=1
                                        ;     Parent Loop BB6_271 Depth=2
                                        ;       Parent Loop BB6_274 Depth=3
                                        ; =>      This Inner Loop Header: Depth=4
	s_add_co_i32 s77, s77, 1
	s_delay_alu instid0(SALU_CYCLE_1) | instskip(SKIP_1) | instid1(SALU_CYCLE_1)
	s_cmp_lg_u32 s77, 0x2710
	s_cselect_b32 s78, -1, 0
	s_and_b32 vcc_lo, exec_lo, s78
	s_cbranch_vccz .LBB6_331
; %bb.330:                              ;   in Loop: Header=BB6_329 Depth=4
	s_mov_b32 s88, -1
	s_or_b32 s76, s76, exec_lo
	s_and_saveexec_b32 s79, s78
	s_cbranch_execz .LBB6_328
	s_branch .LBB6_332
.LBB6_331:                              ;   in Loop: Header=BB6_329 Depth=4
	s_trap 2
	ds_load_b64 v[4:5], v0
	s_and_not1_b32 s78, s78, exec_lo
	s_mov_b32 s77, 0
	s_wait_loadcnt_dscnt 0x0
	flat_load_b32 v0, v[4:5] scope:SCOPE_SYS
	s_wait_loadcnt_dscnt 0x0
	global_inv scope:SCOPE_SYS
	v_cmp_eq_u32_e32 vcc_lo, 0, v0
	s_and_b32 s79, vcc_lo, exec_lo
	s_delay_alu instid0(SALU_CYCLE_1)
	s_or_b32 s78, s78, s79
	s_mov_b32 s88, -1
	s_or_b32 s76, s76, exec_lo
	s_wait_xcnt 0x0
	s_and_saveexec_b32 s79, s78
	s_cbranch_execz .LBB6_328
.LBB6_332:                              ;   in Loop: Header=BB6_329 Depth=4
	s_sleep 1
	s_trap 2
	ds_load_b64 v[4:5], v0
	s_wait_dscnt 0x0
	s_and_not1_b32 s76, s76, exec_lo
	v_cmp_ge_u64_e32 vcc_lo, v[4:5], v[80:81]
	s_or_not1_b32 s88, vcc_lo, exec_lo
	s_branch .LBB6_328
.LBB6_333:                              ;   in Loop: Header=BB6_274 Depth=3
	s_or_b32 exec_lo, exec_lo, s74
	s_and_saveexec_b32 s74, s75
	s_delay_alu instid0(SALU_CYCLE_1)
	s_xor_b32 s74, exec_lo, s74
	s_cbranch_execz .LBB6_335
; %bb.334:                              ;   in Loop: Header=BB6_274 Depth=3
	ds_store_b32 v0, v43
	s_trap 2
.LBB6_335:                              ;   in Loop: Header=BB6_274 Depth=3
	s_or_b32 exec_lo, exec_lo, s73
	;;#ASMSTART
	s_wakeup
	;;#ASMEND
.LBB6_336:                              ;   in Loop: Header=BB6_274 Depth=3
	s_or_b32 exec_lo, exec_lo, s15
.LBB6_337:                              ;   in Loop: Header=BB6_274 Depth=3
	s_and_not1_saveexec_b32 s14, s14
	s_cbranch_execz .LBB6_339
; %bb.338:                              ;   in Loop: Header=BB6_274 Depth=3
	global_wb scope:SCOPE_DEV
	s_wait_storecnt 0x0
	s_wait_loadcnt_dscnt 0x0
	global_inv scope:SCOPE_DEV
	s_barrier_signal -1
	s_barrier_wait -1
.LBB6_339:                              ;   in Loop: Header=BB6_274 Depth=3
	s_or_b32 exec_lo, exec_lo, s14
.LBB6_340:                              ;   in Loop: Header=BB6_274 Depth=3
	s_delay_alu instid0(SALU_CYCLE_1)
	s_or_b32 exec_lo, exec_lo, s13
	s_trap 2
	ds_load_b64 v[88:89], v0
	s_wait_dscnt 0x0
	v_cmp_eq_u64_e32 vcc_lo, 0, v[88:89]
	s_cbranch_vccnz .LBB6_348
; %bb.341:                              ;   in Loop: Header=BB6_274 Depth=3
	s_trap 2
	ds_load_b64 v[90:91], v0
	s_wait_dscnt 0x0
	v_cmp_eq_u64_e32 vcc_lo, 0, v[90:91]
	s_cbranch_vccnz .LBB6_348
; %bb.342:                              ;   in Loop: Header=BB6_274 Depth=3
	s_mov_b32 s13, -1
	s_and_saveexec_b32 s14, s12
	s_cbranch_execz .LBB6_344
; %bb.343:                              ;   in Loop: Header=BB6_274 Depth=3
	ds_load_b32 v0, v0 offset:720
	s_wait_dscnt 0x0
	v_and_b32_e32 v0, 15, v0
	s_delay_alu instid0(VALU_DEP_1)
	v_cmp_eq_u32_e32 vcc_lo, 0, v0
	s_or_not1_b32 s13, vcc_lo, exec_lo
.LBB6_344:                              ;   in Loop: Header=BB6_274 Depth=3
	s_or_b32 exec_lo, exec_lo, s14
	s_and_saveexec_b32 s14, s11
	s_cbranch_execz .LBB6_346
; %bb.345:                              ;   in Loop: Header=BB6_274 Depth=3
	ds_load_b32 v0, v0 offset:784
	s_wait_dscnt 0x0
	v_and_b32_e32 v0, 15, v0
	s_delay_alu instid0(VALU_DEP_1) | instskip(SKIP_3) | instid1(SALU_CYCLE_1)
	v_cmp_eq_u32_e32 vcc_lo, 0, v0
	s_and_b32 s15, s13, vcc_lo
	s_and_not1_b32 s13, s13, exec_lo
	s_and_b32 s15, s15, exec_lo
	s_or_b32 s13, s13, s15
.LBB6_346:                              ;   in Loop: Header=BB6_274 Depth=3
	s_or_b32 exec_lo, exec_lo, s14
	v_cmp_eq_u32_e32 vcc_lo, 0, v1
	s_xor_b32 s13, s13, -1
	s_wait_loadcnt 0x0
	v_mov_b32_e32 v2, v95
	v_cndmask_b32_e64 v0, 0, 1, s13
	s_mov_b32 s13, -1
	v_dual_cndmask_b32 v75, 0, v74, vcc_lo :: v_dual_mov_b32 v1, 0
	v_mov_b32_e32 v5, v42
	s_delay_alu instid0(VALU_DEP_3) | instskip(NEXT) | instid1(VALU_DEP_3)
	v_cmp_ne_u32_e32 vcc_lo, 0, v0
	v_mov_b32_e32 v4, v75
	s_cbranch_vccz .LBB6_353
; %bb.347:                              ;   in Loop: Header=BB6_274 Depth=3
	s_and_saveexec_b32 s14, s13
	s_cbranch_execnz .LBB6_2846
	s_branch .LBB6_4042
.LBB6_348:                              ;   in Loop: Header=BB6_274 Depth=3
	s_mov_b32 s13, 0
	s_and_saveexec_b32 s14, s2
	s_cbranch_execnz .LBB6_4043
.LBB6_349:                              ;   in Loop: Header=BB6_274 Depth=3
	s_or_b32 exec_lo, exec_lo, s14
                                        ; implicit-def: $vgpr0
	s_and_saveexec_b32 s14, s10
	s_delay_alu instid0(SALU_CYCLE_1)
	s_xor_b32 s14, exec_lo, s14
	s_cbranch_execz .LBB6_4061
.LBB6_350:                              ;   in Loop: Header=BB6_274 Depth=3
	v_and_b32_e32 v0, 16, v30
	s_delay_alu instid0(VALU_DEP_1) | instskip(SKIP_2) | instid1(SALU_CYCLE_1)
	v_cmp_ne_u32_e32 vcc_lo, 0, v0
	v_and_b32_e32 v0, 16, v30
	s_and_b32 s15, vcc_lo, s13
	s_and_saveexec_b32 s13, s15
	s_cbranch_execz .LBB6_352
; %bb.351:                              ;   in Loop: Header=BB6_274 Depth=3
	v_mov_b32_e32 v0, 1
	global_wb scope:SCOPE_SYS
	s_wait_storecnt 0x0
	s_wait_loadcnt_dscnt 0x0
	global_inv scope:SCOPE_SYS
.LBB6_352:                              ;   in Loop: Header=BB6_274 Depth=3
	s_or_b32 exec_lo, exec_lo, s13
	s_and_not1_saveexec_b32 s13, s14
	s_cbranch_execz .LBB6_4080
	s_branch .LBB6_4062
.LBB6_353:                              ;   in Loop: Header=BB6_274 Depth=3
	v_ashrrev_i32_e32 v0, 31, v75
	s_mov_b32 s14, exec_lo
	s_delay_alu instid0(VALU_DEP_1) | instskip(NEXT) | instid1(VALU_DEP_1)
	v_lshrrev_b32_e32 v0, 21, v0
	v_add_nc_u32_e32 v0, v75, v0
	s_delay_alu instid0(VALU_DEP_1) | instskip(NEXT) | instid1(VALU_DEP_1)
	v_ashrrev_i32_e32 v54, 11, v0
	v_sub_nc_u32_e32 v77, v54, v95
	s_delay_alu instid0(VALU_DEP_1)
	v_cmpx_lt_i32_e32 0, v77
	s_cbranch_execz .LBB6_2341
; %bb.354:                              ;   in Loop: Header=BB6_274 Depth=3
	s_trap 2
	scratch_load_b64 v[4:5], off, s33 offset:240 ; 8-byte Folded Reload
	ds_load_b64 v[0:1], v0
	s_mov_b32 s15, 0
	s_wait_loadcnt 0x0
	v_add_nc_u64_e32 v[92:93], v[88:89], v[4:5]
	s_wait_dscnt 0x0
	v_add_nc_u64_e32 v[94:95], v[0:1], v[4:5]
	v_add_nc_u64_e32 v[104:105], v[90:91], v[4:5]
	s_branch .LBB6_356
.LBB6_355:                              ;   in Loop: Header=BB6_356 Depth=4
	s_or_b32 exec_lo, exec_lo, s13
	v_lshl_or_b32 v0, v59, 8, v58
	v_dual_lshlrev_b32 v8, 16, v24 :: v_dual_lshlrev_b32 v9, 24, v25
	v_lshl_or_b32 v10, v35, 8, v34
	v_lshlrev_b32_e32 v11, 16, v96
	v_lshl_or_b32 v13, v27, 8, v26
	v_dual_lshlrev_b32 v14, 16, v72 :: v_dual_lshlrev_b32 v15, 24, v73
	v_or3_b32 v9, v0, v8, v9
	v_lshlrev_b32_e32 v0, 24, v97
	v_dual_lshlrev_b32 v21, 24, v21 :: v_dual_lshlrev_b32 v20, 16, v20
	v_lshl_or_b32 v24, v57, 8, v56
	v_lshl_or_b32 v1, v111, 8, v1
	v_dual_lshlrev_b32 v25, 16, v36 :: v_dual_lshlrev_b32 v26, 24, v37
	v_lshl_or_b32 v27, v51, 8, v50
	v_lshlrev_b32_e32 v34, 16, v63
	v_lshlrev_b32_e32 v31, 24, v31
	v_or3_b32 v8, v10, v11, v0
	v_or3_b32 v10, v13, v14, v15
	;; [unrolled: 1-line block ×4, first 2 shown]
	v_lshl_or_b32 v0, v39, 8, v38
	v_dual_lshlrev_b32 v1, 16, v120 :: v_dual_lshlrev_b32 v13, 24, v121
	v_lshl_or_b32 v4, v4, 8, v101
	v_dual_lshlrev_b32 v5, 16, v5 :: v_dual_lshlrev_b32 v21, 24, v106
	v_dual_lshlrev_b32 v14, 24, v33 :: v_dual_lshlrev_b32 v15, 16, v32
	v_lshl_or_b32 v20, v122, 8, v53
	v_or3_b32 v24, v27, v34, v31
	v_lshl_or_b32 v28, v28, 8, v55
	v_dual_lshlrev_b32 v29, 16, v29 :: v_dual_lshlrev_b32 v31, 24, v100
	v_lshl_or_b32 v34, v108, 8, v107
	v_dual_lshlrev_b32 v35, 16, v109 :: v_dual_lshlrev_b32 v36, 24, v98
	v_or3_b32 v26, v0, v1, v13
	v_or3_b32 v33, v4, v5, v21
	v_dual_lshlrev_b32 v0, 24, v49 :: v_dual_lshlrev_b32 v1, 16, v48
	v_lshl_or_b32 v4, v62, 8, v99
	v_or3_b32 v27, v20, v15, v14
	v_lshl_or_b32 v5, v124, 8, v126
	v_dual_lshlrev_b32 v13, 16, v16 :: v_dual_lshlrev_b32 v14, 24, v17
	v_lshl_or_b32 v15, v23, 8, v22
	v_dual_lshlrev_b32 v16, 16, v46 :: v_dual_lshlrev_b32 v17, 24, v47
	;; [unrolled: 2-line block ×3, first 2 shown]
	v_dual_lshlrev_b32 v2, 24, v2 :: v_dual_lshlrev_b32 v21, 16, v12
	v_lshl_or_b32 v22, v67, 8, v66
	v_or3_b32 v32, v28, v29, v31
	v_or3_b32 v34, v34, v35, v36
	;; [unrolled: 1-line block ×3, first 2 shown]
	v_sub_nc_u32_e32 v77, v77, v84
	v_or3_b32 v13, v5, v13, v14
	v_or3_b32 v12, v15, v16, v17
	;; [unrolled: 1-line block ×4, first 2 shown]
	s_clause 0x3
	global_store_b128 v[104:105], v[32:35], off th:TH_STORE_NT
	global_store_b128 v[104:105], v[24:27], off offset:512 th:TH_STORE_NT
	global_store_b128 v[104:105], v[8:11], off offset:1024 th:TH_STORE_NT
	;; [unrolled: 1-line block ×3, first 2 shown]
	v_add_nc_u64_e32 v[92:93], v[92:93], v[116:117]
	v_add_nc_u64_e32 v[94:95], v[94:95], v[116:117]
	v_cmp_gt_i32_e32 vcc_lo, 1, v77
	s_wait_xcnt 0x0
	v_add_nc_u64_e32 v[104:105], v[104:105], v[116:117]
	s_or_b32 s15, vcc_lo, s15
	s_delay_alu instid0(SALU_CYCLE_1)
	s_and_not1_b32 exec_lo, exec_lo, s15
	s_cbranch_execz .LBB6_2340
.LBB6_356:                              ;   Parent Loop BB6_47 Depth=1
                                        ;     Parent Loop BB6_271 Depth=2
                                        ;       Parent Loop BB6_274 Depth=3
                                        ; =>      This Inner Loop Header: Depth=4
	s_clause 0x3
	global_load_b128 v[48:51], v[92:93], off th:TH_LOAD_NT
	global_load_b128 v[32:35], v[92:93], off offset:512 th:TH_LOAD_NT
	global_load_b128 v[20:23], v[92:93], off offset:1024 th:TH_LOAD_NT
	;; [unrolled: 1-line block ×3, first 2 shown]
	s_clause 0x3
	global_load_b128 v[36:39], v[94:95], off th:TH_LOAD_NT
	global_load_b128 v[24:27], v[94:95], off offset:512 th:TH_LOAD_NT
	global_load_b128 v[16:19], v[94:95], off offset:1024 th:TH_LOAD_NT
	;; [unrolled: 1-line block ×3, first 2 shown]
	v_dual_mov_b32 v1, 0 :: v_dual_mov_b32 v2, 0
	s_mov_b32 s13, exec_lo
	s_wait_loadcnt 0x7
	v_and_b32_e32 v0, 0xff, v48
	s_wait_xcnt 0x0
	s_delay_alu instid0(VALU_DEP_1)
	v_cmpx_ne_u16_e32 0, v0
	s_cbranch_execz .LBB6_362
; %bb.357:                              ;   in Loop: Header=BB6_356 Depth=4
	v_bfrev_b32_e32 v2, 1
	s_mov_b32 s73, exec_lo
	v_cmpx_ne_u16_e32 0x80, v0
	s_cbranch_execz .LBB6_361
; %bb.358:                              ;   in Loop: Header=BB6_356 Depth=4
	v_and_b32_e32 v0, 0x7f, v48
	v_mov_b32_e32 v2, 0x7f800001
	s_mov_b32 s74, exec_lo
	s_delay_alu instid0(VALU_DEP_2)
	v_cmpx_ne_u32_e32 0x7f, v0
	s_cbranch_execz .LBB6_360
; %bb.359:                              ;   in Loop: Header=BB6_356 Depth=4
	v_and_b32_e32 v2, 7, v48
	v_lshrrev_b32_e32 v4, 3, v0
	v_cmp_gt_u32_e32 vcc_lo, 8, v0
	s_delay_alu instid0(VALU_DEP_3) | instskip(NEXT) | instid1(VALU_DEP_1)
	v_clz_i32_u32_e32 v0, v2
	v_min_u32_e32 v0, 32, v0
	s_delay_alu instid0(VALU_DEP_1) | instskip(NEXT) | instid1(VALU_DEP_1)
	v_subrev_nc_u32_e32 v2, 28, v0
	v_dual_sub_nc_u32 v0, 29, v0 :: v_dual_cndmask_b32 v2, 0, v2, vcc_lo
	s_delay_alu instid0(VALU_DEP_1) | instskip(NEXT) | instid1(VALU_DEP_2)
	v_cndmask_b32_e32 v0, v4, v0, vcc_lo
	v_lshlrev_b64_e32 v[4:5], v2, v[48:49]
	s_delay_alu instid0(VALU_DEP_2) | instskip(NEXT) | instid1(VALU_DEP_2)
	v_lshl_add_u32 v0, v0, 23, 0x3c000000
	v_lshlrev_b32_e32 v2, 20, v4
	v_lshlrev_b32_e32 v4, 24, v48
	s_delay_alu instid0(VALU_DEP_2) | instskip(NEXT) | instid1(VALU_DEP_2)
	v_and_b32_e32 v2, 0x700000, v2
	v_and_b32_e32 v4, 0x80000000, v4
	s_delay_alu instid0(VALU_DEP_1)
	v_or3_b32 v2, v2, v4, v0
.LBB6_360:                              ;   in Loop: Header=BB6_356 Depth=4
	s_or_b32 exec_lo, exec_lo, s74
.LBB6_361:                              ;   in Loop: Header=BB6_356 Depth=4
	s_delay_alu instid0(SALU_CYCLE_1)
	s_or_b32 exec_lo, exec_lo, s73
.LBB6_362:                              ;   in Loop: Header=BB6_356 Depth=4
	s_delay_alu instid0(SALU_CYCLE_1) | instskip(SKIP_3) | instid1(VALU_DEP_1)
	s_or_b32 exec_lo, exec_lo, s13
	s_wait_loadcnt 0x3
	v_and_b32_e32 v0, 0xff, v36
	s_mov_b32 s13, exec_lo
	v_cmpx_ne_u16_e32 0, v0
	s_cbranch_execz .LBB6_368
; %bb.363:                              ;   in Loop: Header=BB6_356 Depth=4
	v_bfrev_b32_e32 v1, 1
	s_mov_b32 s73, exec_lo
	v_cmpx_ne_u16_e32 0x80, v0
	s_cbranch_execz .LBB6_367
; %bb.364:                              ;   in Loop: Header=BB6_356 Depth=4
	v_and_b32_e32 v0, 0x7f, v36
	v_mov_b32_e32 v1, 0x7f800001
	s_mov_b32 s74, exec_lo
	s_delay_alu instid0(VALU_DEP_2)
	v_cmpx_ne_u32_e32 0x7f, v0
	s_cbranch_execz .LBB6_366
; %bb.365:                              ;   in Loop: Header=BB6_356 Depth=4
	v_and_b32_e32 v1, 7, v36
	v_lshrrev_b32_e32 v4, 3, v0
	v_cmp_gt_u32_e32 vcc_lo, 8, v0
	s_delay_alu instid0(VALU_DEP_3) | instskip(NEXT) | instid1(VALU_DEP_1)
	v_clz_i32_u32_e32 v0, v1
	v_min_u32_e32 v0, 32, v0
	s_delay_alu instid0(VALU_DEP_1) | instskip(SKIP_1) | instid1(VALU_DEP_1)
	v_subrev_nc_u32_e32 v1, 28, v0
	v_sub_nc_u32_e32 v0, 29, v0
	v_dual_cndmask_b32 v4, v4, v0, vcc_lo :: v_dual_cndmask_b32 v0, 0, v1, vcc_lo
	s_delay_alu instid0(VALU_DEP_1) | instskip(NEXT) | instid1(VALU_DEP_2)
	v_lshl_add_u32 v4, v4, 23, 0x3c000000
	v_lshlrev_b64_e32 v[0:1], v0, v[36:37]
	v_lshlrev_b32_e32 v1, 24, v36
	s_delay_alu instid0(VALU_DEP_1) | instskip(NEXT) | instid1(VALU_DEP_3)
	v_and_b32_e32 v1, 0x80000000, v1
	v_lshlrev_b32_e32 v0, 20, v0
	s_delay_alu instid0(VALU_DEP_1) | instskip(NEXT) | instid1(VALU_DEP_1)
	v_and_b32_e32 v0, 0x700000, v0
	v_or3_b32 v1, v0, v1, v4
.LBB6_366:                              ;   in Loop: Header=BB6_356 Depth=4
	s_or_b32 exec_lo, exec_lo, s74
.LBB6_367:                              ;   in Loop: Header=BB6_356 Depth=4
	s_delay_alu instid0(SALU_CYCLE_1)
	s_or_b32 exec_lo, exec_lo, s73
.LBB6_368:                              ;   in Loop: Header=BB6_356 Depth=4
	s_delay_alu instid0(SALU_CYCLE_1) | instskip(NEXT) | instid1(VALU_DEP_1)
	s_or_b32 exec_lo, exec_lo, s13
	v_add_f32_e32 v0, v2, v1
                                        ; implicit-def: $vgpr55
	s_mov_b32 s13, exec_lo
	s_delay_alu instid0(VALU_DEP_1) | instskip(SKIP_1) | instid1(VALU_DEP_2)
	v_and_b32_e32 v2, 0x7f800000, v0
	v_lshrrev_b32_e32 v1, 24, v0
	v_cmpx_ne_u64_e32 0x7f800000, v[2:3]
	s_xor_b32 s73, exec_lo, s13
	s_cbranch_execz .LBB6_382
; %bb.369:                              ;   in Loop: Header=BB6_356 Depth=4
	v_and_b32_e32 v2, 0x7fffffff, v0
	v_and_b32_e32 v1, 0x80, v1
                                        ; implicit-def: $vgpr55
	s_mov_b32 s13, exec_lo
	s_delay_alu instid0(VALU_DEP_2)
	v_cmpx_gt_u64_e32 0x43e00001, v[2:3]
	s_xor_b32 s74, exec_lo, s13
	s_cbranch_execz .LBB6_379
; %bb.370:                              ;   in Loop: Header=BB6_356 Depth=4
	v_mov_b32_e32 v55, 0
	s_mov_b32 s75, exec_lo
	v_cmpx_ne_u32_e32 0, v0
	s_cbranch_execz .LBB6_378
; %bb.371:                              ;   in Loop: Header=BB6_356 Depth=4
	v_bfe_u32 v4, v0, 23, 8
	v_and_b32_e32 v2, 0x7fffff, v0
	s_mov_b32 s76, exec_lo
	s_delay_alu instid0(VALU_DEP_2) | instskip(SKIP_3) | instid1(VALU_DEP_1)
	v_cmp_gt_u32_e64 s13, 0x7a, v4
	v_sub_nc_u32_e32 v0, 0x79, v4
	v_cmp_eq_u32_e32 vcc_lo, 0, v4
	v_or_b32_e32 v5, 0x800000, v2
	v_dual_cndmask_b32 v0, 0, v0, s13 :: v_dual_cndmask_b32 v2, v5, v2, vcc_lo
	s_delay_alu instid0(VALU_DEP_1) | instskip(NEXT) | instid1(VALU_DEP_1)
	v_cndmask_b32_e64 v0, v0, 0x78, vcc_lo
	v_add_nc_u32_e32 v5, 20, v0
	s_delay_alu instid0(VALU_DEP_3) | instskip(NEXT) | instid1(VALU_DEP_2)
	v_lshrrev_b64 v[106:107], v0, v[2:3]
	v_lshlrev_b64_e64 v[28:29], v5, -1
	v_add_nc_u32_e32 v5, 19, v0
	s_delay_alu instid0(VALU_DEP_3) | instskip(NEXT) | instid1(VALU_DEP_2)
	v_mov_b64_e32 v[108:109], v[106:107]
	v_lshlrev_b64_e64 v[52:53], v5, 1
	s_delay_alu instid0(VALU_DEP_4) | instskip(SKIP_1) | instid1(VALU_DEP_1)
	v_bfi_b32 v29, v29, 0, 0
	v_bfi_b32 v28, v28, 0, v2
	v_cmpx_eq_u64_e64 v[28:29], v[52:53]
; %bb.372:                              ;   in Loop: Header=BB6_356 Depth=4
	v_bfe_u32 v2, v106, 20, 1
	s_delay_alu instid0(VALU_DEP_1) | instskip(NEXT) | instid1(VALU_DEP_1)
	v_add_nc_u64_e32 v[28:29], v[106:107], v[2:3]
	v_add_nc_u64_e32 v[108:109], -1, v[28:29]
; %bb.373:                              ;   in Loop: Header=BB6_356 Depth=4
	s_or_b32 exec_lo, exec_lo, s76
	v_add_nc_u32_e32 v2, 0xffffff81, v4
	v_lshrrev_b32_e32 v4, 23, v106
	s_mov_b32 s13, exec_lo
	s_delay_alu instid0(VALU_DEP_2) | instskip(NEXT) | instid1(VALU_DEP_1)
	v_cndmask_b32_e64 v2, v2, 0xffffff82, vcc_lo
	v_add3_u32 v5, v0, v2, v4
	v_and_b32_e32 v0, 0xfffff, v108
	s_delay_alu instid0(VALU_DEP_1) | instskip(NEXT) | instid1(VALU_DEP_1)
	v_dual_add_nc_u32 v4, 6, v5 :: v_dual_add_nc_u32 v2, v0, v106
                                        ; implicit-def: $vgpr106_vgpr107
                                        ; implicit-def: $vgpr0
	v_cmpx_ne_u32_e32 0, v4
	s_xor_b32 s13, exec_lo, s13
; %bb.374:                              ;   in Loop: Header=BB6_356 Depth=4
	s_delay_alu instid0(VALU_DEP_2) | instskip(SKIP_1) | instid1(VALU_DEP_1)
	v_cmp_lt_u64_e32 vcc_lo, 0xffffff, v[2:3]
	v_add_nc_u32_e32 v0, 7, v5
	v_cndmask_b32_e32 v0, v4, v0, vcc_lo
	v_cndmask_b32_e64 v4, 0, 1, vcc_lo
	s_delay_alu instid0(VALU_DEP_1)
	v_lshrrev_b64 v[106:107], v4, v[2:3]
; %bb.375:                              ;   in Loop: Header=BB6_356 Depth=4
	s_and_not1_saveexec_b32 s13, s13
; %bb.376:                              ;   in Loop: Header=BB6_356 Depth=4
	v_mov_b64_e32 v[106:107], v[2:3]
	v_bfe_u32 v0, v2, 23, 1
; %bb.377:                              ;   in Loop: Header=BB6_356 Depth=4
	s_or_b32 exec_lo, exec_lo, s13
	s_delay_alu instid0(VALU_DEP_2) | instskip(NEXT) | instid1(VALU_DEP_2)
	v_lshrrev_b64 v[4:5], 20, v[106:107]
	v_cmp_gt_i32_e32 vcc_lo, 16, v0
	v_min_i32_e32 v2, 15, v0
	v_cmp_eq_u32_e64 s13, 0, v0
	s_delay_alu instid0(VALU_DEP_2) | instskip(SKIP_1) | instid1(VALU_DEP_2)
	v_dual_cndmask_b32 v5, 0, v5 :: v_dual_lshlrev_b32 v2, 3, v2
	v_cndmask_b32_e32 v4, 7, v4, vcc_lo
	v_and_b32_e32 v2, 0xf8, v2
	s_delay_alu instid0(VALU_DEP_2) | instskip(NEXT) | instid1(VALU_DEP_2)
	v_cmp_eq_u64_e32 vcc_lo, 0, v[4:5]
	v_and_or_b32 v0, v4, 7, v2
	s_and_b32 s13, s13, vcc_lo
	s_delay_alu instid0(VALU_DEP_1) | instid1(SALU_CYCLE_1)
	v_cndmask_b32_e64 v0, v0, 0, s13
	s_delay_alu instid0(VALU_DEP_1)
	v_or_b32_e32 v55, v0, v1
.LBB6_378:                              ;   in Loop: Header=BB6_356 Depth=4
	s_or_b32 exec_lo, exec_lo, s75
                                        ; implicit-def: $vgpr1
.LBB6_379:                              ;   in Loop: Header=BB6_356 Depth=4
	s_and_not1_saveexec_b32 s13, s74
; %bb.380:                              ;   in Loop: Header=BB6_356 Depth=4
	v_or_b32_e32 v55, 0x7e, v1
; %bb.381:                              ;   in Loop: Header=BB6_356 Depth=4
	s_or_b32 exec_lo, exec_lo, s13
                                        ; implicit-def: $vgpr1
.LBB6_382:                              ;   in Loop: Header=BB6_356 Depth=4
	s_and_not1_saveexec_b32 s13, s73
; %bb.383:                              ;   in Loop: Header=BB6_356 Depth=4
	v_or_b32_e32 v55, 0x7f, v1
; %bb.384:                              ;   in Loop: Header=BB6_356 Depth=4
	s_or_b32 exec_lo, exec_lo, s13
	v_lshrrev_b16 v0, 8, v48
	v_dual_mov_b32 v1, 0 :: v_dual_mov_b32 v4, 0
	s_mov_b32 s13, exec_lo
	s_delay_alu instid0(VALU_DEP_2)
	v_cmpx_ne_u16_e32 0, v0
	s_cbranch_execz .LBB6_392
; %bb.385:                              ;   in Loop: Header=BB6_356 Depth=4
	v_bfrev_b32_e32 v4, 1
	s_mov_b32 s73, exec_lo
	v_cmpx_ne_u16_e32 0x80, v0
	s_cbranch_execz .LBB6_391
; %bb.386:                              ;   in Loop: Header=BB6_356 Depth=4
	v_and_b32_e32 v0, 0xffff, v0
	v_mov_b32_e32 v4, 0x7f800001
	s_mov_b32 s74, exec_lo
	s_delay_alu instid0(VALU_DEP_2) | instskip(NEXT) | instid1(VALU_DEP_1)
	v_and_b32_e32 v5, 0x7f, v0
	v_cmpx_ne_u32_e32 0x7f, v5
	s_cbranch_execz .LBB6_390
; %bb.387:                              ;   in Loop: Header=BB6_356 Depth=4
	v_dual_lshrrev_b32 v0, 3, v5 :: v_dual_bitop2_b32 v2, 7, v0 bitop3:0x40
	s_mov_b32 s75, exec_lo
	v_cmpx_gt_u32_e32 8, v5
; %bb.388:                              ;   in Loop: Header=BB6_356 Depth=4
	s_delay_alu instid0(VALU_DEP_2) | instskip(NEXT) | instid1(VALU_DEP_1)
	v_clz_i32_u32_e32 v0, v2
	v_min_u32_e32 v0, 32, v0
	s_delay_alu instid0(VALU_DEP_1) | instskip(SKIP_1) | instid1(VALU_DEP_2)
	v_subrev_nc_u32_e32 v4, 28, v0
	v_sub_nc_u32_e32 v0, 29, v0
	v_lshlrev_b64_e32 v[4:5], v4, v[2:3]
	s_delay_alu instid0(VALU_DEP_1)
	v_and_b32_e32 v2, 7, v4
; %bb.389:                              ;   in Loop: Header=BB6_356 Depth=4
	s_or_b32 exec_lo, exec_lo, s75
	s_delay_alu instid0(VALU_DEP_1) | instskip(SKIP_1) | instid1(VALU_DEP_2)
	v_dual_lshlrev_b32 v4, 16, v48 :: v_dual_lshlrev_b32 v2, 20, v2
	v_lshl_add_u32 v0, v0, 23, 0x3c000000
	v_and_b32_e32 v4, 0x80000000, v4
	s_delay_alu instid0(VALU_DEP_1)
	v_or3_b32 v4, v2, v4, v0
.LBB6_390:                              ;   in Loop: Header=BB6_356 Depth=4
	s_or_b32 exec_lo, exec_lo, s74
.LBB6_391:                              ;   in Loop: Header=BB6_356 Depth=4
	s_delay_alu instid0(SALU_CYCLE_1)
	s_or_b32 exec_lo, exec_lo, s73
.LBB6_392:                              ;   in Loop: Header=BB6_356 Depth=4
	s_delay_alu instid0(SALU_CYCLE_1) | instskip(SKIP_2) | instid1(VALU_DEP_1)
	s_or_b32 exec_lo, exec_lo, s13
	v_lshrrev_b16 v0, 8, v36
	s_mov_b32 s13, exec_lo
	v_cmpx_ne_u16_e32 0, v0
	s_cbranch_execz .LBB6_400
; %bb.393:                              ;   in Loop: Header=BB6_356 Depth=4
	v_bfrev_b32_e32 v1, 1
	s_mov_b32 s73, exec_lo
	v_cmpx_ne_u16_e32 0x80, v0
	s_cbranch_execz .LBB6_399
; %bb.394:                              ;   in Loop: Header=BB6_356 Depth=4
	v_and_b32_e32 v0, 0xffff, v0
	v_mov_b32_e32 v1, 0x7f800001
	s_mov_b32 s74, exec_lo
	s_delay_alu instid0(VALU_DEP_2) | instskip(NEXT) | instid1(VALU_DEP_1)
	v_and_b32_e32 v5, 0x7f, v0
	v_cmpx_ne_u32_e32 0x7f, v5
	s_cbranch_execz .LBB6_398
; %bb.395:                              ;   in Loop: Header=BB6_356 Depth=4
	v_dual_lshrrev_b32 v0, 3, v5 :: v_dual_bitop2_b32 v2, 7, v0 bitop3:0x40
	s_mov_b32 s75, exec_lo
	v_cmpx_gt_u32_e32 8, v5
; %bb.396:                              ;   in Loop: Header=BB6_356 Depth=4
	s_delay_alu instid0(VALU_DEP_2) | instskip(NEXT) | instid1(VALU_DEP_1)
	v_clz_i32_u32_e32 v0, v2
	v_min_u32_e32 v0, 32, v0
	s_delay_alu instid0(VALU_DEP_1) | instskip(SKIP_1) | instid1(VALU_DEP_2)
	v_subrev_nc_u32_e32 v1, 28, v0
	v_sub_nc_u32_e32 v0, 29, v0
	v_lshlrev_b64_e32 v[28:29], v1, v[2:3]
	s_delay_alu instid0(VALU_DEP_1)
	v_and_b32_e32 v2, 7, v28
; %bb.397:                              ;   in Loop: Header=BB6_356 Depth=4
	s_or_b32 exec_lo, exec_lo, s75
	s_delay_alu instid0(VALU_DEP_1) | instskip(SKIP_1) | instid1(VALU_DEP_2)
	v_dual_lshlrev_b32 v1, 16, v36 :: v_dual_lshlrev_b32 v2, 20, v2
	v_lshl_add_u32 v0, v0, 23, 0x3c000000
	v_and_b32_e32 v1, 0x80000000, v1
	s_delay_alu instid0(VALU_DEP_1)
	v_or3_b32 v1, v2, v1, v0
.LBB6_398:                              ;   in Loop: Header=BB6_356 Depth=4
	s_or_b32 exec_lo, exec_lo, s74
.LBB6_399:                              ;   in Loop: Header=BB6_356 Depth=4
	s_delay_alu instid0(SALU_CYCLE_1)
	s_or_b32 exec_lo, exec_lo, s73
.LBB6_400:                              ;   in Loop: Header=BB6_356 Depth=4
	s_delay_alu instid0(SALU_CYCLE_1) | instskip(NEXT) | instid1(VALU_DEP_1)
	s_or_b32 exec_lo, exec_lo, s13
	v_add_f32_e32 v0, v4, v1
                                        ; implicit-def: $vgpr28
	s_mov_b32 s13, exec_lo
	s_delay_alu instid0(VALU_DEP_1) | instskip(SKIP_1) | instid1(VALU_DEP_2)
	v_and_b32_e32 v2, 0x7f800000, v0
	v_lshrrev_b32_e32 v1, 24, v0
	v_cmpx_ne_u64_e32 0x7f800000, v[2:3]
	s_xor_b32 s73, exec_lo, s13
	s_cbranch_execz .LBB6_414
; %bb.401:                              ;   in Loop: Header=BB6_356 Depth=4
	v_and_b32_e32 v2, 0x7fffffff, v0
	v_and_b32_e32 v1, 0x80, v1
                                        ; implicit-def: $vgpr28
	s_mov_b32 s13, exec_lo
	s_delay_alu instid0(VALU_DEP_2)
	v_cmpx_gt_u64_e32 0x43e00001, v[2:3]
	s_xor_b32 s74, exec_lo, s13
	s_cbranch_execz .LBB6_411
; %bb.402:                              ;   in Loop: Header=BB6_356 Depth=4
	v_mov_b32_e32 v28, 0
	s_mov_b32 s75, exec_lo
	v_cmpx_ne_u32_e32 0, v0
	s_cbranch_execz .LBB6_410
; %bb.403:                              ;   in Loop: Header=BB6_356 Depth=4
	v_bfe_u32 v4, v0, 23, 8
	v_and_b32_e32 v2, 0x7fffff, v0
	s_mov_b32 s76, exec_lo
	s_delay_alu instid0(VALU_DEP_2) | instskip(SKIP_3) | instid1(VALU_DEP_1)
	v_cmp_gt_u32_e64 s13, 0x7a, v4
	v_sub_nc_u32_e32 v0, 0x79, v4
	v_cmp_eq_u32_e32 vcc_lo, 0, v4
	v_or_b32_e32 v5, 0x800000, v2
	v_dual_cndmask_b32 v0, 0, v0, s13 :: v_dual_cndmask_b32 v2, v5, v2, vcc_lo
	s_delay_alu instid0(VALU_DEP_1) | instskip(NEXT) | instid1(VALU_DEP_1)
	v_cndmask_b32_e64 v0, v0, 0x78, vcc_lo
	v_add_nc_u32_e32 v5, 20, v0
	s_delay_alu instid0(VALU_DEP_3) | instskip(NEXT) | instid1(VALU_DEP_2)
	v_lshrrev_b64 v[106:107], v0, v[2:3]
	v_lshlrev_b64_e64 v[28:29], v5, -1
	v_add_nc_u32_e32 v5, 19, v0
	s_delay_alu instid0(VALU_DEP_3) | instskip(NEXT) | instid1(VALU_DEP_2)
	v_mov_b64_e32 v[108:109], v[106:107]
	v_lshlrev_b64_e64 v[52:53], v5, 1
	s_delay_alu instid0(VALU_DEP_4) | instskip(SKIP_1) | instid1(VALU_DEP_1)
	v_bfi_b32 v29, v29, 0, 0
	v_bfi_b32 v28, v28, 0, v2
	v_cmpx_eq_u64_e64 v[28:29], v[52:53]
; %bb.404:                              ;   in Loop: Header=BB6_356 Depth=4
	v_bfe_u32 v2, v106, 20, 1
	s_delay_alu instid0(VALU_DEP_1) | instskip(NEXT) | instid1(VALU_DEP_1)
	v_add_nc_u64_e32 v[28:29], v[106:107], v[2:3]
	v_add_nc_u64_e32 v[108:109], -1, v[28:29]
; %bb.405:                              ;   in Loop: Header=BB6_356 Depth=4
	s_or_b32 exec_lo, exec_lo, s76
	v_add_nc_u32_e32 v2, 0xffffff81, v4
	v_lshrrev_b32_e32 v4, 23, v106
	s_mov_b32 s13, exec_lo
	s_delay_alu instid0(VALU_DEP_2) | instskip(NEXT) | instid1(VALU_DEP_1)
	v_cndmask_b32_e64 v2, v2, 0xffffff82, vcc_lo
	v_add3_u32 v5, v0, v2, v4
	v_and_b32_e32 v0, 0xfffff, v108
	s_delay_alu instid0(VALU_DEP_1) | instskip(NEXT) | instid1(VALU_DEP_1)
	v_dual_add_nc_u32 v4, 6, v5 :: v_dual_add_nc_u32 v2, v0, v106
                                        ; implicit-def: $vgpr106_vgpr107
                                        ; implicit-def: $vgpr0
	v_cmpx_ne_u32_e32 0, v4
	s_xor_b32 s13, exec_lo, s13
; %bb.406:                              ;   in Loop: Header=BB6_356 Depth=4
	s_delay_alu instid0(VALU_DEP_2) | instskip(SKIP_1) | instid1(VALU_DEP_1)
	v_cmp_lt_u64_e32 vcc_lo, 0xffffff, v[2:3]
	v_add_nc_u32_e32 v0, 7, v5
	v_cndmask_b32_e32 v0, v4, v0, vcc_lo
	v_cndmask_b32_e64 v4, 0, 1, vcc_lo
	s_delay_alu instid0(VALU_DEP_1)
	v_lshrrev_b64 v[106:107], v4, v[2:3]
; %bb.407:                              ;   in Loop: Header=BB6_356 Depth=4
	s_and_not1_saveexec_b32 s13, s13
; %bb.408:                              ;   in Loop: Header=BB6_356 Depth=4
	v_mov_b64_e32 v[106:107], v[2:3]
	v_bfe_u32 v0, v2, 23, 1
; %bb.409:                              ;   in Loop: Header=BB6_356 Depth=4
	s_or_b32 exec_lo, exec_lo, s13
	s_delay_alu instid0(VALU_DEP_2) | instskip(NEXT) | instid1(VALU_DEP_2)
	v_lshrrev_b64 v[4:5], 20, v[106:107]
	v_cmp_gt_i32_e32 vcc_lo, 16, v0
	v_min_i32_e32 v2, 15, v0
	v_cmp_eq_u32_e64 s13, 0, v0
	s_delay_alu instid0(VALU_DEP_2) | instskip(SKIP_1) | instid1(VALU_DEP_2)
	v_dual_cndmask_b32 v5, 0, v5 :: v_dual_lshlrev_b32 v2, 3, v2
	v_cndmask_b32_e32 v4, 7, v4, vcc_lo
	v_and_b32_e32 v2, 0xf8, v2
	s_delay_alu instid0(VALU_DEP_2) | instskip(NEXT) | instid1(VALU_DEP_2)
	v_cmp_eq_u64_e32 vcc_lo, 0, v[4:5]
	v_and_or_b32 v0, v4, 7, v2
	s_and_b32 s13, s13, vcc_lo
	s_delay_alu instid0(VALU_DEP_1) | instid1(SALU_CYCLE_1)
	v_cndmask_b32_e64 v0, v0, 0, s13
	s_delay_alu instid0(VALU_DEP_1)
	v_or_b32_e32 v28, v0, v1
.LBB6_410:                              ;   in Loop: Header=BB6_356 Depth=4
	s_or_b32 exec_lo, exec_lo, s75
                                        ; implicit-def: $vgpr1
.LBB6_411:                              ;   in Loop: Header=BB6_356 Depth=4
	s_and_not1_saveexec_b32 s13, s74
; %bb.412:                              ;   in Loop: Header=BB6_356 Depth=4
	v_or_b32_e32 v28, 0x7e, v1
; %bb.413:                              ;   in Loop: Header=BB6_356 Depth=4
	s_or_b32 exec_lo, exec_lo, s13
                                        ; implicit-def: $vgpr1
.LBB6_414:                              ;   in Loop: Header=BB6_356 Depth=4
	s_and_not1_saveexec_b32 s13, s73
; %bb.415:                              ;   in Loop: Header=BB6_356 Depth=4
	v_or_b32_e32 v28, 0x7f, v1
; %bb.416:                              ;   in Loop: Header=BB6_356 Depth=4
	s_or_b32 exec_lo, exec_lo, s13
	v_dual_mov_b32 v1, 0 :: v_dual_lshrrev_b32 v0, 16, v48
	v_mov_b32_e32 v4, 0
	s_mov_b32 s13, exec_lo
	s_delay_alu instid0(VALU_DEP_2) | instskip(NEXT) | instid1(VALU_DEP_1)
	v_and_b32_e32 v2, 0xff, v0
	v_cmpx_ne_u16_e32 0, v2
	s_cbranch_execz .LBB6_424
; %bb.417:                              ;   in Loop: Header=BB6_356 Depth=4
	v_bfrev_b32_e32 v4, 1
	s_mov_b32 s73, exec_lo
	v_cmpx_ne_u16_e32 0x80, v2
	s_cbranch_execz .LBB6_423
; %bb.418:                              ;   in Loop: Header=BB6_356 Depth=4
	v_bfe_u32 v5, v48, 16, 7
	v_mov_b32_e32 v4, 0x7f800001
	s_mov_b32 s74, exec_lo
	s_delay_alu instid0(VALU_DEP_2)
	v_cmpx_ne_u32_e32 0x7f, v5
	s_cbranch_execz .LBB6_422
; %bb.419:                              ;   in Loop: Header=BB6_356 Depth=4
	v_dual_lshrrev_b32 v4, 3, v5 :: v_dual_bitop2_b32 v2, 7, v0 bitop3:0x40
	s_mov_b32 s75, exec_lo
	v_cmpx_gt_u32_e32 8, v5
; %bb.420:                              ;   in Loop: Header=BB6_356 Depth=4
	s_delay_alu instid0(VALU_DEP_2) | instskip(NEXT) | instid1(VALU_DEP_1)
	v_clz_i32_u32_e32 v4, v2
	v_min_u32_e32 v4, 32, v4
	s_delay_alu instid0(VALU_DEP_1) | instskip(SKIP_1) | instid1(VALU_DEP_2)
	v_subrev_nc_u32_e32 v5, 28, v4
	v_sub_nc_u32_e32 v4, 29, v4
	v_lshlrev_b64_e32 v[52:53], v5, v[2:3]
	s_delay_alu instid0(VALU_DEP_1)
	v_and_b32_e32 v2, 7, v52
; %bb.421:                              ;   in Loop: Header=BB6_356 Depth=4
	s_or_b32 exec_lo, exec_lo, s75
	s_delay_alu instid0(VALU_DEP_1) | instskip(SKIP_1) | instid1(VALU_DEP_2)
	v_dual_lshlrev_b32 v0, 24, v0 :: v_dual_lshlrev_b32 v2, 20, v2
	v_lshl_add_u32 v4, v4, 23, 0x3c000000
	v_and_b32_e32 v0, 0x80000000, v0
	s_delay_alu instid0(VALU_DEP_1)
	v_or3_b32 v4, v2, v0, v4
.LBB6_422:                              ;   in Loop: Header=BB6_356 Depth=4
	s_or_b32 exec_lo, exec_lo, s74
.LBB6_423:                              ;   in Loop: Header=BB6_356 Depth=4
	s_delay_alu instid0(SALU_CYCLE_1)
	s_or_b32 exec_lo, exec_lo, s73
.LBB6_424:                              ;   in Loop: Header=BB6_356 Depth=4
	s_delay_alu instid0(SALU_CYCLE_1) | instskip(SKIP_2) | instid1(VALU_DEP_1)
	s_or_b32 exec_lo, exec_lo, s13
	v_lshrrev_b32_e32 v0, 16, v36
	s_mov_b32 s13, exec_lo
	v_and_b32_e32 v2, 0xff, v0
	s_delay_alu instid0(VALU_DEP_1)
	v_cmpx_ne_u16_e32 0, v2
	s_cbranch_execz .LBB6_432
; %bb.425:                              ;   in Loop: Header=BB6_356 Depth=4
	v_bfrev_b32_e32 v1, 1
	s_mov_b32 s73, exec_lo
	v_cmpx_ne_u16_e32 0x80, v2
	s_cbranch_execz .LBB6_431
; %bb.426:                              ;   in Loop: Header=BB6_356 Depth=4
	v_bfe_u32 v5, v36, 16, 7
	v_mov_b32_e32 v1, 0x7f800001
	s_mov_b32 s74, exec_lo
	s_delay_alu instid0(VALU_DEP_2)
	v_cmpx_ne_u32_e32 0x7f, v5
	s_cbranch_execz .LBB6_430
; %bb.427:                              ;   in Loop: Header=BB6_356 Depth=4
	v_dual_lshrrev_b32 v0, 3, v5 :: v_dual_bitop2_b32 v2, 7, v0 bitop3:0x40
	s_mov_b32 s75, exec_lo
	v_cmpx_gt_u32_e32 8, v5
; %bb.428:                              ;   in Loop: Header=BB6_356 Depth=4
	s_delay_alu instid0(VALU_DEP_2) | instskip(NEXT) | instid1(VALU_DEP_1)
	v_clz_i32_u32_e32 v0, v2
	v_min_u32_e32 v0, 32, v0
	s_delay_alu instid0(VALU_DEP_1) | instskip(SKIP_1) | instid1(VALU_DEP_2)
	v_subrev_nc_u32_e32 v1, 28, v0
	v_sub_nc_u32_e32 v0, 29, v0
	v_lshlrev_b64_e32 v[52:53], v1, v[2:3]
	s_delay_alu instid0(VALU_DEP_1)
	v_and_b32_e32 v2, 7, v52
; %bb.429:                              ;   in Loop: Header=BB6_356 Depth=4
	s_or_b32 exec_lo, exec_lo, s75
	s_delay_alu instid0(VALU_DEP_1) | instskip(SKIP_1) | instid1(VALU_DEP_2)
	v_dual_lshlrev_b32 v1, 8, v36 :: v_dual_lshlrev_b32 v2, 20, v2
	v_lshl_add_u32 v0, v0, 23, 0x3c000000
	v_and_b32_e32 v1, 0x80000000, v1
	s_delay_alu instid0(VALU_DEP_1)
	v_or3_b32 v1, v2, v1, v0
.LBB6_430:                              ;   in Loop: Header=BB6_356 Depth=4
	s_or_b32 exec_lo, exec_lo, s74
.LBB6_431:                              ;   in Loop: Header=BB6_356 Depth=4
	s_delay_alu instid0(SALU_CYCLE_1)
	s_or_b32 exec_lo, exec_lo, s73
.LBB6_432:                              ;   in Loop: Header=BB6_356 Depth=4
	s_delay_alu instid0(SALU_CYCLE_1) | instskip(NEXT) | instid1(VALU_DEP_1)
	s_or_b32 exec_lo, exec_lo, s13
	v_add_f32_e32 v0, v4, v1
                                        ; implicit-def: $vgpr29
	s_mov_b32 s13, exec_lo
	s_delay_alu instid0(VALU_DEP_1) | instskip(SKIP_1) | instid1(VALU_DEP_2)
	v_and_b32_e32 v2, 0x7f800000, v0
	v_lshrrev_b32_e32 v1, 24, v0
	v_cmpx_ne_u64_e32 0x7f800000, v[2:3]
	s_xor_b32 s73, exec_lo, s13
	s_cbranch_execz .LBB6_446
; %bb.433:                              ;   in Loop: Header=BB6_356 Depth=4
	v_and_b32_e32 v2, 0x7fffffff, v0
	v_and_b32_e32 v1, 0x80, v1
                                        ; implicit-def: $vgpr29
	s_mov_b32 s13, exec_lo
	s_delay_alu instid0(VALU_DEP_2)
	v_cmpx_gt_u64_e32 0x43e00001, v[2:3]
	s_xor_b32 s74, exec_lo, s13
	s_cbranch_execz .LBB6_443
; %bb.434:                              ;   in Loop: Header=BB6_356 Depth=4
	v_mov_b32_e32 v29, 0
	s_mov_b32 s75, exec_lo
	v_cmpx_ne_u32_e32 0, v0
	s_cbranch_execz .LBB6_442
; %bb.435:                              ;   in Loop: Header=BB6_356 Depth=4
	v_bfe_u32 v4, v0, 23, 8
	v_and_b32_e32 v2, 0x7fffff, v0
	s_mov_b32 s76, exec_lo
	s_delay_alu instid0(VALU_DEP_2) | instskip(SKIP_3) | instid1(VALU_DEP_1)
	v_cmp_gt_u32_e64 s13, 0x7a, v4
	v_sub_nc_u32_e32 v0, 0x79, v4
	v_cmp_eq_u32_e32 vcc_lo, 0, v4
	v_or_b32_e32 v5, 0x800000, v2
	v_dual_cndmask_b32 v0, 0, v0, s13 :: v_dual_cndmask_b32 v2, v5, v2, vcc_lo
	s_delay_alu instid0(VALU_DEP_1) | instskip(NEXT) | instid1(VALU_DEP_1)
	v_cndmask_b32_e64 v0, v0, 0x78, vcc_lo
	v_add_nc_u32_e32 v5, 20, v0
	s_delay_alu instid0(VALU_DEP_3) | instskip(NEXT) | instid1(VALU_DEP_2)
	v_lshrrev_b64 v[106:107], v0, v[2:3]
	v_lshlrev_b64_e64 v[52:53], v5, -1
	v_add_nc_u32_e32 v5, 19, v0
	s_delay_alu instid0(VALU_DEP_3) | instskip(NEXT) | instid1(VALU_DEP_2)
	v_mov_b64_e32 v[108:109], v[106:107]
	v_lshlrev_b64_e64 v[66:67], v5, 1
	s_delay_alu instid0(VALU_DEP_4) | instskip(SKIP_1) | instid1(VALU_DEP_1)
	v_bfi_b32 v53, v53, 0, 0
	v_bfi_b32 v52, v52, 0, v2
	v_cmpx_eq_u64_e64 v[52:53], v[66:67]
; %bb.436:                              ;   in Loop: Header=BB6_356 Depth=4
	v_bfe_u32 v2, v106, 20, 1
	s_delay_alu instid0(VALU_DEP_1) | instskip(NEXT) | instid1(VALU_DEP_1)
	v_add_nc_u64_e32 v[52:53], v[106:107], v[2:3]
	v_add_nc_u64_e32 v[108:109], -1, v[52:53]
; %bb.437:                              ;   in Loop: Header=BB6_356 Depth=4
	s_or_b32 exec_lo, exec_lo, s76
	v_add_nc_u32_e32 v2, 0xffffff81, v4
	v_lshrrev_b32_e32 v4, 23, v106
	s_mov_b32 s13, exec_lo
	s_delay_alu instid0(VALU_DEP_2) | instskip(NEXT) | instid1(VALU_DEP_1)
	v_cndmask_b32_e64 v2, v2, 0xffffff82, vcc_lo
	v_add3_u32 v5, v0, v2, v4
	v_and_b32_e32 v0, 0xfffff, v108
	s_delay_alu instid0(VALU_DEP_1) | instskip(NEXT) | instid1(VALU_DEP_1)
	v_dual_add_nc_u32 v4, 6, v5 :: v_dual_add_nc_u32 v2, v0, v106
                                        ; implicit-def: $vgpr106_vgpr107
                                        ; implicit-def: $vgpr0
	v_cmpx_ne_u32_e32 0, v4
	s_xor_b32 s13, exec_lo, s13
; %bb.438:                              ;   in Loop: Header=BB6_356 Depth=4
	s_delay_alu instid0(VALU_DEP_2) | instskip(SKIP_1) | instid1(VALU_DEP_1)
	v_cmp_lt_u64_e32 vcc_lo, 0xffffff, v[2:3]
	v_add_nc_u32_e32 v0, 7, v5
	v_cndmask_b32_e32 v0, v4, v0, vcc_lo
	v_cndmask_b32_e64 v4, 0, 1, vcc_lo
	s_delay_alu instid0(VALU_DEP_1)
	v_lshrrev_b64 v[106:107], v4, v[2:3]
; %bb.439:                              ;   in Loop: Header=BB6_356 Depth=4
	s_and_not1_saveexec_b32 s13, s13
; %bb.440:                              ;   in Loop: Header=BB6_356 Depth=4
	v_mov_b64_e32 v[106:107], v[2:3]
	v_bfe_u32 v0, v2, 23, 1
; %bb.441:                              ;   in Loop: Header=BB6_356 Depth=4
	s_or_b32 exec_lo, exec_lo, s13
	s_delay_alu instid0(VALU_DEP_2) | instskip(NEXT) | instid1(VALU_DEP_2)
	v_lshrrev_b64 v[4:5], 20, v[106:107]
	v_cmp_gt_i32_e32 vcc_lo, 16, v0
	v_min_i32_e32 v2, 15, v0
	v_cmp_eq_u32_e64 s13, 0, v0
	s_delay_alu instid0(VALU_DEP_2) | instskip(SKIP_1) | instid1(VALU_DEP_2)
	v_dual_cndmask_b32 v5, 0, v5 :: v_dual_lshlrev_b32 v2, 3, v2
	v_cndmask_b32_e32 v4, 7, v4, vcc_lo
	v_and_b32_e32 v2, 0xf8, v2
	s_delay_alu instid0(VALU_DEP_2) | instskip(NEXT) | instid1(VALU_DEP_2)
	v_cmp_eq_u64_e32 vcc_lo, 0, v[4:5]
	v_and_or_b32 v0, v4, 7, v2
	s_and_b32 s13, s13, vcc_lo
	s_delay_alu instid0(VALU_DEP_1) | instid1(SALU_CYCLE_1)
	v_cndmask_b32_e64 v0, v0, 0, s13
	s_delay_alu instid0(VALU_DEP_1)
	v_or_b32_e32 v29, v0, v1
.LBB6_442:                              ;   in Loop: Header=BB6_356 Depth=4
	s_or_b32 exec_lo, exec_lo, s75
                                        ; implicit-def: $vgpr1
.LBB6_443:                              ;   in Loop: Header=BB6_356 Depth=4
	s_and_not1_saveexec_b32 s13, s74
; %bb.444:                              ;   in Loop: Header=BB6_356 Depth=4
	v_or_b32_e32 v29, 0x7e, v1
; %bb.445:                              ;   in Loop: Header=BB6_356 Depth=4
	s_or_b32 exec_lo, exec_lo, s13
                                        ; implicit-def: $vgpr1
.LBB6_446:                              ;   in Loop: Header=BB6_356 Depth=4
	s_and_not1_saveexec_b32 s13, s73
; %bb.447:                              ;   in Loop: Header=BB6_356 Depth=4
	v_or_b32_e32 v29, 0x7f, v1
; %bb.448:                              ;   in Loop: Header=BB6_356 Depth=4
	s_or_b32 exec_lo, exec_lo, s13
	v_dual_mov_b32 v1, 0 :: v_dual_mov_b32 v4, 0
	s_mov_b32 s13, exec_lo
	v_cmpx_lt_u32_e32 0xffffff, v48
	s_cbranch_execz .LBB6_456
; %bb.449:                              ;   in Loop: Header=BB6_356 Depth=4
	v_lshrrev_b32_e32 v0, 24, v48
	v_bfrev_b32_e32 v4, 1
	s_mov_b32 s73, exec_lo
	s_delay_alu instid0(VALU_DEP_2)
	v_cmpx_ne_u32_e32 0x80, v0
	s_cbranch_execz .LBB6_455
; %bb.450:                              ;   in Loop: Header=BB6_356 Depth=4
	v_bfe_u32 v5, v48, 24, 7
	v_mov_b32_e32 v4, 0x7f800001
	s_mov_b32 s74, exec_lo
	s_delay_alu instid0(VALU_DEP_2)
	v_cmpx_ne_u32_e32 0x7f, v5
	s_cbranch_execz .LBB6_454
; %bb.451:                              ;   in Loop: Header=BB6_356 Depth=4
	v_dual_lshrrev_b32 v4, 3, v5 :: v_dual_bitop2_b32 v2, 7, v0 bitop3:0x40
	s_mov_b32 s75, exec_lo
	v_cmpx_gt_u32_e32 8, v5
; %bb.452:                              ;   in Loop: Header=BB6_356 Depth=4
	s_delay_alu instid0(VALU_DEP_2) | instskip(NEXT) | instid1(VALU_DEP_1)
	v_clz_i32_u32_e32 v4, v2
	v_min_u32_e32 v4, 32, v4
	s_delay_alu instid0(VALU_DEP_1) | instskip(SKIP_1) | instid1(VALU_DEP_2)
	v_subrev_nc_u32_e32 v5, 28, v4
	v_sub_nc_u32_e32 v4, 29, v4
	v_lshlrev_b64_e32 v[52:53], v5, v[2:3]
	s_delay_alu instid0(VALU_DEP_1)
	v_and_b32_e32 v2, 7, v52
; %bb.453:                              ;   in Loop: Header=BB6_356 Depth=4
	s_or_b32 exec_lo, exec_lo, s75
	s_delay_alu instid0(VALU_DEP_1) | instskip(SKIP_1) | instid1(VALU_DEP_2)
	v_dual_lshlrev_b32 v0, 24, v0 :: v_dual_lshlrev_b32 v2, 20, v2
	v_lshl_add_u32 v4, v4, 23, 0x3c000000
	v_and_b32_e32 v0, 0x80000000, v0
	s_delay_alu instid0(VALU_DEP_1)
	v_or3_b32 v4, v2, v0, v4
.LBB6_454:                              ;   in Loop: Header=BB6_356 Depth=4
	s_or_b32 exec_lo, exec_lo, s74
.LBB6_455:                              ;   in Loop: Header=BB6_356 Depth=4
	s_delay_alu instid0(SALU_CYCLE_1)
	s_or_b32 exec_lo, exec_lo, s73
.LBB6_456:                              ;   in Loop: Header=BB6_356 Depth=4
	s_delay_alu instid0(SALU_CYCLE_1) | instskip(NEXT) | instid1(SALU_CYCLE_1)
	s_or_b32 exec_lo, exec_lo, s13
	s_mov_b32 s13, exec_lo
	v_cmpx_lt_u32_e32 0xffffff, v36
	s_cbranch_execz .LBB6_464
; %bb.457:                              ;   in Loop: Header=BB6_356 Depth=4
	v_lshrrev_b32_e32 v0, 24, v36
	v_bfrev_b32_e32 v1, 1
	s_mov_b32 s73, exec_lo
	s_delay_alu instid0(VALU_DEP_2)
	v_cmpx_ne_u32_e32 0x80, v0
	s_cbranch_execz .LBB6_463
; %bb.458:                              ;   in Loop: Header=BB6_356 Depth=4
	v_bfe_u32 v5, v36, 24, 7
	v_mov_b32_e32 v1, 0x7f800001
	s_mov_b32 s74, exec_lo
	s_delay_alu instid0(VALU_DEP_2)
	v_cmpx_ne_u32_e32 0x7f, v5
	s_cbranch_execz .LBB6_462
; %bb.459:                              ;   in Loop: Header=BB6_356 Depth=4
	v_dual_lshrrev_b32 v1, 3, v5 :: v_dual_bitop2_b32 v2, 7, v0 bitop3:0x40
	s_mov_b32 s75, exec_lo
	v_cmpx_gt_u32_e32 8, v5
; %bb.460:                              ;   in Loop: Header=BB6_356 Depth=4
	s_delay_alu instid0(VALU_DEP_2) | instskip(NEXT) | instid1(VALU_DEP_1)
	v_clz_i32_u32_e32 v1, v2
	v_min_u32_e32 v1, 32, v1
	s_delay_alu instid0(VALU_DEP_1) | instskip(NEXT) | instid1(VALU_DEP_1)
	v_subrev_nc_u32_e32 v5, 28, v1
	v_lshlrev_b64_e32 v[52:53], v5, v[2:3]
	s_delay_alu instid0(VALU_DEP_1)
	v_dual_sub_nc_u32 v1, 29, v1 :: v_dual_bitop2_b32 v2, 7, v52 bitop3:0x40
; %bb.461:                              ;   in Loop: Header=BB6_356 Depth=4
	s_or_b32 exec_lo, exec_lo, s75
	s_delay_alu instid0(VALU_DEP_1) | instskip(NEXT) | instid1(VALU_DEP_2)
	v_dual_lshlrev_b32 v0, 24, v0 :: v_dual_lshlrev_b32 v2, 20, v2
	v_lshl_add_u32 v1, v1, 23, 0x3c000000
	s_delay_alu instid0(VALU_DEP_2) | instskip(NEXT) | instid1(VALU_DEP_1)
	v_and_b32_e32 v0, 0x80000000, v0
	v_or3_b32 v1, v2, v0, v1
.LBB6_462:                              ;   in Loop: Header=BB6_356 Depth=4
	s_or_b32 exec_lo, exec_lo, s74
.LBB6_463:                              ;   in Loop: Header=BB6_356 Depth=4
	s_delay_alu instid0(SALU_CYCLE_1)
	s_or_b32 exec_lo, exec_lo, s73
.LBB6_464:                              ;   in Loop: Header=BB6_356 Depth=4
	s_delay_alu instid0(SALU_CYCLE_1) | instskip(NEXT) | instid1(VALU_DEP_1)
	s_or_b32 exec_lo, exec_lo, s13
	v_add_f32_e32 v0, v4, v1
                                        ; implicit-def: $vgpr100
	s_mov_b32 s13, exec_lo
	s_delay_alu instid0(VALU_DEP_1) | instskip(SKIP_1) | instid1(VALU_DEP_2)
	v_and_b32_e32 v2, 0x7f800000, v0
	v_lshrrev_b32_e32 v1, 24, v0
	v_cmpx_ne_u64_e32 0x7f800000, v[2:3]
	s_xor_b32 s73, exec_lo, s13
	s_cbranch_execz .LBB6_478
; %bb.465:                              ;   in Loop: Header=BB6_356 Depth=4
	v_and_b32_e32 v2, 0x7fffffff, v0
	v_and_b32_e32 v1, 0x80, v1
                                        ; implicit-def: $vgpr100
	s_mov_b32 s13, exec_lo
	s_delay_alu instid0(VALU_DEP_2)
	v_cmpx_gt_u64_e32 0x43e00001, v[2:3]
	s_xor_b32 s74, exec_lo, s13
	s_cbranch_execz .LBB6_475
; %bb.466:                              ;   in Loop: Header=BB6_356 Depth=4
	v_mov_b32_e32 v100, 0
	s_mov_b32 s75, exec_lo
	v_cmpx_ne_u32_e32 0, v0
	s_cbranch_execz .LBB6_474
; %bb.467:                              ;   in Loop: Header=BB6_356 Depth=4
	v_bfe_u32 v4, v0, 23, 8
	v_and_b32_e32 v2, 0x7fffff, v0
	s_mov_b32 s76, exec_lo
	s_delay_alu instid0(VALU_DEP_2) | instskip(SKIP_3) | instid1(VALU_DEP_1)
	v_cmp_gt_u32_e64 s13, 0x7a, v4
	v_sub_nc_u32_e32 v0, 0x79, v4
	v_cmp_eq_u32_e32 vcc_lo, 0, v4
	v_or_b32_e32 v5, 0x800000, v2
	v_dual_cndmask_b32 v0, 0, v0, s13 :: v_dual_cndmask_b32 v2, v5, v2, vcc_lo
	s_delay_alu instid0(VALU_DEP_1) | instskip(NEXT) | instid1(VALU_DEP_1)
	v_cndmask_b32_e64 v0, v0, 0x78, vcc_lo
	v_add_nc_u32_e32 v5, 20, v0
	s_delay_alu instid0(VALU_DEP_3) | instskip(NEXT) | instid1(VALU_DEP_2)
	v_lshrrev_b64 v[106:107], v0, v[2:3]
	v_lshlrev_b64_e64 v[52:53], v5, -1
	v_add_nc_u32_e32 v5, 19, v0
	s_delay_alu instid0(VALU_DEP_3) | instskip(NEXT) | instid1(VALU_DEP_2)
	v_mov_b64_e32 v[108:109], v[106:107]
	v_lshlrev_b64_e64 v[66:67], v5, 1
	s_delay_alu instid0(VALU_DEP_4) | instskip(SKIP_1) | instid1(VALU_DEP_1)
	v_bfi_b32 v53, v53, 0, 0
	v_bfi_b32 v52, v52, 0, v2
	v_cmpx_eq_u64_e64 v[52:53], v[66:67]
; %bb.468:                              ;   in Loop: Header=BB6_356 Depth=4
	v_bfe_u32 v2, v106, 20, 1
	s_delay_alu instid0(VALU_DEP_1) | instskip(NEXT) | instid1(VALU_DEP_1)
	v_add_nc_u64_e32 v[52:53], v[106:107], v[2:3]
	v_add_nc_u64_e32 v[108:109], -1, v[52:53]
; %bb.469:                              ;   in Loop: Header=BB6_356 Depth=4
	s_or_b32 exec_lo, exec_lo, s76
	v_add_nc_u32_e32 v2, 0xffffff81, v4
	v_lshrrev_b32_e32 v4, 23, v106
	s_mov_b32 s13, exec_lo
	s_delay_alu instid0(VALU_DEP_2) | instskip(NEXT) | instid1(VALU_DEP_1)
	v_cndmask_b32_e64 v2, v2, 0xffffff82, vcc_lo
	v_add3_u32 v5, v0, v2, v4
	v_and_b32_e32 v0, 0xfffff, v108
	s_delay_alu instid0(VALU_DEP_1) | instskip(NEXT) | instid1(VALU_DEP_1)
	v_dual_add_nc_u32 v4, 6, v5 :: v_dual_add_nc_u32 v2, v0, v106
                                        ; implicit-def: $vgpr106_vgpr107
                                        ; implicit-def: $vgpr0
	v_cmpx_ne_u32_e32 0, v4
	s_xor_b32 s13, exec_lo, s13
; %bb.470:                              ;   in Loop: Header=BB6_356 Depth=4
	s_delay_alu instid0(VALU_DEP_2) | instskip(SKIP_1) | instid1(VALU_DEP_1)
	v_cmp_lt_u64_e32 vcc_lo, 0xffffff, v[2:3]
	v_add_nc_u32_e32 v0, 7, v5
	v_cndmask_b32_e32 v0, v4, v0, vcc_lo
	v_cndmask_b32_e64 v4, 0, 1, vcc_lo
	s_delay_alu instid0(VALU_DEP_1)
	v_lshrrev_b64 v[106:107], v4, v[2:3]
; %bb.471:                              ;   in Loop: Header=BB6_356 Depth=4
	s_and_not1_saveexec_b32 s13, s13
; %bb.472:                              ;   in Loop: Header=BB6_356 Depth=4
	v_mov_b64_e32 v[106:107], v[2:3]
	v_bfe_u32 v0, v2, 23, 1
; %bb.473:                              ;   in Loop: Header=BB6_356 Depth=4
	s_or_b32 exec_lo, exec_lo, s13
	s_delay_alu instid0(VALU_DEP_2) | instskip(NEXT) | instid1(VALU_DEP_2)
	v_lshrrev_b64 v[4:5], 20, v[106:107]
	v_cmp_gt_i32_e32 vcc_lo, 16, v0
	v_min_i32_e32 v2, 15, v0
	v_cmp_eq_u32_e64 s13, 0, v0
	s_delay_alu instid0(VALU_DEP_2) | instskip(SKIP_1) | instid1(VALU_DEP_2)
	v_dual_cndmask_b32 v5, 0, v5 :: v_dual_lshlrev_b32 v2, 3, v2
	v_cndmask_b32_e32 v4, 7, v4, vcc_lo
	v_and_b32_e32 v2, 0xf8, v2
	s_delay_alu instid0(VALU_DEP_2) | instskip(NEXT) | instid1(VALU_DEP_2)
	v_cmp_eq_u64_e32 vcc_lo, 0, v[4:5]
	v_and_or_b32 v0, v4, 7, v2
	s_and_b32 s13, s13, vcc_lo
	s_delay_alu instid0(VALU_DEP_1) | instid1(SALU_CYCLE_1)
	v_cndmask_b32_e64 v0, v0, 0, s13
	s_delay_alu instid0(VALU_DEP_1)
	v_or_b32_e32 v100, v0, v1
.LBB6_474:                              ;   in Loop: Header=BB6_356 Depth=4
	s_or_b32 exec_lo, exec_lo, s75
                                        ; implicit-def: $vgpr1
.LBB6_475:                              ;   in Loop: Header=BB6_356 Depth=4
	s_and_not1_saveexec_b32 s13, s74
; %bb.476:                              ;   in Loop: Header=BB6_356 Depth=4
	v_or_b32_e32 v100, 0x7e, v1
; %bb.477:                              ;   in Loop: Header=BB6_356 Depth=4
	s_or_b32 exec_lo, exec_lo, s13
                                        ; implicit-def: $vgpr1
.LBB6_478:                              ;   in Loop: Header=BB6_356 Depth=4
	s_and_not1_saveexec_b32 s13, s73
; %bb.479:                              ;   in Loop: Header=BB6_356 Depth=4
	v_or_b32_e32 v100, 0x7f, v1
; %bb.480:                              ;   in Loop: Header=BB6_356 Depth=4
	s_or_b32 exec_lo, exec_lo, s13
	v_and_b32_e32 v0, 0xff, v49
	v_dual_mov_b32 v2, v49 :: v_dual_mov_b32 v1, 0
	v_mov_b32_e32 v4, 0
	s_mov_b32 s13, exec_lo
	s_delay_alu instid0(VALU_DEP_3)
	v_cmpx_ne_u16_e32 0, v0
	s_cbranch_execz .LBB6_486
; %bb.481:                              ;   in Loop: Header=BB6_356 Depth=4
	v_bfrev_b32_e32 v4, 1
	s_mov_b32 s73, exec_lo
	v_cmpx_ne_u16_e32 0x80, v0
	s_cbranch_execz .LBB6_485
; %bb.482:                              ;   in Loop: Header=BB6_356 Depth=4
	v_and_b32_e32 v0, 0x7f, v49
	v_mov_b32_e32 v4, 0x7f800001
	s_mov_b32 s74, exec_lo
	s_delay_alu instid0(VALU_DEP_2)
	v_cmpx_ne_u32_e32 0x7f, v0
	s_cbranch_execz .LBB6_484
; %bb.483:                              ;   in Loop: Header=BB6_356 Depth=4
	v_dual_lshrrev_b32 v5, 3, v0 :: v_dual_bitop2_b32 v4, 7, v49 bitop3:0x40
	v_cmp_gt_u32_e32 vcc_lo, 8, v0
	s_delay_alu instid0(VALU_DEP_2) | instskip(NEXT) | instid1(VALU_DEP_1)
	v_clz_i32_u32_e32 v0, v4
	v_min_u32_e32 v0, 32, v0
	s_delay_alu instid0(VALU_DEP_1) | instskip(SKIP_1) | instid1(VALU_DEP_2)
	v_subrev_nc_u32_e32 v4, 28, v0
	v_sub_nc_u32_e32 v0, 29, v0
	v_cndmask_b32_e32 v4, 0, v4, vcc_lo
	s_delay_alu instid0(VALU_DEP_2) | instskip(NEXT) | instid1(VALU_DEP_2)
	v_cndmask_b32_e32 v0, v5, v0, vcc_lo
	v_lshlrev_b64_e32 v[4:5], v4, v[2:3]
	v_lshlrev_b32_e32 v5, 24, v2
	s_delay_alu instid0(VALU_DEP_3) | instskip(NEXT) | instid1(VALU_DEP_2)
	v_lshl_add_u32 v0, v0, 23, 0x3c000000
	v_and_b32_e32 v5, 0x80000000, v5
	s_delay_alu instid0(VALU_DEP_4) | instskip(NEXT) | instid1(VALU_DEP_1)
	v_lshlrev_b32_e32 v4, 20, v4
	v_and_b32_e32 v4, 0x700000, v4
	s_delay_alu instid0(VALU_DEP_1)
	v_or3_b32 v4, v4, v5, v0
.LBB6_484:                              ;   in Loop: Header=BB6_356 Depth=4
	s_or_b32 exec_lo, exec_lo, s74
.LBB6_485:                              ;   in Loop: Header=BB6_356 Depth=4
	s_delay_alu instid0(SALU_CYCLE_1)
	s_or_b32 exec_lo, exec_lo, s73
.LBB6_486:                              ;   in Loop: Header=BB6_356 Depth=4
	s_delay_alu instid0(SALU_CYCLE_1) | instskip(SKIP_2) | instid1(VALU_DEP_1)
	s_or_b32 exec_lo, exec_lo, s13
	v_and_b32_e32 v0, 0xff, v37
	s_mov_b32 s13, exec_lo
	v_cmpx_ne_u16_e32 0, v0
	s_cbranch_execz .LBB6_492
; %bb.487:                              ;   in Loop: Header=BB6_356 Depth=4
	v_bfrev_b32_e32 v1, 1
	s_mov_b32 s73, exec_lo
	v_cmpx_ne_u16_e32 0x80, v0
	s_cbranch_execz .LBB6_491
; %bb.488:                              ;   in Loop: Header=BB6_356 Depth=4
	v_and_b32_e32 v0, 0x7f, v37
	v_mov_b32_e32 v1, 0x7f800001
	s_mov_b32 s74, exec_lo
	s_delay_alu instid0(VALU_DEP_2)
	v_cmpx_ne_u32_e32 0x7f, v0
	s_cbranch_execz .LBB6_490
; %bb.489:                              ;   in Loop: Header=BB6_356 Depth=4
	v_dual_lshrrev_b32 v5, 3, v0 :: v_dual_bitop2_b32 v1, 7, v37 bitop3:0x40
	v_cmp_gt_u32_e32 vcc_lo, 8, v0
	v_mov_b32_e32 v0, v37
	s_delay_alu instid0(VALU_DEP_3) | instskip(NEXT) | instid1(VALU_DEP_1)
	v_clz_i32_u32_e32 v1, v1
	v_min_u32_e32 v1, 32, v1
	s_delay_alu instid0(VALU_DEP_1) | instskip(SKIP_1) | instid1(VALU_DEP_2)
	v_sub_nc_u32_e32 v31, 29, v1
	v_subrev_nc_u32_e32 v52, 28, v1
	v_dual_mov_b32 v1, v3 :: v_dual_cndmask_b32 v5, v5, v31, vcc_lo
	s_delay_alu instid0(VALU_DEP_2) | instskip(NEXT) | instid1(VALU_DEP_2)
	v_cndmask_b32_e32 v31, 0, v52, vcc_lo
	v_lshl_add_u32 v5, v5, 23, 0x3c000000
	s_delay_alu instid0(VALU_DEP_2) | instskip(SKIP_1) | instid1(VALU_DEP_1)
	v_lshlrev_b64_e32 v[52:53], v31, v[0:1]
	v_lshlrev_b32_e32 v0, 24, v0
	v_and_b32_e32 v0, 0x80000000, v0
	s_delay_alu instid0(VALU_DEP_3) | instskip(NEXT) | instid1(VALU_DEP_1)
	v_lshlrev_b32_e32 v1, 20, v52
	v_and_b32_e32 v1, 0x700000, v1
	s_delay_alu instid0(VALU_DEP_1)
	v_or3_b32 v1, v1, v0, v5
.LBB6_490:                              ;   in Loop: Header=BB6_356 Depth=4
	s_or_b32 exec_lo, exec_lo, s74
.LBB6_491:                              ;   in Loop: Header=BB6_356 Depth=4
	s_delay_alu instid0(SALU_CYCLE_1)
	s_or_b32 exec_lo, exec_lo, s73
.LBB6_492:                              ;   in Loop: Header=BB6_356 Depth=4
	s_delay_alu instid0(SALU_CYCLE_1) | instskip(NEXT) | instid1(VALU_DEP_1)
	s_or_b32 exec_lo, exec_lo, s13
	v_dual_add_f32 v0, v4, v1 :: v_dual_mov_b32 v5, v3
                                        ; implicit-def: $vgpr101
	s_mov_b32 s13, exec_lo
	s_delay_alu instid0(VALU_DEP_1) | instskip(SKIP_1) | instid1(VALU_DEP_2)
	v_and_b32_e32 v4, 0x7f800000, v0
	v_lshrrev_b32_e32 v1, 24, v0
	v_cmpx_ne_u64_e32 0x7f800000, v[4:5]
	s_xor_b32 s73, exec_lo, s13
	s_cbranch_execz .LBB6_506
; %bb.493:                              ;   in Loop: Header=BB6_356 Depth=4
	v_and_b32_e32 v4, 0x7fffffff, v0
	v_mov_b32_e32 v5, v3
	v_and_b32_e32 v1, 0x80, v1
                                        ; implicit-def: $vgpr101
	s_mov_b32 s13, exec_lo
	s_delay_alu instid0(VALU_DEP_2)
	v_cmpx_gt_u64_e32 0x43e00001, v[4:5]
	s_xor_b32 s74, exec_lo, s13
	s_cbranch_execz .LBB6_503
; %bb.494:                              ;   in Loop: Header=BB6_356 Depth=4
	v_mov_b32_e32 v101, 0
	s_mov_b32 s75, exec_lo
	v_cmpx_ne_u32_e32 0, v0
	s_cbranch_execz .LBB6_502
; %bb.495:                              ;   in Loop: Header=BB6_356 Depth=4
	v_bfe_u32 v4, v0, 23, 8
	v_and_b32_e32 v5, 0x7fffff, v0
	s_mov_b32 s76, exec_lo
	s_delay_alu instid0(VALU_DEP_2) | instskip(SKIP_3) | instid1(VALU_DEP_1)
	v_dual_mov_b32 v53, v3 :: v_dual_sub_nc_u32 v0, 0x79, v4
	v_cmp_gt_u32_e64 s13, 0x7a, v4
	v_cmp_eq_u32_e32 vcc_lo, 0, v4
	v_or_b32_e32 v31, 0x800000, v5
	v_dual_cndmask_b32 v0, 0, v0, s13 :: v_dual_cndmask_b32 v52, v31, v5, vcc_lo
	s_delay_alu instid0(VALU_DEP_1) | instskip(NEXT) | instid1(VALU_DEP_1)
	v_cndmask_b32_e64 v0, v0, 0x78, vcc_lo
	v_add_nc_u32_e32 v5, 20, v0
	s_delay_alu instid0(VALU_DEP_3) | instskip(NEXT) | instid1(VALU_DEP_2)
	v_lshrrev_b64 v[106:107], v0, v[52:53]
	v_lshlrev_b64_e64 v[66:67], v5, -1
	v_add_nc_u32_e32 v5, 19, v0
	s_delay_alu instid0(VALU_DEP_3) | instskip(NEXT) | instid1(VALU_DEP_2)
	v_mov_b64_e32 v[108:109], v[106:107]
	v_lshlrev_b64_e64 v[96:97], v5, 1
	s_delay_alu instid0(VALU_DEP_4) | instskip(SKIP_1) | instid1(VALU_DEP_1)
	v_bfi_b32 v67, v67, 0, 0
	v_bfi_b32 v66, v66, 0, v52
	v_cmpx_eq_u64_e64 v[66:67], v[96:97]
; %bb.496:                              ;   in Loop: Header=BB6_356 Depth=4
	v_bfe_u32 v52, v106, 20, 1
	v_mov_b32_e32 v53, v3
	s_delay_alu instid0(VALU_DEP_1) | instskip(NEXT) | instid1(VALU_DEP_1)
	v_add_nc_u64_e32 v[52:53], v[106:107], v[52:53]
	v_add_nc_u64_e32 v[108:109], -1, v[52:53]
; %bb.497:                              ;   in Loop: Header=BB6_356 Depth=4
	s_or_b32 exec_lo, exec_lo, s76
	v_dual_mov_b32 v107, v3 :: v_dual_add_nc_u32 v4, 0xffffff81, v4
	v_lshrrev_b32_e32 v5, 23, v106
	s_mov_b32 s13, exec_lo
	s_delay_alu instid0(VALU_DEP_2) | instskip(NEXT) | instid1(VALU_DEP_1)
	v_cndmask_b32_e64 v4, v4, 0xffffff82, vcc_lo
	v_add3_u32 v5, v0, v4, v5
	v_and_b32_e32 v0, 0xfffff, v108
	s_delay_alu instid0(VALU_DEP_1) | instskip(NEXT) | instid1(VALU_DEP_1)
	v_dual_add_nc_u32 v4, 6, v5 :: v_dual_add_nc_u32 v106, v0, v106
                                        ; implicit-def: $vgpr0
	v_cmpx_ne_u32_e32 0, v4
	s_xor_b32 s13, exec_lo, s13
; %bb.498:                              ;   in Loop: Header=BB6_356 Depth=4
	s_delay_alu instid0(VALU_DEP_2) | instskip(SKIP_1) | instid1(VALU_DEP_1)
	v_cmp_lt_u64_e32 vcc_lo, 0xffffff, v[106:107]
	v_add_nc_u32_e32 v0, 7, v5
	v_cndmask_b32_e32 v0, v4, v0, vcc_lo
	v_cndmask_b32_e64 v4, 0, 1, vcc_lo
	s_delay_alu instid0(VALU_DEP_1)
	v_lshrrev_b64 v[106:107], v4, v[106:107]
; %bb.499:                              ;   in Loop: Header=BB6_356 Depth=4
	s_and_not1_saveexec_b32 s13, s13
; %bb.500:                              ;   in Loop: Header=BB6_356 Depth=4
	s_delay_alu instid0(VALU_DEP_1)
	v_bfe_u32 v0, v106, 23, 1
; %bb.501:                              ;   in Loop: Header=BB6_356 Depth=4
	s_or_b32 exec_lo, exec_lo, s13
	s_delay_alu instid0(VALU_DEP_2) | instskip(NEXT) | instid1(VALU_DEP_2)
	v_lshrrev_b64 v[4:5], 20, v[106:107]
	v_cmp_gt_i32_e32 vcc_lo, 16, v0
	v_min_i32_e32 v31, 15, v0
	v_cmp_eq_u32_e64 s13, 0, v0
	s_delay_alu instid0(VALU_DEP_2) | instskip(SKIP_1) | instid1(VALU_DEP_2)
	v_dual_cndmask_b32 v5, 0, v5, vcc_lo :: v_dual_lshlrev_b32 v31, 3, v31
	v_cndmask_b32_e32 v4, 7, v4, vcc_lo
	v_and_b32_e32 v31, 0xf8, v31
	s_delay_alu instid0(VALU_DEP_2) | instskip(NEXT) | instid1(VALU_DEP_2)
	v_cmp_eq_u64_e32 vcc_lo, 0, v[4:5]
	v_and_or_b32 v0, v4, 7, v31
	s_and_b32 s13, s13, vcc_lo
	s_delay_alu instid0(VALU_DEP_1) | instid1(SALU_CYCLE_1)
	v_cndmask_b32_e64 v0, v0, 0, s13
	s_delay_alu instid0(VALU_DEP_1)
	v_or_b32_e32 v101, v0, v1
.LBB6_502:                              ;   in Loop: Header=BB6_356 Depth=4
	s_or_b32 exec_lo, exec_lo, s75
                                        ; implicit-def: $vgpr1
.LBB6_503:                              ;   in Loop: Header=BB6_356 Depth=4
	s_and_not1_saveexec_b32 s13, s74
; %bb.504:                              ;   in Loop: Header=BB6_356 Depth=4
	v_or_b32_e32 v101, 0x7e, v1
; %bb.505:                              ;   in Loop: Header=BB6_356 Depth=4
	s_or_b32 exec_lo, exec_lo, s13
                                        ; implicit-def: $vgpr1
.LBB6_506:                              ;   in Loop: Header=BB6_356 Depth=4
	s_and_not1_saveexec_b32 s13, s73
; %bb.507:                              ;   in Loop: Header=BB6_356 Depth=4
	v_or_b32_e32 v101, 0x7f, v1
; %bb.508:                              ;   in Loop: Header=BB6_356 Depth=4
	s_or_b32 exec_lo, exec_lo, s13
	v_lshrrev_b16 v0, 8, v2
	v_dual_mov_b32 v1, 0 :: v_dual_mov_b32 v4, 0
	s_mov_b32 s13, exec_lo
	s_delay_alu instid0(VALU_DEP_2)
	v_cmpx_ne_u16_e32 0, v0
	s_cbranch_execz .LBB6_516
; %bb.509:                              ;   in Loop: Header=BB6_356 Depth=4
	v_bfrev_b32_e32 v4, 1
	s_mov_b32 s73, exec_lo
	v_cmpx_ne_u16_e32 0x80, v0
	s_cbranch_execz .LBB6_515
; %bb.510:                              ;   in Loop: Header=BB6_356 Depth=4
	v_and_b32_e32 v0, 0xffff, v0
	v_mov_b32_e32 v4, 0x7f800001
	s_mov_b32 s74, exec_lo
	s_delay_alu instid0(VALU_DEP_2) | instskip(NEXT) | instid1(VALU_DEP_1)
	v_and_b32_e32 v5, 0x7f, v0
	v_cmpx_ne_u32_e32 0x7f, v5
	s_cbranch_execz .LBB6_514
; %bb.511:                              ;   in Loop: Header=BB6_356 Depth=4
	v_dual_mov_b32 v107, v3 :: v_dual_bitop2_b32 v106, 7, v0 bitop3:0x40
	v_lshrrev_b32_e32 v0, 3, v5
	s_mov_b32 s75, exec_lo
	v_cmpx_gt_u32_e32 8, v5
; %bb.512:                              ;   in Loop: Header=BB6_356 Depth=4
	s_delay_alu instid0(VALU_DEP_3) | instskip(NEXT) | instid1(VALU_DEP_1)
	v_clz_i32_u32_e32 v0, v106
	v_min_u32_e32 v0, 32, v0
	s_delay_alu instid0(VALU_DEP_1) | instskip(SKIP_1) | instid1(VALU_DEP_2)
	v_subrev_nc_u32_e32 v4, 28, v0
	v_sub_nc_u32_e32 v0, 29, v0
	v_lshlrev_b64_e32 v[4:5], v4, v[106:107]
	s_delay_alu instid0(VALU_DEP_1)
	v_and_b32_e32 v106, 7, v4
; %bb.513:                              ;   in Loop: Header=BB6_356 Depth=4
	s_or_b32 exec_lo, exec_lo, s75
	v_lshlrev_b32_e32 v2, 16, v2
	s_delay_alu instid0(VALU_DEP_2) | instskip(SKIP_1) | instid1(VALU_DEP_3)
	v_lshlrev_b32_e32 v4, 20, v106
	v_lshl_add_u32 v0, v0, 23, 0x3c000000
	v_and_b32_e32 v2, 0x80000000, v2
	s_delay_alu instid0(VALU_DEP_1)
	v_or3_b32 v4, v4, v2, v0
.LBB6_514:                              ;   in Loop: Header=BB6_356 Depth=4
	s_or_b32 exec_lo, exec_lo, s74
.LBB6_515:                              ;   in Loop: Header=BB6_356 Depth=4
	s_delay_alu instid0(SALU_CYCLE_1)
	s_or_b32 exec_lo, exec_lo, s73
.LBB6_516:                              ;   in Loop: Header=BB6_356 Depth=4
	s_delay_alu instid0(SALU_CYCLE_1) | instskip(SKIP_2) | instid1(VALU_DEP_1)
	s_or_b32 exec_lo, exec_lo, s13
	v_lshrrev_b16 v0, 8, v37
	s_mov_b32 s13, exec_lo
	v_cmpx_ne_u16_e32 0, v0
	s_cbranch_execz .LBB6_524
; %bb.517:                              ;   in Loop: Header=BB6_356 Depth=4
	v_bfrev_b32_e32 v1, 1
	s_mov_b32 s73, exec_lo
	v_cmpx_ne_u16_e32 0x80, v0
	s_cbranch_execz .LBB6_523
; %bb.518:                              ;   in Loop: Header=BB6_356 Depth=4
	v_and_b32_e32 v0, 0xffff, v0
	v_mov_b32_e32 v1, 0x7f800001
	s_mov_b32 s74, exec_lo
	s_delay_alu instid0(VALU_DEP_2) | instskip(NEXT) | instid1(VALU_DEP_1)
	v_and_b32_e32 v5, 0x7f, v0
	v_cmpx_ne_u32_e32 0x7f, v5
	s_cbranch_execz .LBB6_522
; %bb.519:                              ;   in Loop: Header=BB6_356 Depth=4
	v_dual_lshrrev_b32 v0, 3, v5 :: v_dual_bitop2_b32 v2, 7, v0 bitop3:0x40
	s_mov_b32 s75, exec_lo
	v_cmpx_gt_u32_e32 8, v5
; %bb.520:                              ;   in Loop: Header=BB6_356 Depth=4
	s_delay_alu instid0(VALU_DEP_2) | instskip(NEXT) | instid1(VALU_DEP_1)
	v_clz_i32_u32_e32 v0, v2
	v_min_u32_e32 v0, 32, v0
	s_delay_alu instid0(VALU_DEP_1) | instskip(SKIP_1) | instid1(VALU_DEP_2)
	v_subrev_nc_u32_e32 v1, 28, v0
	v_sub_nc_u32_e32 v0, 29, v0
	v_lshlrev_b64_e32 v[52:53], v1, v[2:3]
	s_delay_alu instid0(VALU_DEP_1)
	v_and_b32_e32 v2, 7, v52
; %bb.521:                              ;   in Loop: Header=BB6_356 Depth=4
	s_or_b32 exec_lo, exec_lo, s75
	s_delay_alu instid0(VALU_DEP_1) | instskip(SKIP_1) | instid1(VALU_DEP_2)
	v_dual_lshlrev_b32 v1, 16, v37 :: v_dual_lshlrev_b32 v2, 20, v2
	v_lshl_add_u32 v0, v0, 23, 0x3c000000
	v_and_b32_e32 v1, 0x80000000, v1
	s_delay_alu instid0(VALU_DEP_1)
	v_or3_b32 v1, v2, v1, v0
.LBB6_522:                              ;   in Loop: Header=BB6_356 Depth=4
	s_or_b32 exec_lo, exec_lo, s74
.LBB6_523:                              ;   in Loop: Header=BB6_356 Depth=4
	s_delay_alu instid0(SALU_CYCLE_1)
	s_or_b32 exec_lo, exec_lo, s73
.LBB6_524:                              ;   in Loop: Header=BB6_356 Depth=4
	s_delay_alu instid0(SALU_CYCLE_1) | instskip(NEXT) | instid1(VALU_DEP_1)
	s_or_b32 exec_lo, exec_lo, s13
	v_add_f32_e32 v0, v4, v1
                                        ; implicit-def: $vgpr4
	s_mov_b32 s13, exec_lo
	s_delay_alu instid0(VALU_DEP_1) | instskip(SKIP_1) | instid1(VALU_DEP_2)
	v_and_b32_e32 v2, 0x7f800000, v0
	v_lshrrev_b32_e32 v1, 24, v0
	v_cmpx_ne_u64_e32 0x7f800000, v[2:3]
	s_xor_b32 s73, exec_lo, s13
	s_cbranch_execz .LBB6_538
; %bb.525:                              ;   in Loop: Header=BB6_356 Depth=4
	v_and_b32_e32 v2, 0x7fffffff, v0
	v_and_b32_e32 v1, 0x80, v1
                                        ; implicit-def: $vgpr4
	s_mov_b32 s13, exec_lo
	s_delay_alu instid0(VALU_DEP_2)
	v_cmpx_gt_u64_e32 0x43e00001, v[2:3]
	s_xor_b32 s74, exec_lo, s13
	s_cbranch_execz .LBB6_535
; %bb.526:                              ;   in Loop: Header=BB6_356 Depth=4
	v_mov_b32_e32 v4, 0
	s_mov_b32 s75, exec_lo
	v_cmpx_ne_u32_e32 0, v0
	s_cbranch_execz .LBB6_534
; %bb.527:                              ;   in Loop: Header=BB6_356 Depth=4
	v_bfe_u32 v4, v0, 23, 8
	v_and_b32_e32 v2, 0x7fffff, v0
	s_mov_b32 s76, exec_lo
	s_delay_alu instid0(VALU_DEP_2) | instskip(SKIP_3) | instid1(VALU_DEP_1)
	v_cmp_gt_u32_e64 s13, 0x7a, v4
	v_sub_nc_u32_e32 v0, 0x79, v4
	v_cmp_eq_u32_e32 vcc_lo, 0, v4
	v_or_b32_e32 v5, 0x800000, v2
	v_dual_cndmask_b32 v0, 0, v0, s13 :: v_dual_cndmask_b32 v2, v5, v2, vcc_lo
	s_delay_alu instid0(VALU_DEP_1) | instskip(NEXT) | instid1(VALU_DEP_1)
	v_cndmask_b32_e64 v0, v0, 0x78, vcc_lo
	v_add_nc_u32_e32 v5, 20, v0
	s_delay_alu instid0(VALU_DEP_3) | instskip(NEXT) | instid1(VALU_DEP_2)
	v_lshrrev_b64 v[106:107], v0, v[2:3]
	v_lshlrev_b64_e64 v[52:53], v5, -1
	v_add_nc_u32_e32 v5, 19, v0
	s_delay_alu instid0(VALU_DEP_3) | instskip(NEXT) | instid1(VALU_DEP_2)
	v_mov_b64_e32 v[108:109], v[106:107]
	v_lshlrev_b64_e64 v[66:67], v5, 1
	s_delay_alu instid0(VALU_DEP_4) | instskip(SKIP_1) | instid1(VALU_DEP_1)
	v_bfi_b32 v53, v53, 0, 0
	v_bfi_b32 v52, v52, 0, v2
	v_cmpx_eq_u64_e64 v[52:53], v[66:67]
; %bb.528:                              ;   in Loop: Header=BB6_356 Depth=4
	v_bfe_u32 v2, v106, 20, 1
	s_delay_alu instid0(VALU_DEP_1) | instskip(NEXT) | instid1(VALU_DEP_1)
	v_add_nc_u64_e32 v[52:53], v[106:107], v[2:3]
	v_add_nc_u64_e32 v[108:109], -1, v[52:53]
; %bb.529:                              ;   in Loop: Header=BB6_356 Depth=4
	s_or_b32 exec_lo, exec_lo, s76
	v_add_nc_u32_e32 v2, 0xffffff81, v4
	v_lshrrev_b32_e32 v4, 23, v106
	s_mov_b32 s13, exec_lo
	s_delay_alu instid0(VALU_DEP_2) | instskip(NEXT) | instid1(VALU_DEP_1)
	v_cndmask_b32_e64 v2, v2, 0xffffff82, vcc_lo
	v_add3_u32 v5, v0, v2, v4
	v_and_b32_e32 v0, 0xfffff, v108
	s_delay_alu instid0(VALU_DEP_1) | instskip(NEXT) | instid1(VALU_DEP_1)
	v_dual_add_nc_u32 v4, 6, v5 :: v_dual_add_nc_u32 v2, v0, v106
                                        ; implicit-def: $vgpr106_vgpr107
                                        ; implicit-def: $vgpr0
	v_cmpx_ne_u32_e32 0, v4
	s_xor_b32 s13, exec_lo, s13
; %bb.530:                              ;   in Loop: Header=BB6_356 Depth=4
	s_delay_alu instid0(VALU_DEP_2) | instskip(SKIP_1) | instid1(VALU_DEP_1)
	v_cmp_lt_u64_e32 vcc_lo, 0xffffff, v[2:3]
	v_add_nc_u32_e32 v0, 7, v5
	v_cndmask_b32_e32 v0, v4, v0, vcc_lo
	v_cndmask_b32_e64 v4, 0, 1, vcc_lo
	s_delay_alu instid0(VALU_DEP_1)
	v_lshrrev_b64 v[106:107], v4, v[2:3]
; %bb.531:                              ;   in Loop: Header=BB6_356 Depth=4
	s_and_not1_saveexec_b32 s13, s13
; %bb.532:                              ;   in Loop: Header=BB6_356 Depth=4
	v_mov_b64_e32 v[106:107], v[2:3]
	v_bfe_u32 v0, v2, 23, 1
; %bb.533:                              ;   in Loop: Header=BB6_356 Depth=4
	s_or_b32 exec_lo, exec_lo, s13
	s_delay_alu instid0(VALU_DEP_2) | instskip(NEXT) | instid1(VALU_DEP_2)
	v_lshrrev_b64 v[4:5], 20, v[106:107]
	v_cmp_gt_i32_e32 vcc_lo, 16, v0
	v_min_i32_e32 v2, 15, v0
	v_cmp_eq_u32_e64 s13, 0, v0
	s_delay_alu instid0(VALU_DEP_2) | instskip(SKIP_1) | instid1(VALU_DEP_2)
	v_dual_cndmask_b32 v5, 0, v5 :: v_dual_lshlrev_b32 v2, 3, v2
	v_cndmask_b32_e32 v4, 7, v4, vcc_lo
	v_and_b32_e32 v2, 0xf8, v2
	s_delay_alu instid0(VALU_DEP_2) | instskip(NEXT) | instid1(VALU_DEP_2)
	v_cmp_eq_u64_e32 vcc_lo, 0, v[4:5]
	v_and_or_b32 v0, v4, 7, v2
	s_and_b32 s13, s13, vcc_lo
	s_delay_alu instid0(VALU_DEP_1) | instid1(SALU_CYCLE_1)
	v_cndmask_b32_e64 v0, v0, 0, s13
	s_delay_alu instid0(VALU_DEP_1)
	v_or_b32_e32 v4, v0, v1
.LBB6_534:                              ;   in Loop: Header=BB6_356 Depth=4
	s_or_b32 exec_lo, exec_lo, s75
                                        ; implicit-def: $vgpr1
.LBB6_535:                              ;   in Loop: Header=BB6_356 Depth=4
	s_and_not1_saveexec_b32 s13, s74
; %bb.536:                              ;   in Loop: Header=BB6_356 Depth=4
	v_or_b32_e32 v4, 0x7e, v1
; %bb.537:                              ;   in Loop: Header=BB6_356 Depth=4
	s_or_b32 exec_lo, exec_lo, s13
                                        ; implicit-def: $vgpr1
.LBB6_538:                              ;   in Loop: Header=BB6_356 Depth=4
	s_and_not1_saveexec_b32 s13, s73
; %bb.539:                              ;   in Loop: Header=BB6_356 Depth=4
	v_or_b32_e32 v4, 0x7f, v1
; %bb.540:                              ;   in Loop: Header=BB6_356 Depth=4
	s_or_b32 exec_lo, exec_lo, s13
	v_dual_mov_b32 v1, 0 :: v_dual_lshrrev_b32 v0, 16, v49
	v_mov_b32_e32 v5, 0
	s_mov_b32 s13, exec_lo
	s_delay_alu instid0(VALU_DEP_2) | instskip(NEXT) | instid1(VALU_DEP_1)
	v_and_b32_e32 v2, 0xff, v0
	v_cmpx_ne_u16_e32 0, v2
	s_cbranch_execz .LBB6_548
; %bb.541:                              ;   in Loop: Header=BB6_356 Depth=4
	v_bfrev_b32_e32 v5, 1
	s_mov_b32 s73, exec_lo
	v_cmpx_ne_u16_e32 0x80, v2
	s_cbranch_execz .LBB6_547
; %bb.542:                              ;   in Loop: Header=BB6_356 Depth=4
	v_bfe_u32 v31, v49, 16, 7
	v_mov_b32_e32 v5, 0x7f800001
	s_mov_b32 s74, exec_lo
	s_delay_alu instid0(VALU_DEP_2)
	v_cmpx_ne_u32_e32 0x7f, v31
	s_cbranch_execz .LBB6_546
; %bb.543:                              ;   in Loop: Header=BB6_356 Depth=4
	v_dual_lshrrev_b32 v5, 3, v31 :: v_dual_bitop2_b32 v2, 7, v0 bitop3:0x40
	s_mov_b32 s75, exec_lo
	v_cmpx_gt_u32_e32 8, v31
; %bb.544:                              ;   in Loop: Header=BB6_356 Depth=4
	s_delay_alu instid0(VALU_DEP_2) | instskip(NEXT) | instid1(VALU_DEP_1)
	v_clz_i32_u32_e32 v5, v2
	v_min_u32_e32 v5, 32, v5
	s_delay_alu instid0(VALU_DEP_1) | instskip(NEXT) | instid1(VALU_DEP_1)
	v_subrev_nc_u32_e32 v31, 28, v5
	v_lshlrev_b64_e32 v[52:53], v31, v[2:3]
	s_delay_alu instid0(VALU_DEP_1)
	v_dual_sub_nc_u32 v5, 29, v5 :: v_dual_bitop2_b32 v2, 7, v52 bitop3:0x40
; %bb.545:                              ;   in Loop: Header=BB6_356 Depth=4
	s_or_b32 exec_lo, exec_lo, s75
	s_delay_alu instid0(VALU_DEP_1) | instskip(NEXT) | instid1(VALU_DEP_2)
	v_dual_lshlrev_b32 v0, 24, v0 :: v_dual_lshlrev_b32 v2, 20, v2
	v_lshl_add_u32 v5, v5, 23, 0x3c000000
	s_delay_alu instid0(VALU_DEP_2) | instskip(NEXT) | instid1(VALU_DEP_1)
	v_and_b32_e32 v0, 0x80000000, v0
	v_or3_b32 v5, v2, v0, v5
.LBB6_546:                              ;   in Loop: Header=BB6_356 Depth=4
	s_or_b32 exec_lo, exec_lo, s74
.LBB6_547:                              ;   in Loop: Header=BB6_356 Depth=4
	s_delay_alu instid0(SALU_CYCLE_1)
	s_or_b32 exec_lo, exec_lo, s73
.LBB6_548:                              ;   in Loop: Header=BB6_356 Depth=4
	s_delay_alu instid0(SALU_CYCLE_1) | instskip(SKIP_2) | instid1(VALU_DEP_1)
	s_or_b32 exec_lo, exec_lo, s13
	v_lshrrev_b32_e32 v0, 16, v37
	s_mov_b32 s13, exec_lo
	v_and_b32_e32 v2, 0xff, v0
	s_delay_alu instid0(VALU_DEP_1)
	v_cmpx_ne_u16_e32 0, v2
	s_cbranch_execz .LBB6_556
; %bb.549:                              ;   in Loop: Header=BB6_356 Depth=4
	v_bfrev_b32_e32 v1, 1
	s_mov_b32 s73, exec_lo
	v_cmpx_ne_u16_e32 0x80, v2
	s_cbranch_execz .LBB6_555
; %bb.550:                              ;   in Loop: Header=BB6_356 Depth=4
	v_bfe_u32 v31, v37, 16, 7
	v_mov_b32_e32 v1, 0x7f800001
	s_mov_b32 s74, exec_lo
	s_delay_alu instid0(VALU_DEP_2)
	v_cmpx_ne_u32_e32 0x7f, v31
	s_cbranch_execz .LBB6_554
; %bb.551:                              ;   in Loop: Header=BB6_356 Depth=4
	v_dual_lshrrev_b32 v0, 3, v31 :: v_dual_bitop2_b32 v2, 7, v0 bitop3:0x40
	s_mov_b32 s75, exec_lo
	v_cmpx_gt_u32_e32 8, v31
; %bb.552:                              ;   in Loop: Header=BB6_356 Depth=4
	s_delay_alu instid0(VALU_DEP_2) | instskip(NEXT) | instid1(VALU_DEP_1)
	v_clz_i32_u32_e32 v0, v2
	v_min_u32_e32 v0, 32, v0
	s_delay_alu instid0(VALU_DEP_1) | instskip(SKIP_1) | instid1(VALU_DEP_2)
	v_subrev_nc_u32_e32 v1, 28, v0
	v_sub_nc_u32_e32 v0, 29, v0
	v_lshlrev_b64_e32 v[52:53], v1, v[2:3]
	s_delay_alu instid0(VALU_DEP_1)
	v_and_b32_e32 v2, 7, v52
; %bb.553:                              ;   in Loop: Header=BB6_356 Depth=4
	s_or_b32 exec_lo, exec_lo, s75
	s_delay_alu instid0(VALU_DEP_1) | instskip(SKIP_1) | instid1(VALU_DEP_2)
	v_dual_lshlrev_b32 v1, 8, v37 :: v_dual_lshlrev_b32 v2, 20, v2
	v_lshl_add_u32 v0, v0, 23, 0x3c000000
	v_and_b32_e32 v1, 0x80000000, v1
	s_delay_alu instid0(VALU_DEP_1)
	v_or3_b32 v1, v2, v1, v0
.LBB6_554:                              ;   in Loop: Header=BB6_356 Depth=4
	s_or_b32 exec_lo, exec_lo, s74
.LBB6_555:                              ;   in Loop: Header=BB6_356 Depth=4
	s_delay_alu instid0(SALU_CYCLE_1)
	s_or_b32 exec_lo, exec_lo, s73
.LBB6_556:                              ;   in Loop: Header=BB6_356 Depth=4
	s_delay_alu instid0(SALU_CYCLE_1) | instskip(NEXT) | instid1(VALU_DEP_1)
	s_or_b32 exec_lo, exec_lo, s13
	v_add_f32_e32 v0, v5, v1
                                        ; implicit-def: $vgpr5
	s_mov_b32 s13, exec_lo
	s_delay_alu instid0(VALU_DEP_1) | instskip(SKIP_1) | instid1(VALU_DEP_2)
	v_and_b32_e32 v2, 0x7f800000, v0
	v_lshrrev_b32_e32 v1, 24, v0
	v_cmpx_ne_u64_e32 0x7f800000, v[2:3]
	s_xor_b32 s73, exec_lo, s13
	s_cbranch_execz .LBB6_570
; %bb.557:                              ;   in Loop: Header=BB6_356 Depth=4
	v_and_b32_e32 v2, 0x7fffffff, v0
	v_and_b32_e32 v1, 0x80, v1
                                        ; implicit-def: $vgpr5
	s_mov_b32 s13, exec_lo
	s_delay_alu instid0(VALU_DEP_2)
	v_cmpx_gt_u64_e32 0x43e00001, v[2:3]
	s_xor_b32 s74, exec_lo, s13
	s_cbranch_execz .LBB6_567
; %bb.558:                              ;   in Loop: Header=BB6_356 Depth=4
	v_mov_b32_e32 v5, 0
	s_mov_b32 s75, exec_lo
	v_cmpx_ne_u32_e32 0, v0
	s_cbranch_execz .LBB6_566
; %bb.559:                              ;   in Loop: Header=BB6_356 Depth=4
	v_bfe_u32 v5, v0, 23, 8
	v_and_b32_e32 v2, 0x7fffff, v0
	s_mov_b32 s76, exec_lo
	s_delay_alu instid0(VALU_DEP_2) | instskip(SKIP_3) | instid1(VALU_DEP_1)
	v_cmp_gt_u32_e64 s13, 0x7a, v5
	v_sub_nc_u32_e32 v0, 0x79, v5
	v_cmp_eq_u32_e32 vcc_lo, 0, v5
	v_or_b32_e32 v31, 0x800000, v2
	v_dual_cndmask_b32 v0, 0, v0, s13 :: v_dual_cndmask_b32 v2, v31, v2, vcc_lo
	s_delay_alu instid0(VALU_DEP_1) | instskip(NEXT) | instid1(VALU_DEP_1)
	v_cndmask_b32_e64 v0, v0, 0x78, vcc_lo
	v_add_nc_u32_e32 v31, 20, v0
	s_delay_alu instid0(VALU_DEP_3) | instskip(NEXT) | instid1(VALU_DEP_2)
	v_lshrrev_b64 v[106:107], v0, v[2:3]
	v_lshlrev_b64_e64 v[52:53], v31, -1
	v_add_nc_u32_e32 v31, 19, v0
	s_delay_alu instid0(VALU_DEP_3) | instskip(NEXT) | instid1(VALU_DEP_2)
	v_mov_b64_e32 v[108:109], v[106:107]
	v_lshlrev_b64_e64 v[66:67], v31, 1
	s_delay_alu instid0(VALU_DEP_4) | instskip(SKIP_1) | instid1(VALU_DEP_1)
	v_bfi_b32 v53, v53, 0, 0
	v_bfi_b32 v52, v52, 0, v2
	v_cmpx_eq_u64_e64 v[52:53], v[66:67]
; %bb.560:                              ;   in Loop: Header=BB6_356 Depth=4
	v_bfe_u32 v2, v106, 20, 1
	s_delay_alu instid0(VALU_DEP_1) | instskip(NEXT) | instid1(VALU_DEP_1)
	v_add_nc_u64_e32 v[52:53], v[106:107], v[2:3]
	v_add_nc_u64_e32 v[108:109], -1, v[52:53]
; %bb.561:                              ;   in Loop: Header=BB6_356 Depth=4
	s_or_b32 exec_lo, exec_lo, s76
	v_add_nc_u32_e32 v2, 0xffffff81, v5
	v_lshrrev_b32_e32 v5, 23, v106
	s_mov_b32 s13, exec_lo
	s_delay_alu instid0(VALU_DEP_2) | instskip(NEXT) | instid1(VALU_DEP_1)
	v_cndmask_b32_e64 v2, v2, 0xffffff82, vcc_lo
	v_add3_u32 v31, v0, v2, v5
	v_and_b32_e32 v0, 0xfffff, v108
	s_delay_alu instid0(VALU_DEP_1) | instskip(NEXT) | instid1(VALU_DEP_1)
	v_dual_add_nc_u32 v5, 6, v31 :: v_dual_add_nc_u32 v2, v0, v106
                                        ; implicit-def: $vgpr106_vgpr107
                                        ; implicit-def: $vgpr0
	v_cmpx_ne_u32_e32 0, v5
	s_xor_b32 s13, exec_lo, s13
; %bb.562:                              ;   in Loop: Header=BB6_356 Depth=4
	s_delay_alu instid0(VALU_DEP_2) | instskip(SKIP_1) | instid1(VALU_DEP_1)
	v_cmp_lt_u64_e32 vcc_lo, 0xffffff, v[2:3]
	v_add_nc_u32_e32 v0, 7, v31
	v_cndmask_b32_e32 v0, v5, v0, vcc_lo
	v_cndmask_b32_e64 v5, 0, 1, vcc_lo
	s_delay_alu instid0(VALU_DEP_1)
	v_lshrrev_b64 v[106:107], v5, v[2:3]
; %bb.563:                              ;   in Loop: Header=BB6_356 Depth=4
	s_and_not1_saveexec_b32 s13, s13
; %bb.564:                              ;   in Loop: Header=BB6_356 Depth=4
	v_mov_b64_e32 v[106:107], v[2:3]
	v_bfe_u32 v0, v2, 23, 1
; %bb.565:                              ;   in Loop: Header=BB6_356 Depth=4
	s_or_b32 exec_lo, exec_lo, s13
	s_delay_alu instid0(VALU_DEP_2) | instskip(NEXT) | instid1(VALU_DEP_2)
	v_lshrrev_b64 v[52:53], 20, v[106:107]
	v_cmp_gt_i32_e32 vcc_lo, 16, v0
	v_min_i32_e32 v2, 15, v0
	v_cmp_eq_u32_e64 s13, 0, v0
	s_delay_alu instid0(VALU_DEP_2) | instskip(SKIP_1) | instid1(VALU_DEP_2)
	v_dual_cndmask_b32 v53, 0, v53 :: v_dual_lshlrev_b32 v2, 3, v2
	v_cndmask_b32_e32 v52, 7, v52, vcc_lo
	v_and_b32_e32 v2, 0xf8, v2
	s_delay_alu instid0(VALU_DEP_2) | instskip(NEXT) | instid1(VALU_DEP_2)
	v_cmp_eq_u64_e32 vcc_lo, 0, v[52:53]
	v_and_or_b32 v0, v52, 7, v2
	s_and_b32 s13, s13, vcc_lo
	s_delay_alu instid0(VALU_DEP_1) | instid1(SALU_CYCLE_1)
	v_cndmask_b32_e64 v0, v0, 0, s13
	s_delay_alu instid0(VALU_DEP_1)
	v_or_b32_e32 v5, v0, v1
.LBB6_566:                              ;   in Loop: Header=BB6_356 Depth=4
	s_or_b32 exec_lo, exec_lo, s75
                                        ; implicit-def: $vgpr1
.LBB6_567:                              ;   in Loop: Header=BB6_356 Depth=4
	s_and_not1_saveexec_b32 s13, s74
; %bb.568:                              ;   in Loop: Header=BB6_356 Depth=4
	v_or_b32_e32 v5, 0x7e, v1
; %bb.569:                              ;   in Loop: Header=BB6_356 Depth=4
	s_or_b32 exec_lo, exec_lo, s13
                                        ; implicit-def: $vgpr1
.LBB6_570:                              ;   in Loop: Header=BB6_356 Depth=4
	s_and_not1_saveexec_b32 s13, s73
; %bb.571:                              ;   in Loop: Header=BB6_356 Depth=4
	v_or_b32_e32 v5, 0x7f, v1
; %bb.572:                              ;   in Loop: Header=BB6_356 Depth=4
	s_or_b32 exec_lo, exec_lo, s13
	v_dual_mov_b32 v1, 0 :: v_dual_mov_b32 v31, 0
	s_mov_b32 s13, exec_lo
	v_cmpx_lt_u64_e64 s[22:23], v[48:49]
	s_cbranch_execz .LBB6_580
; %bb.573:                              ;   in Loop: Header=BB6_356 Depth=4
	v_lshrrev_b32_e32 v0, 24, v49
	v_bfrev_b32_e32 v31, 1
	s_mov_b32 s73, exec_lo
	s_delay_alu instid0(VALU_DEP_2)
	v_cmpx_ne_u32_e32 0x80, v0
	s_cbranch_execz .LBB6_579
; %bb.574:                              ;   in Loop: Header=BB6_356 Depth=4
	v_bfe_u32 v48, v49, 24, 7
	v_mov_b32_e32 v31, 0x7f800001
	s_mov_b32 s74, exec_lo
	s_delay_alu instid0(VALU_DEP_2)
	v_cmpx_ne_u32_e32 0x7f, v48
	s_cbranch_execz .LBB6_578
; %bb.575:                              ;   in Loop: Header=BB6_356 Depth=4
	v_and_b32_e32 v2, 7, v0
	v_lshrrev_b32_e32 v31, 3, v48
	s_mov_b32 s75, exec_lo
	v_cmpx_gt_u32_e32 8, v48
; %bb.576:                              ;   in Loop: Header=BB6_356 Depth=4
	s_delay_alu instid0(VALU_DEP_3) | instskip(NEXT) | instid1(VALU_DEP_1)
	v_clz_i32_u32_e32 v31, v2
	v_min_u32_e32 v31, 32, v31
	s_delay_alu instid0(VALU_DEP_1) | instskip(NEXT) | instid1(VALU_DEP_1)
	v_subrev_nc_u32_e32 v48, 28, v31
	v_lshlrev_b64_e32 v[48:49], v48, v[2:3]
	s_delay_alu instid0(VALU_DEP_1)
	v_dual_sub_nc_u32 v31, 29, v31 :: v_dual_bitop2_b32 v2, 7, v48 bitop3:0x40
; %bb.577:                              ;   in Loop: Header=BB6_356 Depth=4
	s_or_b32 exec_lo, exec_lo, s75
	s_delay_alu instid0(VALU_DEP_1) | instskip(NEXT) | instid1(VALU_DEP_2)
	v_dual_lshlrev_b32 v0, 24, v0 :: v_dual_lshlrev_b32 v2, 20, v2
	v_lshl_add_u32 v31, v31, 23, 0x3c000000
	s_delay_alu instid0(VALU_DEP_2) | instskip(NEXT) | instid1(VALU_DEP_1)
	v_and_b32_e32 v0, 0x80000000, v0
	v_or3_b32 v31, v2, v0, v31
.LBB6_578:                              ;   in Loop: Header=BB6_356 Depth=4
	s_or_b32 exec_lo, exec_lo, s74
.LBB6_579:                              ;   in Loop: Header=BB6_356 Depth=4
	s_delay_alu instid0(SALU_CYCLE_1)
	s_or_b32 exec_lo, exec_lo, s73
.LBB6_580:                              ;   in Loop: Header=BB6_356 Depth=4
	s_delay_alu instid0(SALU_CYCLE_1) | instskip(NEXT) | instid1(SALU_CYCLE_1)
	s_or_b32 exec_lo, exec_lo, s13
	s_mov_b32 s13, exec_lo
	v_cmpx_lt_u64_e64 s[22:23], v[36:37]
	s_cbranch_execz .LBB6_588
; %bb.581:                              ;   in Loop: Header=BB6_356 Depth=4
	v_lshrrev_b32_e32 v0, 24, v37
	v_bfrev_b32_e32 v1, 1
	s_mov_b32 s73, exec_lo
	s_delay_alu instid0(VALU_DEP_2)
	v_cmpx_ne_u32_e32 0x80, v0
	s_cbranch_execz .LBB6_587
; %bb.582:                              ;   in Loop: Header=BB6_356 Depth=4
	v_bfe_u32 v36, v37, 24, 7
	v_mov_b32_e32 v1, 0x7f800001
	s_mov_b32 s74, exec_lo
	s_delay_alu instid0(VALU_DEP_2)
	v_cmpx_ne_u32_e32 0x7f, v36
	s_cbranch_execz .LBB6_586
; %bb.583:                              ;   in Loop: Header=BB6_356 Depth=4
	v_and_b32_e32 v2, 7, v0
	v_lshrrev_b32_e32 v1, 3, v36
	s_mov_b32 s75, exec_lo
	v_cmpx_gt_u32_e32 8, v36
; %bb.584:                              ;   in Loop: Header=BB6_356 Depth=4
	s_delay_alu instid0(VALU_DEP_3) | instskip(NEXT) | instid1(VALU_DEP_1)
	v_clz_i32_u32_e32 v1, v2
	v_min_u32_e32 v1, 32, v1
	s_delay_alu instid0(VALU_DEP_1) | instskip(NEXT) | instid1(VALU_DEP_1)
	v_subrev_nc_u32_e32 v36, 28, v1
	v_lshlrev_b64_e32 v[36:37], v36, v[2:3]
	s_delay_alu instid0(VALU_DEP_1)
	v_dual_sub_nc_u32 v1, 29, v1 :: v_dual_bitop2_b32 v2, 7, v36 bitop3:0x40
; %bb.585:                              ;   in Loop: Header=BB6_356 Depth=4
	s_or_b32 exec_lo, exec_lo, s75
	s_delay_alu instid0(VALU_DEP_1) | instskip(NEXT) | instid1(VALU_DEP_2)
	v_dual_lshlrev_b32 v0, 24, v0 :: v_dual_lshlrev_b32 v2, 20, v2
	v_lshl_add_u32 v1, v1, 23, 0x3c000000
	s_delay_alu instid0(VALU_DEP_2) | instskip(NEXT) | instid1(VALU_DEP_1)
	v_and_b32_e32 v0, 0x80000000, v0
	v_or3_b32 v1, v2, v0, v1
.LBB6_586:                              ;   in Loop: Header=BB6_356 Depth=4
	s_or_b32 exec_lo, exec_lo, s74
.LBB6_587:                              ;   in Loop: Header=BB6_356 Depth=4
	s_delay_alu instid0(SALU_CYCLE_1)
	s_or_b32 exec_lo, exec_lo, s73
.LBB6_588:                              ;   in Loop: Header=BB6_356 Depth=4
	s_delay_alu instid0(SALU_CYCLE_1) | instskip(NEXT) | instid1(VALU_DEP_1)
	s_or_b32 exec_lo, exec_lo, s13
	v_add_f32_e32 v0, v31, v1
                                        ; implicit-def: $vgpr106
	s_mov_b32 s13, exec_lo
	s_delay_alu instid0(VALU_DEP_1) | instskip(SKIP_1) | instid1(VALU_DEP_2)
	v_and_b32_e32 v2, 0x7f800000, v0
	v_lshrrev_b32_e32 v1, 24, v0
	v_cmpx_ne_u64_e32 0x7f800000, v[2:3]
	s_xor_b32 s73, exec_lo, s13
	s_cbranch_execz .LBB6_602
; %bb.589:                              ;   in Loop: Header=BB6_356 Depth=4
	v_and_b32_e32 v2, 0x7fffffff, v0
	v_and_b32_e32 v1, 0x80, v1
                                        ; implicit-def: $vgpr106
	s_mov_b32 s13, exec_lo
	s_delay_alu instid0(VALU_DEP_2)
	v_cmpx_gt_u64_e32 0x43e00001, v[2:3]
	s_xor_b32 s74, exec_lo, s13
	s_cbranch_execz .LBB6_599
; %bb.590:                              ;   in Loop: Header=BB6_356 Depth=4
	v_mov_b32_e32 v106, 0
	s_mov_b32 s75, exec_lo
	v_cmpx_ne_u32_e32 0, v0
	s_cbranch_execz .LBB6_598
; %bb.591:                              ;   in Loop: Header=BB6_356 Depth=4
	v_bfe_u32 v31, v0, 23, 8
	v_and_b32_e32 v2, 0x7fffff, v0
	s_delay_alu instid0(VALU_DEP_2) | instskip(SKIP_2) | instid1(VALU_DEP_4)
	v_cmp_gt_u32_e64 s13, 0x7a, v31
	v_sub_nc_u32_e32 v0, 0x79, v31
	v_cmp_eq_u32_e32 vcc_lo, 0, v31
	v_or_b32_e32 v36, 0x800000, v2
	s_delay_alu instid0(VALU_DEP_1) | instskip(NEXT) | instid1(VALU_DEP_1)
	v_dual_cndmask_b32 v0, 0, v0, s13 :: v_dual_cndmask_b32 v2, v36, v2, vcc_lo
	v_cndmask_b32_e64 v0, v0, 0x78, vcc_lo
	s_delay_alu instid0(VALU_DEP_1) | instskip(NEXT) | instid1(VALU_DEP_1)
	v_dual_add_nc_u32 v36, 20, v0 :: v_dual_add_nc_u32 v48, 19, v0
	v_lshlrev_b64_e64 v[36:37], v36, -1
	s_delay_alu instid0(VALU_DEP_2) | instskip(NEXT) | instid1(VALU_DEP_2)
	v_lshlrev_b64_e64 v[48:49], v48, 1
	v_bfi_b32 v37, v37, 0, 0
	s_delay_alu instid0(VALU_DEP_3) | instskip(NEXT) | instid1(VALU_DEP_1)
	v_bfi_b32 v36, v36, 0, v2
	v_cmp_eq_u64_e64 s13, v[36:37], v[48:49]
	v_lshrrev_b64 v[36:37], v0, v[2:3]
	s_delay_alu instid0(VALU_DEP_1)
	v_mov_b64_e32 v[48:49], v[36:37]
	s_and_saveexec_b32 s76, s13
; %bb.592:                              ;   in Loop: Header=BB6_356 Depth=4
	v_bfe_u32 v2, v36, 20, 1
	s_delay_alu instid0(VALU_DEP_1) | instskip(NEXT) | instid1(VALU_DEP_1)
	v_add_nc_u64_e32 v[48:49], v[36:37], v[2:3]
	v_add_nc_u64_e32 v[48:49], -1, v[48:49]
; %bb.593:                              ;   in Loop: Header=BB6_356 Depth=4
	s_or_b32 exec_lo, exec_lo, s76
	v_add_nc_u32_e32 v2, 0xffffff81, v31
	v_lshrrev_b32_e32 v31, 23, v36
	s_mov_b32 s13, exec_lo
	s_delay_alu instid0(VALU_DEP_2) | instskip(NEXT) | instid1(VALU_DEP_1)
	v_cndmask_b32_e64 v2, v2, 0xffffff82, vcc_lo
	v_add3_u32 v49, v0, v2, v31
	v_and_b32_e32 v0, 0xfffff, v48
	s_delay_alu instid0(VALU_DEP_1) | instskip(NEXT) | instid1(VALU_DEP_1)
	v_dual_add_nc_u32 v31, 6, v49 :: v_dual_add_nc_u32 v2, v0, v36
                                        ; implicit-def: $vgpr36_vgpr37
                                        ; implicit-def: $vgpr0
	v_cmpx_ne_u32_e32 0, v31
	s_xor_b32 s13, exec_lo, s13
; %bb.594:                              ;   in Loop: Header=BB6_356 Depth=4
	s_delay_alu instid0(VALU_DEP_2) | instskip(SKIP_1) | instid1(VALU_DEP_1)
	v_cmp_lt_u64_e32 vcc_lo, 0xffffff, v[2:3]
	v_add_nc_u32_e32 v0, 7, v49
	v_cndmask_b32_e32 v0, v31, v0, vcc_lo
	v_cndmask_b32_e64 v31, 0, 1, vcc_lo
	s_delay_alu instid0(VALU_DEP_1)
	v_lshrrev_b64 v[36:37], v31, v[2:3]
; %bb.595:                              ;   in Loop: Header=BB6_356 Depth=4
	s_and_not1_saveexec_b32 s13, s13
; %bb.596:                              ;   in Loop: Header=BB6_356 Depth=4
	v_mov_b64_e32 v[36:37], v[2:3]
	v_bfe_u32 v0, v2, 23, 1
; %bb.597:                              ;   in Loop: Header=BB6_356 Depth=4
	s_or_b32 exec_lo, exec_lo, s13
	s_delay_alu instid0(VALU_DEP_2) | instskip(NEXT) | instid1(VALU_DEP_2)
	v_lshrrev_b64 v[36:37], 20, v[36:37]
	v_cmp_gt_i32_e32 vcc_lo, 16, v0
	v_min_i32_e32 v2, 15, v0
	v_cmp_eq_u32_e64 s13, 0, v0
	s_delay_alu instid0(VALU_DEP_2) | instskip(SKIP_1) | instid1(VALU_DEP_2)
	v_dual_cndmask_b32 v37, 0, v37 :: v_dual_lshlrev_b32 v2, 3, v2
	v_cndmask_b32_e32 v36, 7, v36, vcc_lo
	v_and_b32_e32 v2, 0xf8, v2
	s_delay_alu instid0(VALU_DEP_2) | instskip(NEXT) | instid1(VALU_DEP_2)
	v_cmp_eq_u64_e32 vcc_lo, 0, v[36:37]
	v_and_or_b32 v0, v36, 7, v2
	s_and_b32 s13, s13, vcc_lo
	s_delay_alu instid0(VALU_DEP_1) | instid1(SALU_CYCLE_1)
	v_cndmask_b32_e64 v0, v0, 0, s13
	s_delay_alu instid0(VALU_DEP_1)
	v_or_b32_e32 v106, v0, v1
.LBB6_598:                              ;   in Loop: Header=BB6_356 Depth=4
	s_or_b32 exec_lo, exec_lo, s75
                                        ; implicit-def: $vgpr1
.LBB6_599:                              ;   in Loop: Header=BB6_356 Depth=4
	s_and_not1_saveexec_b32 s13, s74
; %bb.600:                              ;   in Loop: Header=BB6_356 Depth=4
	v_or_b32_e32 v106, 0x7e, v1
; %bb.601:                              ;   in Loop: Header=BB6_356 Depth=4
	s_or_b32 exec_lo, exec_lo, s13
                                        ; implicit-def: $vgpr1
.LBB6_602:                              ;   in Loop: Header=BB6_356 Depth=4
	s_and_not1_saveexec_b32 s13, s73
; %bb.603:                              ;   in Loop: Header=BB6_356 Depth=4
	v_or_b32_e32 v106, 0x7f, v1
; %bb.604:                              ;   in Loop: Header=BB6_356 Depth=4
	s_or_b32 exec_lo, exec_lo, s13
	v_and_b32_e32 v0, 0xff, v50
	v_dual_mov_b32 v1, 0 :: v_dual_mov_b32 v2, 0
	s_mov_b32 s13, exec_lo
	s_delay_alu instid0(VALU_DEP_2)
	v_cmpx_ne_u16_e32 0, v0
	s_cbranch_execz .LBB6_610
; %bb.605:                              ;   in Loop: Header=BB6_356 Depth=4
	v_bfrev_b32_e32 v2, 1
	s_mov_b32 s73, exec_lo
	v_cmpx_ne_u16_e32 0x80, v0
	s_cbranch_execz .LBB6_609
; %bb.606:                              ;   in Loop: Header=BB6_356 Depth=4
	v_and_b32_e32 v0, 0x7f, v50
	v_mov_b32_e32 v2, 0x7f800001
	s_mov_b32 s74, exec_lo
	s_delay_alu instid0(VALU_DEP_2)
	v_cmpx_ne_u32_e32 0x7f, v0
	s_cbranch_execz .LBB6_608
; %bb.607:                              ;   in Loop: Header=BB6_356 Depth=4
	v_dual_lshrrev_b32 v31, 3, v0 :: v_dual_bitop2_b32 v2, 7, v50 bitop3:0x40
	v_cmp_gt_u32_e32 vcc_lo, 8, v0
	s_delay_alu instid0(VALU_DEP_2) | instskip(NEXT) | instid1(VALU_DEP_1)
	v_clz_i32_u32_e32 v0, v2
	v_min_u32_e32 v0, 32, v0
	s_delay_alu instid0(VALU_DEP_1) | instskip(NEXT) | instid1(VALU_DEP_1)
	v_subrev_nc_u32_e32 v2, 28, v0
	v_dual_sub_nc_u32 v0, 29, v0 :: v_dual_cndmask_b32 v2, 0, v2, vcc_lo
	s_delay_alu instid0(VALU_DEP_1) | instskip(NEXT) | instid1(VALU_DEP_2)
	v_dual_cndmask_b32 v0, v31, v0 :: v_dual_lshlrev_b32 v31, 24, v50
	v_lshlrev_b64_e32 v[36:37], v2, v[50:51]
	s_delay_alu instid0(VALU_DEP_2) | instskip(NEXT) | instid1(VALU_DEP_3)
	v_lshl_add_u32 v0, v0, 23, 0x3c000000
	v_and_b32_e32 v31, 0x80000000, v31
	s_delay_alu instid0(VALU_DEP_3) | instskip(NEXT) | instid1(VALU_DEP_1)
	v_lshlrev_b32_e32 v2, 20, v36
	v_and_b32_e32 v2, 0x700000, v2
	s_delay_alu instid0(VALU_DEP_1)
	v_or3_b32 v2, v2, v31, v0
.LBB6_608:                              ;   in Loop: Header=BB6_356 Depth=4
	s_or_b32 exec_lo, exec_lo, s74
.LBB6_609:                              ;   in Loop: Header=BB6_356 Depth=4
	s_delay_alu instid0(SALU_CYCLE_1)
	s_or_b32 exec_lo, exec_lo, s73
.LBB6_610:                              ;   in Loop: Header=BB6_356 Depth=4
	s_delay_alu instid0(SALU_CYCLE_1) | instskip(SKIP_2) | instid1(VALU_DEP_1)
	s_or_b32 exec_lo, exec_lo, s13
	v_and_b32_e32 v0, 0xff, v38
	s_mov_b32 s13, exec_lo
	v_cmpx_ne_u16_e32 0, v0
	s_cbranch_execz .LBB6_616
; %bb.611:                              ;   in Loop: Header=BB6_356 Depth=4
	v_bfrev_b32_e32 v1, 1
	s_mov_b32 s73, exec_lo
	v_cmpx_ne_u16_e32 0x80, v0
	s_cbranch_execz .LBB6_615
; %bb.612:                              ;   in Loop: Header=BB6_356 Depth=4
	v_and_b32_e32 v0, 0x7f, v38
	v_mov_b32_e32 v1, 0x7f800001
	s_mov_b32 s74, exec_lo
	s_delay_alu instid0(VALU_DEP_2)
	v_cmpx_ne_u32_e32 0x7f, v0
	s_cbranch_execz .LBB6_614
; %bb.613:                              ;   in Loop: Header=BB6_356 Depth=4
	v_dual_lshrrev_b32 v31, 3, v0 :: v_dual_bitop2_b32 v1, 7, v38 bitop3:0x40
	v_cmp_gt_u32_e32 vcc_lo, 8, v0
	s_delay_alu instid0(VALU_DEP_2) | instskip(NEXT) | instid1(VALU_DEP_1)
	v_clz_i32_u32_e32 v0, v1
	v_min_u32_e32 v0, 32, v0
	s_delay_alu instid0(VALU_DEP_1) | instskip(SKIP_1) | instid1(VALU_DEP_1)
	v_subrev_nc_u32_e32 v1, 28, v0
	v_sub_nc_u32_e32 v0, 29, v0
	v_dual_cndmask_b32 v31, v31, v0 :: v_dual_cndmask_b32 v0, 0, v1
	s_delay_alu instid0(VALU_DEP_1) | instskip(NEXT) | instid1(VALU_DEP_2)
	v_lshl_add_u32 v31, v31, 23, 0x3c000000
	v_lshlrev_b64_e32 v[0:1], v0, v[38:39]
	v_lshlrev_b32_e32 v1, 24, v38
	s_delay_alu instid0(VALU_DEP_1) | instskip(NEXT) | instid1(VALU_DEP_3)
	v_and_b32_e32 v1, 0x80000000, v1
	v_lshlrev_b32_e32 v0, 20, v0
	s_delay_alu instid0(VALU_DEP_1) | instskip(NEXT) | instid1(VALU_DEP_1)
	v_and_b32_e32 v0, 0x700000, v0
	v_or3_b32 v1, v0, v1, v31
.LBB6_614:                              ;   in Loop: Header=BB6_356 Depth=4
	s_or_b32 exec_lo, exec_lo, s74
.LBB6_615:                              ;   in Loop: Header=BB6_356 Depth=4
	s_delay_alu instid0(SALU_CYCLE_1)
	s_or_b32 exec_lo, exec_lo, s73
.LBB6_616:                              ;   in Loop: Header=BB6_356 Depth=4
	s_delay_alu instid0(SALU_CYCLE_1) | instskip(NEXT) | instid1(VALU_DEP_1)
	s_or_b32 exec_lo, exec_lo, s13
	v_add_f32_e32 v0, v2, v1
                                        ; implicit-def: $vgpr107
	s_mov_b32 s13, exec_lo
	s_delay_alu instid0(VALU_DEP_1) | instskip(SKIP_1) | instid1(VALU_DEP_2)
	v_and_b32_e32 v2, 0x7f800000, v0
	v_lshrrev_b32_e32 v1, 24, v0
	v_cmpx_ne_u64_e32 0x7f800000, v[2:3]
	s_xor_b32 s73, exec_lo, s13
	s_cbranch_execz .LBB6_630
; %bb.617:                              ;   in Loop: Header=BB6_356 Depth=4
	v_and_b32_e32 v2, 0x7fffffff, v0
	v_and_b32_e32 v1, 0x80, v1
                                        ; implicit-def: $vgpr107
	s_mov_b32 s13, exec_lo
	s_delay_alu instid0(VALU_DEP_2)
	v_cmpx_gt_u64_e32 0x43e00001, v[2:3]
	s_xor_b32 s74, exec_lo, s13
	s_cbranch_execz .LBB6_627
; %bb.618:                              ;   in Loop: Header=BB6_356 Depth=4
	v_mov_b32_e32 v107, 0
	s_mov_b32 s75, exec_lo
	v_cmpx_ne_u32_e32 0, v0
	s_cbranch_execz .LBB6_626
; %bb.619:                              ;   in Loop: Header=BB6_356 Depth=4
	v_bfe_u32 v31, v0, 23, 8
	v_and_b32_e32 v2, 0x7fffff, v0
	s_delay_alu instid0(VALU_DEP_2) | instskip(SKIP_2) | instid1(VALU_DEP_4)
	v_cmp_gt_u32_e64 s13, 0x7a, v31
	v_sub_nc_u32_e32 v0, 0x79, v31
	v_cmp_eq_u32_e32 vcc_lo, 0, v31
	v_or_b32_e32 v36, 0x800000, v2
	s_delay_alu instid0(VALU_DEP_1) | instskip(NEXT) | instid1(VALU_DEP_1)
	v_dual_cndmask_b32 v0, 0, v0, s13 :: v_dual_cndmask_b32 v2, v36, v2, vcc_lo
	v_cndmask_b32_e64 v0, v0, 0x78, vcc_lo
	s_delay_alu instid0(VALU_DEP_1) | instskip(NEXT) | instid1(VALU_DEP_1)
	v_dual_add_nc_u32 v36, 20, v0 :: v_dual_add_nc_u32 v48, 19, v0
	v_lshlrev_b64_e64 v[36:37], v36, -1
	s_delay_alu instid0(VALU_DEP_2) | instskip(NEXT) | instid1(VALU_DEP_2)
	v_lshlrev_b64_e64 v[48:49], v48, 1
	v_bfi_b32 v37, v37, 0, 0
	s_delay_alu instid0(VALU_DEP_3) | instskip(NEXT) | instid1(VALU_DEP_1)
	v_bfi_b32 v36, v36, 0, v2
	v_cmp_eq_u64_e64 s13, v[36:37], v[48:49]
	v_lshrrev_b64 v[36:37], v0, v[2:3]
	s_delay_alu instid0(VALU_DEP_1)
	v_mov_b64_e32 v[48:49], v[36:37]
	s_and_saveexec_b32 s76, s13
; %bb.620:                              ;   in Loop: Header=BB6_356 Depth=4
	v_bfe_u32 v2, v36, 20, 1
	s_delay_alu instid0(VALU_DEP_1) | instskip(NEXT) | instid1(VALU_DEP_1)
	v_add_nc_u64_e32 v[48:49], v[36:37], v[2:3]
	v_add_nc_u64_e32 v[48:49], -1, v[48:49]
; %bb.621:                              ;   in Loop: Header=BB6_356 Depth=4
	s_or_b32 exec_lo, exec_lo, s76
	v_add_nc_u32_e32 v2, 0xffffff81, v31
	v_lshrrev_b32_e32 v31, 23, v36
	s_mov_b32 s13, exec_lo
	s_delay_alu instid0(VALU_DEP_2) | instskip(NEXT) | instid1(VALU_DEP_1)
	v_cndmask_b32_e64 v2, v2, 0xffffff82, vcc_lo
	v_add3_u32 v49, v0, v2, v31
	v_and_b32_e32 v0, 0xfffff, v48
	s_delay_alu instid0(VALU_DEP_1) | instskip(NEXT) | instid1(VALU_DEP_1)
	v_dual_add_nc_u32 v31, 6, v49 :: v_dual_add_nc_u32 v2, v0, v36
                                        ; implicit-def: $vgpr36_vgpr37
                                        ; implicit-def: $vgpr0
	v_cmpx_ne_u32_e32 0, v31
	s_xor_b32 s13, exec_lo, s13
; %bb.622:                              ;   in Loop: Header=BB6_356 Depth=4
	s_delay_alu instid0(VALU_DEP_2) | instskip(SKIP_1) | instid1(VALU_DEP_1)
	v_cmp_lt_u64_e32 vcc_lo, 0xffffff, v[2:3]
	v_add_nc_u32_e32 v0, 7, v49
	v_cndmask_b32_e32 v0, v31, v0, vcc_lo
	v_cndmask_b32_e64 v31, 0, 1, vcc_lo
	s_delay_alu instid0(VALU_DEP_1)
	v_lshrrev_b64 v[36:37], v31, v[2:3]
; %bb.623:                              ;   in Loop: Header=BB6_356 Depth=4
	s_and_not1_saveexec_b32 s13, s13
; %bb.624:                              ;   in Loop: Header=BB6_356 Depth=4
	v_mov_b64_e32 v[36:37], v[2:3]
	v_bfe_u32 v0, v2, 23, 1
; %bb.625:                              ;   in Loop: Header=BB6_356 Depth=4
	s_or_b32 exec_lo, exec_lo, s13
	s_delay_alu instid0(VALU_DEP_2) | instskip(NEXT) | instid1(VALU_DEP_2)
	v_lshrrev_b64 v[36:37], 20, v[36:37]
	v_cmp_gt_i32_e32 vcc_lo, 16, v0
	v_min_i32_e32 v2, 15, v0
	v_cmp_eq_u32_e64 s13, 0, v0
	s_delay_alu instid0(VALU_DEP_2) | instskip(SKIP_1) | instid1(VALU_DEP_2)
	v_dual_cndmask_b32 v37, 0, v37 :: v_dual_lshlrev_b32 v2, 3, v2
	v_cndmask_b32_e32 v36, 7, v36, vcc_lo
	v_and_b32_e32 v2, 0xf8, v2
	s_delay_alu instid0(VALU_DEP_2) | instskip(NEXT) | instid1(VALU_DEP_2)
	v_cmp_eq_u64_e32 vcc_lo, 0, v[36:37]
	v_and_or_b32 v0, v36, 7, v2
	s_and_b32 s13, s13, vcc_lo
	s_delay_alu instid0(VALU_DEP_1) | instid1(SALU_CYCLE_1)
	v_cndmask_b32_e64 v0, v0, 0, s13
	s_delay_alu instid0(VALU_DEP_1)
	v_or_b32_e32 v107, v0, v1
.LBB6_626:                              ;   in Loop: Header=BB6_356 Depth=4
	s_or_b32 exec_lo, exec_lo, s75
                                        ; implicit-def: $vgpr1
.LBB6_627:                              ;   in Loop: Header=BB6_356 Depth=4
	s_and_not1_saveexec_b32 s13, s74
; %bb.628:                              ;   in Loop: Header=BB6_356 Depth=4
	v_or_b32_e32 v107, 0x7e, v1
; %bb.629:                              ;   in Loop: Header=BB6_356 Depth=4
	s_or_b32 exec_lo, exec_lo, s13
                                        ; implicit-def: $vgpr1
.LBB6_630:                              ;   in Loop: Header=BB6_356 Depth=4
	s_and_not1_saveexec_b32 s13, s73
; %bb.631:                              ;   in Loop: Header=BB6_356 Depth=4
	v_or_b32_e32 v107, 0x7f, v1
; %bb.632:                              ;   in Loop: Header=BB6_356 Depth=4
	s_or_b32 exec_lo, exec_lo, s13
	v_lshrrev_b16 v0, 8, v50
	v_dual_mov_b32 v1, 0 :: v_dual_mov_b32 v31, 0
	s_mov_b32 s13, exec_lo
	s_delay_alu instid0(VALU_DEP_2)
	v_cmpx_ne_u16_e32 0, v0
	s_cbranch_execz .LBB6_640
; %bb.633:                              ;   in Loop: Header=BB6_356 Depth=4
	v_bfrev_b32_e32 v31, 1
	s_mov_b32 s73, exec_lo
	v_cmpx_ne_u16_e32 0x80, v0
	s_cbranch_execz .LBB6_639
; %bb.634:                              ;   in Loop: Header=BB6_356 Depth=4
	v_and_b32_e32 v0, 0xffff, v0
	v_mov_b32_e32 v31, 0x7f800001
	s_mov_b32 s74, exec_lo
	s_delay_alu instid0(VALU_DEP_2) | instskip(NEXT) | instid1(VALU_DEP_1)
	v_and_b32_e32 v36, 0x7f, v0
	v_cmpx_ne_u32_e32 0x7f, v36
	s_cbranch_execz .LBB6_638
; %bb.635:                              ;   in Loop: Header=BB6_356 Depth=4
	v_and_b32_e32 v2, 7, v0
	v_lshrrev_b32_e32 v0, 3, v36
	s_mov_b32 s75, exec_lo
	v_cmpx_gt_u32_e32 8, v36
; %bb.636:                              ;   in Loop: Header=BB6_356 Depth=4
	s_delay_alu instid0(VALU_DEP_3) | instskip(NEXT) | instid1(VALU_DEP_1)
	v_clz_i32_u32_e32 v0, v2
	v_min_u32_e32 v0, 32, v0
	s_delay_alu instid0(VALU_DEP_1) | instskip(SKIP_1) | instid1(VALU_DEP_2)
	v_subrev_nc_u32_e32 v31, 28, v0
	v_sub_nc_u32_e32 v0, 29, v0
	v_lshlrev_b64_e32 v[36:37], v31, v[2:3]
	s_delay_alu instid0(VALU_DEP_1)
	v_and_b32_e32 v2, 7, v36
; %bb.637:                              ;   in Loop: Header=BB6_356 Depth=4
	s_or_b32 exec_lo, exec_lo, s75
	v_lshlrev_b32_e32 v31, 16, v50
	s_delay_alu instid0(VALU_DEP_2) | instskip(SKIP_1) | instid1(VALU_DEP_3)
	v_lshlrev_b32_e32 v2, 20, v2
	v_lshl_add_u32 v0, v0, 23, 0x3c000000
	v_and_b32_e32 v31, 0x80000000, v31
	s_delay_alu instid0(VALU_DEP_1)
	v_or3_b32 v31, v2, v31, v0
.LBB6_638:                              ;   in Loop: Header=BB6_356 Depth=4
	s_or_b32 exec_lo, exec_lo, s74
.LBB6_639:                              ;   in Loop: Header=BB6_356 Depth=4
	s_delay_alu instid0(SALU_CYCLE_1)
	s_or_b32 exec_lo, exec_lo, s73
.LBB6_640:                              ;   in Loop: Header=BB6_356 Depth=4
	s_delay_alu instid0(SALU_CYCLE_1) | instskip(SKIP_2) | instid1(VALU_DEP_1)
	s_or_b32 exec_lo, exec_lo, s13
	v_lshrrev_b16 v0, 8, v38
	s_mov_b32 s13, exec_lo
	v_cmpx_ne_u16_e32 0, v0
	s_cbranch_execz .LBB6_648
; %bb.641:                              ;   in Loop: Header=BB6_356 Depth=4
	v_bfrev_b32_e32 v1, 1
	s_mov_b32 s73, exec_lo
	v_cmpx_ne_u16_e32 0x80, v0
	s_cbranch_execz .LBB6_647
; %bb.642:                              ;   in Loop: Header=BB6_356 Depth=4
	v_and_b32_e32 v0, 0xffff, v0
	v_mov_b32_e32 v1, 0x7f800001
	s_mov_b32 s74, exec_lo
	s_delay_alu instid0(VALU_DEP_2) | instskip(NEXT) | instid1(VALU_DEP_1)
	v_and_b32_e32 v36, 0x7f, v0
	v_cmpx_ne_u32_e32 0x7f, v36
	s_cbranch_execz .LBB6_646
; %bb.643:                              ;   in Loop: Header=BB6_356 Depth=4
	v_and_b32_e32 v2, 7, v0
	v_lshrrev_b32_e32 v0, 3, v36
	s_mov_b32 s75, exec_lo
	v_cmpx_gt_u32_e32 8, v36
; %bb.644:                              ;   in Loop: Header=BB6_356 Depth=4
	s_delay_alu instid0(VALU_DEP_3) | instskip(NEXT) | instid1(VALU_DEP_1)
	v_clz_i32_u32_e32 v0, v2
	v_min_u32_e32 v0, 32, v0
	s_delay_alu instid0(VALU_DEP_1) | instskip(SKIP_1) | instid1(VALU_DEP_2)
	v_subrev_nc_u32_e32 v1, 28, v0
	v_sub_nc_u32_e32 v0, 29, v0
	v_lshlrev_b64_e32 v[36:37], v1, v[2:3]
	s_delay_alu instid0(VALU_DEP_1)
	v_and_b32_e32 v2, 7, v36
; %bb.645:                              ;   in Loop: Header=BB6_356 Depth=4
	s_or_b32 exec_lo, exec_lo, s75
	v_lshlrev_b32_e32 v1, 16, v38
	s_delay_alu instid0(VALU_DEP_2) | instskip(SKIP_1) | instid1(VALU_DEP_3)
	v_lshlrev_b32_e32 v2, 20, v2
	v_lshl_add_u32 v0, v0, 23, 0x3c000000
	v_and_b32_e32 v1, 0x80000000, v1
	s_delay_alu instid0(VALU_DEP_1)
	v_or3_b32 v1, v2, v1, v0
.LBB6_646:                              ;   in Loop: Header=BB6_356 Depth=4
	s_or_b32 exec_lo, exec_lo, s74
.LBB6_647:                              ;   in Loop: Header=BB6_356 Depth=4
	s_delay_alu instid0(SALU_CYCLE_1)
	s_or_b32 exec_lo, exec_lo, s73
.LBB6_648:                              ;   in Loop: Header=BB6_356 Depth=4
	s_delay_alu instid0(SALU_CYCLE_1) | instskip(NEXT) | instid1(VALU_DEP_1)
	s_or_b32 exec_lo, exec_lo, s13
	v_add_f32_e32 v0, v31, v1
                                        ; implicit-def: $vgpr108
	s_mov_b32 s13, exec_lo
	s_delay_alu instid0(VALU_DEP_1) | instskip(SKIP_1) | instid1(VALU_DEP_2)
	v_and_b32_e32 v2, 0x7f800000, v0
	v_lshrrev_b32_e32 v1, 24, v0
	v_cmpx_ne_u64_e32 0x7f800000, v[2:3]
	s_xor_b32 s73, exec_lo, s13
	s_cbranch_execz .LBB6_662
; %bb.649:                              ;   in Loop: Header=BB6_356 Depth=4
	v_and_b32_e32 v2, 0x7fffffff, v0
	v_and_b32_e32 v1, 0x80, v1
                                        ; implicit-def: $vgpr108
	s_mov_b32 s13, exec_lo
	s_delay_alu instid0(VALU_DEP_2)
	v_cmpx_gt_u64_e32 0x43e00001, v[2:3]
	s_xor_b32 s74, exec_lo, s13
	s_cbranch_execz .LBB6_659
; %bb.650:                              ;   in Loop: Header=BB6_356 Depth=4
	v_mov_b32_e32 v108, 0
	s_mov_b32 s75, exec_lo
	v_cmpx_ne_u32_e32 0, v0
	s_cbranch_execz .LBB6_658
; %bb.651:                              ;   in Loop: Header=BB6_356 Depth=4
	v_bfe_u32 v31, v0, 23, 8
	v_and_b32_e32 v2, 0x7fffff, v0
	s_delay_alu instid0(VALU_DEP_2) | instskip(SKIP_2) | instid1(VALU_DEP_4)
	v_cmp_gt_u32_e64 s13, 0x7a, v31
	v_sub_nc_u32_e32 v0, 0x79, v31
	v_cmp_eq_u32_e32 vcc_lo, 0, v31
	v_or_b32_e32 v36, 0x800000, v2
	s_delay_alu instid0(VALU_DEP_1) | instskip(NEXT) | instid1(VALU_DEP_1)
	v_dual_cndmask_b32 v0, 0, v0, s13 :: v_dual_cndmask_b32 v2, v36, v2, vcc_lo
	v_cndmask_b32_e64 v0, v0, 0x78, vcc_lo
	s_delay_alu instid0(VALU_DEP_1) | instskip(NEXT) | instid1(VALU_DEP_1)
	v_dual_add_nc_u32 v36, 20, v0 :: v_dual_add_nc_u32 v48, 19, v0
	v_lshlrev_b64_e64 v[36:37], v36, -1
	s_delay_alu instid0(VALU_DEP_2) | instskip(NEXT) | instid1(VALU_DEP_2)
	v_lshlrev_b64_e64 v[48:49], v48, 1
	v_bfi_b32 v37, v37, 0, 0
	s_delay_alu instid0(VALU_DEP_3) | instskip(NEXT) | instid1(VALU_DEP_1)
	v_bfi_b32 v36, v36, 0, v2
	v_cmp_eq_u64_e64 s13, v[36:37], v[48:49]
	v_lshrrev_b64 v[36:37], v0, v[2:3]
	s_delay_alu instid0(VALU_DEP_1)
	v_mov_b64_e32 v[48:49], v[36:37]
	s_and_saveexec_b32 s76, s13
; %bb.652:                              ;   in Loop: Header=BB6_356 Depth=4
	v_bfe_u32 v2, v36, 20, 1
	s_delay_alu instid0(VALU_DEP_1) | instskip(NEXT) | instid1(VALU_DEP_1)
	v_add_nc_u64_e32 v[48:49], v[36:37], v[2:3]
	v_add_nc_u64_e32 v[48:49], -1, v[48:49]
; %bb.653:                              ;   in Loop: Header=BB6_356 Depth=4
	s_or_b32 exec_lo, exec_lo, s76
	v_add_nc_u32_e32 v2, 0xffffff81, v31
	v_lshrrev_b32_e32 v31, 23, v36
	s_mov_b32 s13, exec_lo
	s_delay_alu instid0(VALU_DEP_2) | instskip(NEXT) | instid1(VALU_DEP_1)
	v_cndmask_b32_e64 v2, v2, 0xffffff82, vcc_lo
	v_add3_u32 v49, v0, v2, v31
	v_and_b32_e32 v0, 0xfffff, v48
	s_delay_alu instid0(VALU_DEP_1) | instskip(NEXT) | instid1(VALU_DEP_1)
	v_dual_add_nc_u32 v31, 6, v49 :: v_dual_add_nc_u32 v2, v0, v36
                                        ; implicit-def: $vgpr36_vgpr37
                                        ; implicit-def: $vgpr0
	v_cmpx_ne_u32_e32 0, v31
	s_xor_b32 s13, exec_lo, s13
; %bb.654:                              ;   in Loop: Header=BB6_356 Depth=4
	s_delay_alu instid0(VALU_DEP_2) | instskip(SKIP_1) | instid1(VALU_DEP_1)
	v_cmp_lt_u64_e32 vcc_lo, 0xffffff, v[2:3]
	v_add_nc_u32_e32 v0, 7, v49
	v_cndmask_b32_e32 v0, v31, v0, vcc_lo
	v_cndmask_b32_e64 v31, 0, 1, vcc_lo
	s_delay_alu instid0(VALU_DEP_1)
	v_lshrrev_b64 v[36:37], v31, v[2:3]
; %bb.655:                              ;   in Loop: Header=BB6_356 Depth=4
	s_and_not1_saveexec_b32 s13, s13
; %bb.656:                              ;   in Loop: Header=BB6_356 Depth=4
	v_mov_b64_e32 v[36:37], v[2:3]
	v_bfe_u32 v0, v2, 23, 1
; %bb.657:                              ;   in Loop: Header=BB6_356 Depth=4
	s_or_b32 exec_lo, exec_lo, s13
	s_delay_alu instid0(VALU_DEP_2) | instskip(NEXT) | instid1(VALU_DEP_2)
	v_lshrrev_b64 v[36:37], 20, v[36:37]
	v_cmp_gt_i32_e32 vcc_lo, 16, v0
	v_min_i32_e32 v2, 15, v0
	v_cmp_eq_u32_e64 s13, 0, v0
	s_delay_alu instid0(VALU_DEP_2) | instskip(SKIP_1) | instid1(VALU_DEP_2)
	v_dual_cndmask_b32 v37, 0, v37 :: v_dual_lshlrev_b32 v2, 3, v2
	v_cndmask_b32_e32 v36, 7, v36, vcc_lo
	v_and_b32_e32 v2, 0xf8, v2
	s_delay_alu instid0(VALU_DEP_2) | instskip(NEXT) | instid1(VALU_DEP_2)
	v_cmp_eq_u64_e32 vcc_lo, 0, v[36:37]
	v_and_or_b32 v0, v36, 7, v2
	s_and_b32 s13, s13, vcc_lo
	s_delay_alu instid0(VALU_DEP_1) | instid1(SALU_CYCLE_1)
	v_cndmask_b32_e64 v0, v0, 0, s13
	s_delay_alu instid0(VALU_DEP_1)
	v_or_b32_e32 v108, v0, v1
.LBB6_658:                              ;   in Loop: Header=BB6_356 Depth=4
	s_or_b32 exec_lo, exec_lo, s75
                                        ; implicit-def: $vgpr1
.LBB6_659:                              ;   in Loop: Header=BB6_356 Depth=4
	s_and_not1_saveexec_b32 s13, s74
; %bb.660:                              ;   in Loop: Header=BB6_356 Depth=4
	v_or_b32_e32 v108, 0x7e, v1
; %bb.661:                              ;   in Loop: Header=BB6_356 Depth=4
	s_or_b32 exec_lo, exec_lo, s13
                                        ; implicit-def: $vgpr1
.LBB6_662:                              ;   in Loop: Header=BB6_356 Depth=4
	s_and_not1_saveexec_b32 s13, s73
; %bb.663:                              ;   in Loop: Header=BB6_356 Depth=4
	v_or_b32_e32 v108, 0x7f, v1
; %bb.664:                              ;   in Loop: Header=BB6_356 Depth=4
	s_or_b32 exec_lo, exec_lo, s13
	v_dual_mov_b32 v1, 0 :: v_dual_lshrrev_b32 v0, 16, v50
	v_mov_b32_e32 v31, 0
	s_mov_b32 s13, exec_lo
	s_delay_alu instid0(VALU_DEP_2) | instskip(NEXT) | instid1(VALU_DEP_1)
	v_and_b32_e32 v2, 0xff, v0
	v_cmpx_ne_u16_e32 0, v2
	s_cbranch_execz .LBB6_672
; %bb.665:                              ;   in Loop: Header=BB6_356 Depth=4
	v_bfrev_b32_e32 v31, 1
	s_mov_b32 s73, exec_lo
	v_cmpx_ne_u16_e32 0x80, v2
	s_cbranch_execz .LBB6_671
; %bb.666:                              ;   in Loop: Header=BB6_356 Depth=4
	v_bfe_u32 v36, v50, 16, 7
	v_mov_b32_e32 v31, 0x7f800001
	s_mov_b32 s74, exec_lo
	s_delay_alu instid0(VALU_DEP_2)
	v_cmpx_ne_u32_e32 0x7f, v36
	s_cbranch_execz .LBB6_670
; %bb.667:                              ;   in Loop: Header=BB6_356 Depth=4
	v_and_b32_e32 v2, 7, v0
	v_lshrrev_b32_e32 v31, 3, v36
	s_mov_b32 s75, exec_lo
	v_cmpx_gt_u32_e32 8, v36
; %bb.668:                              ;   in Loop: Header=BB6_356 Depth=4
	s_delay_alu instid0(VALU_DEP_3) | instskip(NEXT) | instid1(VALU_DEP_1)
	v_clz_i32_u32_e32 v31, v2
	v_min_u32_e32 v31, 32, v31
	s_delay_alu instid0(VALU_DEP_1) | instskip(NEXT) | instid1(VALU_DEP_1)
	v_subrev_nc_u32_e32 v36, 28, v31
	v_lshlrev_b64_e32 v[36:37], v36, v[2:3]
	s_delay_alu instid0(VALU_DEP_1)
	v_dual_sub_nc_u32 v31, 29, v31 :: v_dual_bitop2_b32 v2, 7, v36 bitop3:0x40
; %bb.669:                              ;   in Loop: Header=BB6_356 Depth=4
	s_or_b32 exec_lo, exec_lo, s75
	s_delay_alu instid0(VALU_DEP_1) | instskip(NEXT) | instid1(VALU_DEP_2)
	v_dual_lshlrev_b32 v0, 24, v0 :: v_dual_lshlrev_b32 v2, 20, v2
	v_lshl_add_u32 v31, v31, 23, 0x3c000000
	s_delay_alu instid0(VALU_DEP_2) | instskip(NEXT) | instid1(VALU_DEP_1)
	v_and_b32_e32 v0, 0x80000000, v0
	v_or3_b32 v31, v2, v0, v31
.LBB6_670:                              ;   in Loop: Header=BB6_356 Depth=4
	s_or_b32 exec_lo, exec_lo, s74
.LBB6_671:                              ;   in Loop: Header=BB6_356 Depth=4
	s_delay_alu instid0(SALU_CYCLE_1)
	s_or_b32 exec_lo, exec_lo, s73
.LBB6_672:                              ;   in Loop: Header=BB6_356 Depth=4
	s_delay_alu instid0(SALU_CYCLE_1) | instskip(SKIP_2) | instid1(VALU_DEP_1)
	s_or_b32 exec_lo, exec_lo, s13
	v_lshrrev_b32_e32 v0, 16, v38
	s_mov_b32 s13, exec_lo
	v_and_b32_e32 v2, 0xff, v0
	s_delay_alu instid0(VALU_DEP_1)
	v_cmpx_ne_u16_e32 0, v2
	s_cbranch_execz .LBB6_680
; %bb.673:                              ;   in Loop: Header=BB6_356 Depth=4
	v_bfrev_b32_e32 v1, 1
	s_mov_b32 s73, exec_lo
	v_cmpx_ne_u16_e32 0x80, v2
	s_cbranch_execz .LBB6_679
; %bb.674:                              ;   in Loop: Header=BB6_356 Depth=4
	v_bfe_u32 v36, v38, 16, 7
	v_mov_b32_e32 v1, 0x7f800001
	s_mov_b32 s74, exec_lo
	s_delay_alu instid0(VALU_DEP_2)
	v_cmpx_ne_u32_e32 0x7f, v36
	s_cbranch_execz .LBB6_678
; %bb.675:                              ;   in Loop: Header=BB6_356 Depth=4
	v_and_b32_e32 v2, 7, v0
	v_lshrrev_b32_e32 v0, 3, v36
	s_mov_b32 s75, exec_lo
	v_cmpx_gt_u32_e32 8, v36
; %bb.676:                              ;   in Loop: Header=BB6_356 Depth=4
	s_delay_alu instid0(VALU_DEP_3) | instskip(NEXT) | instid1(VALU_DEP_1)
	v_clz_i32_u32_e32 v0, v2
	v_min_u32_e32 v0, 32, v0
	s_delay_alu instid0(VALU_DEP_1) | instskip(SKIP_1) | instid1(VALU_DEP_2)
	v_subrev_nc_u32_e32 v1, 28, v0
	v_sub_nc_u32_e32 v0, 29, v0
	v_lshlrev_b64_e32 v[36:37], v1, v[2:3]
	s_delay_alu instid0(VALU_DEP_1)
	v_and_b32_e32 v2, 7, v36
; %bb.677:                              ;   in Loop: Header=BB6_356 Depth=4
	s_or_b32 exec_lo, exec_lo, s75
	v_lshlrev_b32_e32 v1, 8, v38
	s_delay_alu instid0(VALU_DEP_2) | instskip(SKIP_1) | instid1(VALU_DEP_3)
	v_lshlrev_b32_e32 v2, 20, v2
	v_lshl_add_u32 v0, v0, 23, 0x3c000000
	v_and_b32_e32 v1, 0x80000000, v1
	s_delay_alu instid0(VALU_DEP_1)
	v_or3_b32 v1, v2, v1, v0
.LBB6_678:                              ;   in Loop: Header=BB6_356 Depth=4
	s_or_b32 exec_lo, exec_lo, s74
.LBB6_679:                              ;   in Loop: Header=BB6_356 Depth=4
	s_delay_alu instid0(SALU_CYCLE_1)
	s_or_b32 exec_lo, exec_lo, s73
.LBB6_680:                              ;   in Loop: Header=BB6_356 Depth=4
	s_delay_alu instid0(SALU_CYCLE_1) | instskip(NEXT) | instid1(VALU_DEP_1)
	s_or_b32 exec_lo, exec_lo, s13
	v_add_f32_e32 v0, v31, v1
                                        ; implicit-def: $vgpr109
	s_mov_b32 s13, exec_lo
	s_delay_alu instid0(VALU_DEP_1) | instskip(SKIP_1) | instid1(VALU_DEP_2)
	v_and_b32_e32 v2, 0x7f800000, v0
	v_lshrrev_b32_e32 v1, 24, v0
	v_cmpx_ne_u64_e32 0x7f800000, v[2:3]
	s_xor_b32 s73, exec_lo, s13
	s_cbranch_execz .LBB6_694
; %bb.681:                              ;   in Loop: Header=BB6_356 Depth=4
	v_and_b32_e32 v2, 0x7fffffff, v0
	v_and_b32_e32 v1, 0x80, v1
                                        ; implicit-def: $vgpr109
	s_mov_b32 s13, exec_lo
	s_delay_alu instid0(VALU_DEP_2)
	v_cmpx_gt_u64_e32 0x43e00001, v[2:3]
	s_xor_b32 s74, exec_lo, s13
	s_cbranch_execz .LBB6_691
; %bb.682:                              ;   in Loop: Header=BB6_356 Depth=4
	v_mov_b32_e32 v109, 0
	s_mov_b32 s75, exec_lo
	v_cmpx_ne_u32_e32 0, v0
	s_cbranch_execz .LBB6_690
; %bb.683:                              ;   in Loop: Header=BB6_356 Depth=4
	v_bfe_u32 v31, v0, 23, 8
	v_and_b32_e32 v2, 0x7fffff, v0
	s_delay_alu instid0(VALU_DEP_2) | instskip(SKIP_2) | instid1(VALU_DEP_4)
	v_cmp_gt_u32_e64 s13, 0x7a, v31
	v_sub_nc_u32_e32 v0, 0x79, v31
	v_cmp_eq_u32_e32 vcc_lo, 0, v31
	v_or_b32_e32 v36, 0x800000, v2
	s_delay_alu instid0(VALU_DEP_1) | instskip(NEXT) | instid1(VALU_DEP_1)
	v_dual_cndmask_b32 v0, 0, v0, s13 :: v_dual_cndmask_b32 v2, v36, v2, vcc_lo
	v_cndmask_b32_e64 v0, v0, 0x78, vcc_lo
	s_delay_alu instid0(VALU_DEP_1) | instskip(NEXT) | instid1(VALU_DEP_1)
	v_dual_add_nc_u32 v36, 20, v0 :: v_dual_add_nc_u32 v48, 19, v0
	v_lshlrev_b64_e64 v[36:37], v36, -1
	s_delay_alu instid0(VALU_DEP_2) | instskip(NEXT) | instid1(VALU_DEP_2)
	v_lshlrev_b64_e64 v[48:49], v48, 1
	v_bfi_b32 v37, v37, 0, 0
	s_delay_alu instid0(VALU_DEP_3) | instskip(NEXT) | instid1(VALU_DEP_1)
	v_bfi_b32 v36, v36, 0, v2
	v_cmp_eq_u64_e64 s13, v[36:37], v[48:49]
	v_lshrrev_b64 v[36:37], v0, v[2:3]
	s_delay_alu instid0(VALU_DEP_1)
	v_mov_b64_e32 v[48:49], v[36:37]
	s_and_saveexec_b32 s76, s13
; %bb.684:                              ;   in Loop: Header=BB6_356 Depth=4
	v_bfe_u32 v2, v36, 20, 1
	s_delay_alu instid0(VALU_DEP_1) | instskip(NEXT) | instid1(VALU_DEP_1)
	v_add_nc_u64_e32 v[48:49], v[36:37], v[2:3]
	v_add_nc_u64_e32 v[48:49], -1, v[48:49]
; %bb.685:                              ;   in Loop: Header=BB6_356 Depth=4
	s_or_b32 exec_lo, exec_lo, s76
	v_add_nc_u32_e32 v2, 0xffffff81, v31
	v_lshrrev_b32_e32 v31, 23, v36
	s_mov_b32 s13, exec_lo
	s_delay_alu instid0(VALU_DEP_2) | instskip(NEXT) | instid1(VALU_DEP_1)
	v_cndmask_b32_e64 v2, v2, 0xffffff82, vcc_lo
	v_add3_u32 v49, v0, v2, v31
	v_and_b32_e32 v0, 0xfffff, v48
	s_delay_alu instid0(VALU_DEP_1) | instskip(NEXT) | instid1(VALU_DEP_1)
	v_dual_add_nc_u32 v31, 6, v49 :: v_dual_add_nc_u32 v2, v0, v36
                                        ; implicit-def: $vgpr36_vgpr37
                                        ; implicit-def: $vgpr0
	v_cmpx_ne_u32_e32 0, v31
	s_xor_b32 s13, exec_lo, s13
; %bb.686:                              ;   in Loop: Header=BB6_356 Depth=4
	s_delay_alu instid0(VALU_DEP_2) | instskip(SKIP_1) | instid1(VALU_DEP_1)
	v_cmp_lt_u64_e32 vcc_lo, 0xffffff, v[2:3]
	v_add_nc_u32_e32 v0, 7, v49
	v_cndmask_b32_e32 v0, v31, v0, vcc_lo
	v_cndmask_b32_e64 v31, 0, 1, vcc_lo
	s_delay_alu instid0(VALU_DEP_1)
	v_lshrrev_b64 v[36:37], v31, v[2:3]
; %bb.687:                              ;   in Loop: Header=BB6_356 Depth=4
	s_and_not1_saveexec_b32 s13, s13
; %bb.688:                              ;   in Loop: Header=BB6_356 Depth=4
	v_mov_b64_e32 v[36:37], v[2:3]
	v_bfe_u32 v0, v2, 23, 1
; %bb.689:                              ;   in Loop: Header=BB6_356 Depth=4
	s_or_b32 exec_lo, exec_lo, s13
	s_delay_alu instid0(VALU_DEP_2) | instskip(NEXT) | instid1(VALU_DEP_2)
	v_lshrrev_b64 v[36:37], 20, v[36:37]
	v_cmp_gt_i32_e32 vcc_lo, 16, v0
	v_min_i32_e32 v2, 15, v0
	v_cmp_eq_u32_e64 s13, 0, v0
	s_delay_alu instid0(VALU_DEP_2) | instskip(SKIP_1) | instid1(VALU_DEP_2)
	v_dual_cndmask_b32 v37, 0, v37 :: v_dual_lshlrev_b32 v2, 3, v2
	v_cndmask_b32_e32 v36, 7, v36, vcc_lo
	v_and_b32_e32 v2, 0xf8, v2
	s_delay_alu instid0(VALU_DEP_2) | instskip(NEXT) | instid1(VALU_DEP_2)
	v_cmp_eq_u64_e32 vcc_lo, 0, v[36:37]
	v_and_or_b32 v0, v36, 7, v2
	s_and_b32 s13, s13, vcc_lo
	s_delay_alu instid0(VALU_DEP_1) | instid1(SALU_CYCLE_1)
	v_cndmask_b32_e64 v0, v0, 0, s13
	s_delay_alu instid0(VALU_DEP_1)
	v_or_b32_e32 v109, v0, v1
.LBB6_690:                              ;   in Loop: Header=BB6_356 Depth=4
	s_or_b32 exec_lo, exec_lo, s75
                                        ; implicit-def: $vgpr1
.LBB6_691:                              ;   in Loop: Header=BB6_356 Depth=4
	s_and_not1_saveexec_b32 s13, s74
; %bb.692:                              ;   in Loop: Header=BB6_356 Depth=4
	v_or_b32_e32 v109, 0x7e, v1
; %bb.693:                              ;   in Loop: Header=BB6_356 Depth=4
	s_or_b32 exec_lo, exec_lo, s13
                                        ; implicit-def: $vgpr1
.LBB6_694:                              ;   in Loop: Header=BB6_356 Depth=4
	s_and_not1_saveexec_b32 s13, s73
; %bb.695:                              ;   in Loop: Header=BB6_356 Depth=4
	v_or_b32_e32 v109, 0x7f, v1
; %bb.696:                              ;   in Loop: Header=BB6_356 Depth=4
	s_or_b32 exec_lo, exec_lo, s13
	v_dual_mov_b32 v1, 0 :: v_dual_mov_b32 v31, 0
	s_mov_b32 s13, exec_lo
	v_cmpx_lt_u32_e32 0xffffff, v50
	s_cbranch_execz .LBB6_704
; %bb.697:                              ;   in Loop: Header=BB6_356 Depth=4
	v_lshrrev_b32_e32 v0, 24, v50
	v_bfrev_b32_e32 v31, 1
	s_mov_b32 s73, exec_lo
	s_delay_alu instid0(VALU_DEP_2)
	v_cmpx_ne_u32_e32 0x80, v0
	s_cbranch_execz .LBB6_703
; %bb.698:                              ;   in Loop: Header=BB6_356 Depth=4
	v_bfe_u32 v36, v50, 24, 7
	v_mov_b32_e32 v31, 0x7f800001
	s_mov_b32 s74, exec_lo
	s_delay_alu instid0(VALU_DEP_2)
	v_cmpx_ne_u32_e32 0x7f, v36
	s_cbranch_execz .LBB6_702
; %bb.699:                              ;   in Loop: Header=BB6_356 Depth=4
	v_and_b32_e32 v2, 7, v0
	v_lshrrev_b32_e32 v31, 3, v36
	s_mov_b32 s75, exec_lo
	v_cmpx_gt_u32_e32 8, v36
; %bb.700:                              ;   in Loop: Header=BB6_356 Depth=4
	s_delay_alu instid0(VALU_DEP_3) | instskip(NEXT) | instid1(VALU_DEP_1)
	v_clz_i32_u32_e32 v31, v2
	v_min_u32_e32 v31, 32, v31
	s_delay_alu instid0(VALU_DEP_1) | instskip(NEXT) | instid1(VALU_DEP_1)
	v_subrev_nc_u32_e32 v36, 28, v31
	v_lshlrev_b64_e32 v[36:37], v36, v[2:3]
	s_delay_alu instid0(VALU_DEP_1)
	v_dual_sub_nc_u32 v31, 29, v31 :: v_dual_bitop2_b32 v2, 7, v36 bitop3:0x40
; %bb.701:                              ;   in Loop: Header=BB6_356 Depth=4
	s_or_b32 exec_lo, exec_lo, s75
	s_delay_alu instid0(VALU_DEP_1) | instskip(NEXT) | instid1(VALU_DEP_2)
	v_dual_lshlrev_b32 v0, 24, v0 :: v_dual_lshlrev_b32 v2, 20, v2
	v_lshl_add_u32 v31, v31, 23, 0x3c000000
	s_delay_alu instid0(VALU_DEP_2) | instskip(NEXT) | instid1(VALU_DEP_1)
	v_and_b32_e32 v0, 0x80000000, v0
	v_or3_b32 v31, v2, v0, v31
.LBB6_702:                              ;   in Loop: Header=BB6_356 Depth=4
	s_or_b32 exec_lo, exec_lo, s74
.LBB6_703:                              ;   in Loop: Header=BB6_356 Depth=4
	s_delay_alu instid0(SALU_CYCLE_1)
	s_or_b32 exec_lo, exec_lo, s73
.LBB6_704:                              ;   in Loop: Header=BB6_356 Depth=4
	s_delay_alu instid0(SALU_CYCLE_1) | instskip(NEXT) | instid1(SALU_CYCLE_1)
	s_or_b32 exec_lo, exec_lo, s13
	s_mov_b32 s13, exec_lo
	v_cmpx_lt_u32_e32 0xffffff, v38
	s_cbranch_execz .LBB6_712
; %bb.705:                              ;   in Loop: Header=BB6_356 Depth=4
	v_lshrrev_b32_e32 v0, 24, v38
	v_bfrev_b32_e32 v1, 1
	s_mov_b32 s73, exec_lo
	s_delay_alu instid0(VALU_DEP_2)
	v_cmpx_ne_u32_e32 0x80, v0
	s_cbranch_execz .LBB6_711
; %bb.706:                              ;   in Loop: Header=BB6_356 Depth=4
	v_bfe_u32 v36, v38, 24, 7
	v_mov_b32_e32 v1, 0x7f800001
	s_mov_b32 s74, exec_lo
	s_delay_alu instid0(VALU_DEP_2)
	v_cmpx_ne_u32_e32 0x7f, v36
	s_cbranch_execz .LBB6_710
; %bb.707:                              ;   in Loop: Header=BB6_356 Depth=4
	v_and_b32_e32 v2, 7, v0
	v_lshrrev_b32_e32 v1, 3, v36
	s_mov_b32 s75, exec_lo
	v_cmpx_gt_u32_e32 8, v36
; %bb.708:                              ;   in Loop: Header=BB6_356 Depth=4
	s_delay_alu instid0(VALU_DEP_3) | instskip(NEXT) | instid1(VALU_DEP_1)
	v_clz_i32_u32_e32 v1, v2
	v_min_u32_e32 v1, 32, v1
	s_delay_alu instid0(VALU_DEP_1) | instskip(NEXT) | instid1(VALU_DEP_1)
	v_subrev_nc_u32_e32 v36, 28, v1
	v_lshlrev_b64_e32 v[36:37], v36, v[2:3]
	s_delay_alu instid0(VALU_DEP_1)
	v_dual_sub_nc_u32 v1, 29, v1 :: v_dual_bitop2_b32 v2, 7, v36 bitop3:0x40
; %bb.709:                              ;   in Loop: Header=BB6_356 Depth=4
	s_or_b32 exec_lo, exec_lo, s75
	s_delay_alu instid0(VALU_DEP_1) | instskip(NEXT) | instid1(VALU_DEP_2)
	v_dual_lshlrev_b32 v0, 24, v0 :: v_dual_lshlrev_b32 v2, 20, v2
	v_lshl_add_u32 v1, v1, 23, 0x3c000000
	s_delay_alu instid0(VALU_DEP_2) | instskip(NEXT) | instid1(VALU_DEP_1)
	v_and_b32_e32 v0, 0x80000000, v0
	v_or3_b32 v1, v2, v0, v1
.LBB6_710:                              ;   in Loop: Header=BB6_356 Depth=4
	s_or_b32 exec_lo, exec_lo, s74
.LBB6_711:                              ;   in Loop: Header=BB6_356 Depth=4
	s_delay_alu instid0(SALU_CYCLE_1)
	s_or_b32 exec_lo, exec_lo, s73
.LBB6_712:                              ;   in Loop: Header=BB6_356 Depth=4
	s_delay_alu instid0(SALU_CYCLE_1) | instskip(NEXT) | instid1(VALU_DEP_1)
	s_or_b32 exec_lo, exec_lo, s13
	v_add_f32_e32 v0, v31, v1
                                        ; implicit-def: $vgpr98
	s_mov_b32 s13, exec_lo
	s_delay_alu instid0(VALU_DEP_1) | instskip(SKIP_1) | instid1(VALU_DEP_2)
	v_and_b32_e32 v2, 0x7f800000, v0
	v_lshrrev_b32_e32 v1, 24, v0
	v_cmpx_ne_u64_e32 0x7f800000, v[2:3]
	s_xor_b32 s73, exec_lo, s13
	s_cbranch_execz .LBB6_726
; %bb.713:                              ;   in Loop: Header=BB6_356 Depth=4
	v_and_b32_e32 v2, 0x7fffffff, v0
	v_and_b32_e32 v1, 0x80, v1
                                        ; implicit-def: $vgpr98
	s_mov_b32 s13, exec_lo
	s_delay_alu instid0(VALU_DEP_2)
	v_cmpx_gt_u64_e32 0x43e00001, v[2:3]
	s_xor_b32 s74, exec_lo, s13
	s_cbranch_execz .LBB6_723
; %bb.714:                              ;   in Loop: Header=BB6_356 Depth=4
	v_mov_b32_e32 v98, 0
	s_mov_b32 s75, exec_lo
	v_cmpx_ne_u32_e32 0, v0
	s_cbranch_execz .LBB6_722
; %bb.715:                              ;   in Loop: Header=BB6_356 Depth=4
	v_bfe_u32 v31, v0, 23, 8
	v_and_b32_e32 v2, 0x7fffff, v0
	s_delay_alu instid0(VALU_DEP_2) | instskip(SKIP_2) | instid1(VALU_DEP_4)
	v_cmp_gt_u32_e64 s13, 0x7a, v31
	v_sub_nc_u32_e32 v0, 0x79, v31
	v_cmp_eq_u32_e32 vcc_lo, 0, v31
	v_or_b32_e32 v36, 0x800000, v2
	s_delay_alu instid0(VALU_DEP_1) | instskip(NEXT) | instid1(VALU_DEP_1)
	v_dual_cndmask_b32 v0, 0, v0, s13 :: v_dual_cndmask_b32 v2, v36, v2, vcc_lo
	v_cndmask_b32_e64 v0, v0, 0x78, vcc_lo
	s_delay_alu instid0(VALU_DEP_1) | instskip(NEXT) | instid1(VALU_DEP_1)
	v_dual_add_nc_u32 v36, 20, v0 :: v_dual_add_nc_u32 v48, 19, v0
	v_lshlrev_b64_e64 v[36:37], v36, -1
	s_delay_alu instid0(VALU_DEP_2) | instskip(NEXT) | instid1(VALU_DEP_2)
	v_lshlrev_b64_e64 v[48:49], v48, 1
	v_bfi_b32 v37, v37, 0, 0
	s_delay_alu instid0(VALU_DEP_3) | instskip(NEXT) | instid1(VALU_DEP_1)
	v_bfi_b32 v36, v36, 0, v2
	v_cmp_eq_u64_e64 s13, v[36:37], v[48:49]
	v_lshrrev_b64 v[36:37], v0, v[2:3]
	s_delay_alu instid0(VALU_DEP_1)
	v_mov_b64_e32 v[48:49], v[36:37]
	s_and_saveexec_b32 s76, s13
; %bb.716:                              ;   in Loop: Header=BB6_356 Depth=4
	v_bfe_u32 v2, v36, 20, 1
	s_delay_alu instid0(VALU_DEP_1) | instskip(NEXT) | instid1(VALU_DEP_1)
	v_add_nc_u64_e32 v[48:49], v[36:37], v[2:3]
	v_add_nc_u64_e32 v[48:49], -1, v[48:49]
; %bb.717:                              ;   in Loop: Header=BB6_356 Depth=4
	s_or_b32 exec_lo, exec_lo, s76
	v_add_nc_u32_e32 v2, 0xffffff81, v31
	v_lshrrev_b32_e32 v31, 23, v36
	s_mov_b32 s13, exec_lo
	s_delay_alu instid0(VALU_DEP_2) | instskip(NEXT) | instid1(VALU_DEP_1)
	v_cndmask_b32_e64 v2, v2, 0xffffff82, vcc_lo
	v_add3_u32 v49, v0, v2, v31
	v_and_b32_e32 v0, 0xfffff, v48
	s_delay_alu instid0(VALU_DEP_1) | instskip(NEXT) | instid1(VALU_DEP_1)
	v_dual_add_nc_u32 v31, 6, v49 :: v_dual_add_nc_u32 v2, v0, v36
                                        ; implicit-def: $vgpr36_vgpr37
                                        ; implicit-def: $vgpr0
	v_cmpx_ne_u32_e32 0, v31
	s_xor_b32 s13, exec_lo, s13
; %bb.718:                              ;   in Loop: Header=BB6_356 Depth=4
	s_delay_alu instid0(VALU_DEP_2) | instskip(SKIP_1) | instid1(VALU_DEP_1)
	v_cmp_lt_u64_e32 vcc_lo, 0xffffff, v[2:3]
	v_add_nc_u32_e32 v0, 7, v49
	v_cndmask_b32_e32 v0, v31, v0, vcc_lo
	v_cndmask_b32_e64 v31, 0, 1, vcc_lo
	s_delay_alu instid0(VALU_DEP_1)
	v_lshrrev_b64 v[36:37], v31, v[2:3]
; %bb.719:                              ;   in Loop: Header=BB6_356 Depth=4
	s_and_not1_saveexec_b32 s13, s13
; %bb.720:                              ;   in Loop: Header=BB6_356 Depth=4
	v_mov_b64_e32 v[36:37], v[2:3]
	v_bfe_u32 v0, v2, 23, 1
; %bb.721:                              ;   in Loop: Header=BB6_356 Depth=4
	s_or_b32 exec_lo, exec_lo, s13
	s_delay_alu instid0(VALU_DEP_2) | instskip(NEXT) | instid1(VALU_DEP_2)
	v_lshrrev_b64 v[36:37], 20, v[36:37]
	v_cmp_gt_i32_e32 vcc_lo, 16, v0
	v_min_i32_e32 v2, 15, v0
	v_cmp_eq_u32_e64 s13, 0, v0
	s_delay_alu instid0(VALU_DEP_2) | instskip(SKIP_1) | instid1(VALU_DEP_2)
	v_dual_cndmask_b32 v37, 0, v37 :: v_dual_lshlrev_b32 v2, 3, v2
	v_cndmask_b32_e32 v36, 7, v36, vcc_lo
	v_and_b32_e32 v2, 0xf8, v2
	s_delay_alu instid0(VALU_DEP_2) | instskip(NEXT) | instid1(VALU_DEP_2)
	v_cmp_eq_u64_e32 vcc_lo, 0, v[36:37]
	v_and_or_b32 v0, v36, 7, v2
	s_and_b32 s13, s13, vcc_lo
	s_delay_alu instid0(VALU_DEP_1) | instid1(SALU_CYCLE_1)
	v_cndmask_b32_e64 v0, v0, 0, s13
	s_delay_alu instid0(VALU_DEP_1)
	v_or_b32_e32 v98, v0, v1
.LBB6_722:                              ;   in Loop: Header=BB6_356 Depth=4
	s_or_b32 exec_lo, exec_lo, s75
                                        ; implicit-def: $vgpr1
.LBB6_723:                              ;   in Loop: Header=BB6_356 Depth=4
	s_and_not1_saveexec_b32 s13, s74
; %bb.724:                              ;   in Loop: Header=BB6_356 Depth=4
	v_or_b32_e32 v98, 0x7e, v1
; %bb.725:                              ;   in Loop: Header=BB6_356 Depth=4
	s_or_b32 exec_lo, exec_lo, s13
                                        ; implicit-def: $vgpr1
.LBB6_726:                              ;   in Loop: Header=BB6_356 Depth=4
	s_and_not1_saveexec_b32 s13, s73
; %bb.727:                              ;   in Loop: Header=BB6_356 Depth=4
	v_or_b32_e32 v98, 0x7f, v1
; %bb.728:                              ;   in Loop: Header=BB6_356 Depth=4
	s_or_b32 exec_lo, exec_lo, s13
	v_and_b32_e32 v0, 0xff, v51
	v_dual_mov_b32 v2, v51 :: v_dual_mov_b32 v1, 0
	v_mov_b32_e32 v31, 0
	s_mov_b32 s13, exec_lo
	s_delay_alu instid0(VALU_DEP_3)
	v_cmpx_ne_u16_e32 0, v0
	s_cbranch_execz .LBB6_734
; %bb.729:                              ;   in Loop: Header=BB6_356 Depth=4
	v_bfrev_b32_e32 v31, 1
	s_mov_b32 s73, exec_lo
	v_cmpx_ne_u16_e32 0x80, v0
	s_cbranch_execz .LBB6_733
; %bb.730:                              ;   in Loop: Header=BB6_356 Depth=4
	v_and_b32_e32 v0, 0x7f, v51
	v_mov_b32_e32 v31, 0x7f800001
	s_mov_b32 s74, exec_lo
	s_delay_alu instid0(VALU_DEP_2)
	v_cmpx_ne_u32_e32 0x7f, v0
	s_cbranch_execz .LBB6_732
; %bb.731:                              ;   in Loop: Header=BB6_356 Depth=4
	v_dual_lshrrev_b32 v36, 3, v0 :: v_dual_bitop2_b32 v31, 7, v51 bitop3:0x40
	v_cmp_gt_u32_e32 vcc_lo, 8, v0
	s_delay_alu instid0(VALU_DEP_2) | instskip(NEXT) | instid1(VALU_DEP_1)
	v_clz_i32_u32_e32 v0, v31
	v_min_u32_e32 v0, 32, v0
	s_delay_alu instid0(VALU_DEP_1) | instskip(NEXT) | instid1(VALU_DEP_1)
	v_subrev_nc_u32_e32 v31, 28, v0
	v_dual_cndmask_b32 v31, 0, v31 :: v_dual_sub_nc_u32 v0, 29, v0
	s_delay_alu instid0(VALU_DEP_1) | instskip(NEXT) | instid1(VALU_DEP_2)
	v_cndmask_b32_e32 v0, v36, v0, vcc_lo
	v_lshlrev_b64_e32 v[36:37], v31, v[2:3]
	s_delay_alu instid0(VALU_DEP_1) | instskip(NEXT) | instid1(VALU_DEP_3)
	v_dual_lshlrev_b32 v31, 20, v36 :: v_dual_lshlrev_b32 v36, 24, v2
	v_lshl_add_u32 v0, v0, 23, 0x3c000000
	s_delay_alu instid0(VALU_DEP_2) | instskip(NEXT) | instid1(VALU_DEP_3)
	v_and_b32_e32 v31, 0x700000, v31
	v_and_b32_e32 v36, 0x80000000, v36
	s_delay_alu instid0(VALU_DEP_1)
	v_or3_b32 v31, v31, v36, v0
.LBB6_732:                              ;   in Loop: Header=BB6_356 Depth=4
	s_or_b32 exec_lo, exec_lo, s74
.LBB6_733:                              ;   in Loop: Header=BB6_356 Depth=4
	s_delay_alu instid0(SALU_CYCLE_1)
	s_or_b32 exec_lo, exec_lo, s73
.LBB6_734:                              ;   in Loop: Header=BB6_356 Depth=4
	s_delay_alu instid0(SALU_CYCLE_1) | instskip(SKIP_2) | instid1(VALU_DEP_1)
	s_or_b32 exec_lo, exec_lo, s13
	v_and_b32_e32 v0, 0xff, v39
	s_mov_b32 s13, exec_lo
	v_cmpx_ne_u16_e32 0, v0
	s_cbranch_execz .LBB6_740
; %bb.735:                              ;   in Loop: Header=BB6_356 Depth=4
	v_bfrev_b32_e32 v1, 1
	s_mov_b32 s73, exec_lo
	v_cmpx_ne_u16_e32 0x80, v0
	s_cbranch_execz .LBB6_739
; %bb.736:                              ;   in Loop: Header=BB6_356 Depth=4
	v_and_b32_e32 v0, 0x7f, v39
	v_mov_b32_e32 v1, 0x7f800001
	s_mov_b32 s74, exec_lo
	s_delay_alu instid0(VALU_DEP_2)
	v_cmpx_ne_u32_e32 0x7f, v0
	s_cbranch_execz .LBB6_738
; %bb.737:                              ;   in Loop: Header=BB6_356 Depth=4
	v_dual_lshrrev_b32 v36, 3, v0 :: v_dual_bitop2_b32 v1, 7, v39 bitop3:0x40
	v_cmp_gt_u32_e32 vcc_lo, 8, v0
	v_mov_b32_e32 v0, v39
	s_delay_alu instid0(VALU_DEP_3) | instskip(NEXT) | instid1(VALU_DEP_1)
	v_clz_i32_u32_e32 v1, v1
	v_min_u32_e32 v1, 32, v1
	s_delay_alu instid0(VALU_DEP_1) | instskip(SKIP_1) | instid1(VALU_DEP_2)
	v_sub_nc_u32_e32 v37, 29, v1
	v_subrev_nc_u32_e32 v48, 28, v1
	v_dual_mov_b32 v1, v3 :: v_dual_cndmask_b32 v49, v36, v37, vcc_lo
	s_delay_alu instid0(VALU_DEP_2) | instskip(NEXT) | instid1(VALU_DEP_1)
	v_cndmask_b32_e32 v36, 0, v48, vcc_lo
	v_lshlrev_b64_e32 v[36:37], v36, v[0:1]
	v_lshlrev_b32_e32 v0, 24, v0
	s_delay_alu instid0(VALU_DEP_1) | instskip(NEXT) | instid1(VALU_DEP_3)
	v_and_b32_e32 v0, 0x80000000, v0
	v_lshlrev_b32_e32 v1, 20, v36
	v_lshl_add_u32 v36, v49, 23, 0x3c000000
	s_delay_alu instid0(VALU_DEP_2) | instskip(NEXT) | instid1(VALU_DEP_1)
	v_and_b32_e32 v1, 0x700000, v1
	v_or3_b32 v1, v1, v0, v36
.LBB6_738:                              ;   in Loop: Header=BB6_356 Depth=4
	s_or_b32 exec_lo, exec_lo, s74
.LBB6_739:                              ;   in Loop: Header=BB6_356 Depth=4
	s_delay_alu instid0(SALU_CYCLE_1)
	s_or_b32 exec_lo, exec_lo, s73
.LBB6_740:                              ;   in Loop: Header=BB6_356 Depth=4
	s_delay_alu instid0(SALU_CYCLE_1) | instskip(NEXT) | instid1(VALU_DEP_1)
	s_or_b32 exec_lo, exec_lo, s13
	v_add_f32_e32 v0, v31, v1
	v_mov_b32_e32 v37, v3
                                        ; implicit-def: $vgpr99
	s_mov_b32 s13, exec_lo
	s_delay_alu instid0(VALU_DEP_2) | instskip(SKIP_1) | instid1(VALU_DEP_2)
	v_and_b32_e32 v36, 0x7f800000, v0
	v_lshrrev_b32_e32 v1, 24, v0
	v_cmpx_ne_u64_e32 0x7f800000, v[36:37]
	s_xor_b32 s73, exec_lo, s13
	s_cbranch_execz .LBB6_754
; %bb.741:                              ;   in Loop: Header=BB6_356 Depth=4
	v_and_b32_e32 v36, 0x7fffffff, v0
	v_mov_b32_e32 v37, v3
	v_and_b32_e32 v1, 0x80, v1
                                        ; implicit-def: $vgpr99
	s_mov_b32 s13, exec_lo
	s_delay_alu instid0(VALU_DEP_2)
	v_cmpx_gt_u64_e32 0x43e00001, v[36:37]
	s_xor_b32 s74, exec_lo, s13
	s_cbranch_execz .LBB6_751
; %bb.742:                              ;   in Loop: Header=BB6_356 Depth=4
	v_mov_b32_e32 v99, 0
	s_mov_b32 s75, exec_lo
	v_cmpx_ne_u32_e32 0, v0
	s_cbranch_execz .LBB6_750
; %bb.743:                              ;   in Loop: Header=BB6_356 Depth=4
	v_and_b32_e32 v36, 0x7fffff, v0
	v_bfe_u32 v31, v0, 23, 8
	s_delay_alu instid0(VALU_DEP_2) | instskip(NEXT) | instid1(VALU_DEP_2)
	v_or_b32_e32 v37, 0x800000, v36
	v_cmp_eq_u32_e32 vcc_lo, 0, v31
	v_cmp_gt_u32_e64 s13, 0x7a, v31
	v_sub_nc_u32_e32 v0, 0x79, v31
	s_delay_alu instid0(VALU_DEP_4) | instskip(NEXT) | instid1(VALU_DEP_2)
	v_dual_cndmask_b32 v36, v37, v36 :: v_dual_mov_b32 v37, v3
	v_cndmask_b32_e64 v0, 0, v0, s13
	s_delay_alu instid0(VALU_DEP_1) | instskip(NEXT) | instid1(VALU_DEP_1)
	v_cndmask_b32_e64 v0, v0, 0x78, vcc_lo
	v_dual_add_nc_u32 v48, 20, v0 :: v_dual_add_nc_u32 v52, 19, v0
	s_delay_alu instid0(VALU_DEP_1) | instskip(NEXT) | instid1(VALU_DEP_2)
	v_lshlrev_b64_e64 v[48:49], v48, -1
	v_lshlrev_b64_e64 v[52:53], v52, 1
	s_delay_alu instid0(VALU_DEP_2) | instskip(SKIP_1) | instid1(VALU_DEP_4)
	v_bfi_b32 v48, v48, 0, v36
	v_lshrrev_b64 v[36:37], v0, v[36:37]
	v_bfi_b32 v49, v49, 0, 0
	s_delay_alu instid0(VALU_DEP_1) | instskip(NEXT) | instid1(VALU_DEP_3)
	v_cmp_eq_u64_e64 s13, v[48:49], v[52:53]
	v_mov_b64_e32 v[48:49], v[36:37]
	s_and_saveexec_b32 s76, s13
; %bb.744:                              ;   in Loop: Header=BB6_356 Depth=4
	v_bfe_u32 v48, v36, 20, 1
	v_mov_b32_e32 v49, v3
	s_delay_alu instid0(VALU_DEP_1) | instskip(NEXT) | instid1(VALU_DEP_1)
	v_add_nc_u64_e32 v[48:49], v[36:37], v[48:49]
	v_add_nc_u64_e32 v[48:49], -1, v[48:49]
; %bb.745:                              ;   in Loop: Header=BB6_356 Depth=4
	s_or_b32 exec_lo, exec_lo, s76
	v_add_nc_u32_e32 v31, 0xffffff81, v31
	v_lshrrev_b32_e32 v37, 23, v36
	s_mov_b32 s13, exec_lo
	s_delay_alu instid0(VALU_DEP_2) | instskip(NEXT) | instid1(VALU_DEP_1)
	v_cndmask_b32_e64 v31, v31, 0xffffff82, vcc_lo
	v_add3_u32 v49, v0, v31, v37
	v_and_b32_e32 v0, 0xfffff, v48
	s_delay_alu instid0(VALU_DEP_2) | instskip(NEXT) | instid1(VALU_DEP_2)
	v_dual_mov_b32 v37, v3 :: v_dual_add_nc_u32 v31, 6, v49
	v_add_nc_u32_e32 v36, v0, v36
                                        ; implicit-def: $vgpr0
	s_delay_alu instid0(VALU_DEP_2)
	v_cmpx_ne_u32_e32 0, v31
	s_xor_b32 s13, exec_lo, s13
; %bb.746:                              ;   in Loop: Header=BB6_356 Depth=4
	s_delay_alu instid0(VALU_DEP_2) | instskip(SKIP_1) | instid1(VALU_DEP_1)
	v_cmp_lt_u64_e32 vcc_lo, 0xffffff, v[36:37]
	v_add_nc_u32_e32 v0, 7, v49
	v_cndmask_b32_e32 v0, v31, v0, vcc_lo
	v_cndmask_b32_e64 v31, 0, 1, vcc_lo
	s_delay_alu instid0(VALU_DEP_1)
	v_lshrrev_b64 v[36:37], v31, v[36:37]
; %bb.747:                              ;   in Loop: Header=BB6_356 Depth=4
	s_and_not1_saveexec_b32 s13, s13
; %bb.748:                              ;   in Loop: Header=BB6_356 Depth=4
	s_delay_alu instid0(VALU_DEP_1)
	v_bfe_u32 v0, v36, 23, 1
; %bb.749:                              ;   in Loop: Header=BB6_356 Depth=4
	s_or_b32 exec_lo, exec_lo, s13
	s_delay_alu instid0(VALU_DEP_2) | instskip(NEXT) | instid1(VALU_DEP_2)
	v_lshrrev_b64 v[36:37], 20, v[36:37]
	v_cmp_gt_i32_e32 vcc_lo, 16, v0
	v_min_i32_e32 v31, 15, v0
	v_cmp_eq_u32_e64 s13, 0, v0
	s_delay_alu instid0(VALU_DEP_2) | instskip(SKIP_1) | instid1(VALU_DEP_2)
	v_dual_cndmask_b32 v37, 0, v37, vcc_lo :: v_dual_lshlrev_b32 v31, 3, v31
	v_cndmask_b32_e32 v36, 7, v36, vcc_lo
	v_and_b32_e32 v31, 0xf8, v31
	s_delay_alu instid0(VALU_DEP_2) | instskip(NEXT) | instid1(VALU_DEP_2)
	v_cmp_eq_u64_e32 vcc_lo, 0, v[36:37]
	v_and_or_b32 v0, v36, 7, v31
	s_and_b32 s13, s13, vcc_lo
	s_delay_alu instid0(VALU_DEP_1) | instid1(SALU_CYCLE_1)
	v_cndmask_b32_e64 v0, v0, 0, s13
	s_delay_alu instid0(VALU_DEP_1)
	v_or_b32_e32 v99, v0, v1
.LBB6_750:                              ;   in Loop: Header=BB6_356 Depth=4
	s_or_b32 exec_lo, exec_lo, s75
                                        ; implicit-def: $vgpr1
.LBB6_751:                              ;   in Loop: Header=BB6_356 Depth=4
	s_and_not1_saveexec_b32 s13, s74
; %bb.752:                              ;   in Loop: Header=BB6_356 Depth=4
	v_or_b32_e32 v99, 0x7e, v1
; %bb.753:                              ;   in Loop: Header=BB6_356 Depth=4
	s_or_b32 exec_lo, exec_lo, s13
                                        ; implicit-def: $vgpr1
.LBB6_754:                              ;   in Loop: Header=BB6_356 Depth=4
	s_and_not1_saveexec_b32 s13, s73
; %bb.755:                              ;   in Loop: Header=BB6_356 Depth=4
	v_or_b32_e32 v99, 0x7f, v1
; %bb.756:                              ;   in Loop: Header=BB6_356 Depth=4
	s_or_b32 exec_lo, exec_lo, s13
	v_lshrrev_b16 v0, 8, v2
	v_dual_mov_b32 v1, 0 :: v_dual_mov_b32 v31, 0
	s_mov_b32 s13, exec_lo
	s_delay_alu instid0(VALU_DEP_2)
	v_cmpx_ne_u16_e32 0, v0
	s_cbranch_execz .LBB6_764
; %bb.757:                              ;   in Loop: Header=BB6_356 Depth=4
	v_bfrev_b32_e32 v31, 1
	s_mov_b32 s73, exec_lo
	v_cmpx_ne_u16_e32 0x80, v0
	s_cbranch_execz .LBB6_763
; %bb.758:                              ;   in Loop: Header=BB6_356 Depth=4
	v_and_b32_e32 v0, 0xffff, v0
	v_mov_b32_e32 v31, 0x7f800001
	s_mov_b32 s74, exec_lo
	s_delay_alu instid0(VALU_DEP_2) | instskip(NEXT) | instid1(VALU_DEP_1)
	v_and_b32_e32 v48, 0x7f, v0
	v_cmpx_ne_u32_e32 0x7f, v48
	s_cbranch_execz .LBB6_762
; %bb.759:                              ;   in Loop: Header=BB6_356 Depth=4
	v_dual_mov_b32 v37, v3 :: v_dual_bitop2_b32 v36, 7, v0 bitop3:0x40
	v_lshrrev_b32_e32 v0, 3, v48
	s_mov_b32 s75, exec_lo
	v_cmpx_gt_u32_e32 8, v48
; %bb.760:                              ;   in Loop: Header=BB6_356 Depth=4
	s_delay_alu instid0(VALU_DEP_3) | instskip(NEXT) | instid1(VALU_DEP_1)
	v_clz_i32_u32_e32 v0, v36
	v_min_u32_e32 v0, 32, v0
	s_delay_alu instid0(VALU_DEP_1) | instskip(SKIP_1) | instid1(VALU_DEP_2)
	v_subrev_nc_u32_e32 v31, 28, v0
	v_sub_nc_u32_e32 v0, 29, v0
	v_lshlrev_b64_e32 v[36:37], v31, v[36:37]
	s_delay_alu instid0(VALU_DEP_1)
	v_and_b32_e32 v36, 7, v36
; %bb.761:                              ;   in Loop: Header=BB6_356 Depth=4
	s_or_b32 exec_lo, exec_lo, s75
	s_delay_alu instid0(VALU_DEP_1) | instskip(SKIP_1) | instid1(VALU_DEP_2)
	v_dual_lshlrev_b32 v2, 16, v2 :: v_dual_lshlrev_b32 v31, 20, v36
	v_lshl_add_u32 v0, v0, 23, 0x3c000000
	v_and_b32_e32 v2, 0x80000000, v2
	s_delay_alu instid0(VALU_DEP_1)
	v_or3_b32 v31, v31, v2, v0
.LBB6_762:                              ;   in Loop: Header=BB6_356 Depth=4
	s_or_b32 exec_lo, exec_lo, s74
.LBB6_763:                              ;   in Loop: Header=BB6_356 Depth=4
	s_delay_alu instid0(SALU_CYCLE_1)
	s_or_b32 exec_lo, exec_lo, s73
.LBB6_764:                              ;   in Loop: Header=BB6_356 Depth=4
	s_delay_alu instid0(SALU_CYCLE_1) | instskip(SKIP_2) | instid1(VALU_DEP_1)
	s_or_b32 exec_lo, exec_lo, s13
	v_lshrrev_b16 v0, 8, v39
	s_mov_b32 s13, exec_lo
	v_cmpx_ne_u16_e32 0, v0
	s_cbranch_execz .LBB6_772
; %bb.765:                              ;   in Loop: Header=BB6_356 Depth=4
	v_bfrev_b32_e32 v1, 1
	s_mov_b32 s73, exec_lo
	v_cmpx_ne_u16_e32 0x80, v0
	s_cbranch_execz .LBB6_771
; %bb.766:                              ;   in Loop: Header=BB6_356 Depth=4
	v_and_b32_e32 v0, 0xffff, v0
	v_mov_b32_e32 v1, 0x7f800001
	s_mov_b32 s74, exec_lo
	s_delay_alu instid0(VALU_DEP_2) | instskip(NEXT) | instid1(VALU_DEP_1)
	v_and_b32_e32 v36, 0x7f, v0
	v_cmpx_ne_u32_e32 0x7f, v36
	s_cbranch_execz .LBB6_770
; %bb.767:                              ;   in Loop: Header=BB6_356 Depth=4
	v_and_b32_e32 v2, 7, v0
	v_lshrrev_b32_e32 v0, 3, v36
	s_mov_b32 s75, exec_lo
	v_cmpx_gt_u32_e32 8, v36
; %bb.768:                              ;   in Loop: Header=BB6_356 Depth=4
	s_delay_alu instid0(VALU_DEP_3) | instskip(NEXT) | instid1(VALU_DEP_1)
	v_clz_i32_u32_e32 v0, v2
	v_min_u32_e32 v0, 32, v0
	s_delay_alu instid0(VALU_DEP_1) | instskip(SKIP_1) | instid1(VALU_DEP_2)
	v_subrev_nc_u32_e32 v1, 28, v0
	v_sub_nc_u32_e32 v0, 29, v0
	v_lshlrev_b64_e32 v[36:37], v1, v[2:3]
	s_delay_alu instid0(VALU_DEP_1)
	v_and_b32_e32 v2, 7, v36
; %bb.769:                              ;   in Loop: Header=BB6_356 Depth=4
	s_or_b32 exec_lo, exec_lo, s75
	s_delay_alu instid0(VALU_DEP_1) | instskip(SKIP_1) | instid1(VALU_DEP_2)
	v_dual_lshlrev_b32 v1, 16, v39 :: v_dual_lshlrev_b32 v2, 20, v2
	v_lshl_add_u32 v0, v0, 23, 0x3c000000
	v_and_b32_e32 v1, 0x80000000, v1
	s_delay_alu instid0(VALU_DEP_1)
	v_or3_b32 v1, v2, v1, v0
.LBB6_770:                              ;   in Loop: Header=BB6_356 Depth=4
	s_or_b32 exec_lo, exec_lo, s74
.LBB6_771:                              ;   in Loop: Header=BB6_356 Depth=4
	s_delay_alu instid0(SALU_CYCLE_1)
	s_or_b32 exec_lo, exec_lo, s73
.LBB6_772:                              ;   in Loop: Header=BB6_356 Depth=4
	s_delay_alu instid0(SALU_CYCLE_1) | instskip(NEXT) | instid1(VALU_DEP_1)
	s_or_b32 exec_lo, exec_lo, s13
	v_add_f32_e32 v0, v31, v1
                                        ; implicit-def: $vgpr62
	s_mov_b32 s13, exec_lo
	s_delay_alu instid0(VALU_DEP_1) | instskip(SKIP_1) | instid1(VALU_DEP_2)
	v_and_b32_e32 v2, 0x7f800000, v0
	v_lshrrev_b32_e32 v1, 24, v0
	v_cmpx_ne_u64_e32 0x7f800000, v[2:3]
	s_xor_b32 s73, exec_lo, s13
	s_cbranch_execz .LBB6_786
; %bb.773:                              ;   in Loop: Header=BB6_356 Depth=4
	v_and_b32_e32 v2, 0x7fffffff, v0
	v_and_b32_e32 v1, 0x80, v1
                                        ; implicit-def: $vgpr62
	s_mov_b32 s13, exec_lo
	s_delay_alu instid0(VALU_DEP_2)
	v_cmpx_gt_u64_e32 0x43e00001, v[2:3]
	s_xor_b32 s74, exec_lo, s13
	s_cbranch_execz .LBB6_783
; %bb.774:                              ;   in Loop: Header=BB6_356 Depth=4
	v_mov_b32_e32 v62, 0
	s_mov_b32 s75, exec_lo
	v_cmpx_ne_u32_e32 0, v0
	s_cbranch_execz .LBB6_782
; %bb.775:                              ;   in Loop: Header=BB6_356 Depth=4
	v_bfe_u32 v31, v0, 23, 8
	v_and_b32_e32 v2, 0x7fffff, v0
	s_delay_alu instid0(VALU_DEP_2) | instskip(SKIP_2) | instid1(VALU_DEP_4)
	v_cmp_gt_u32_e64 s13, 0x7a, v31
	v_sub_nc_u32_e32 v0, 0x79, v31
	v_cmp_eq_u32_e32 vcc_lo, 0, v31
	v_or_b32_e32 v36, 0x800000, v2
	s_delay_alu instid0(VALU_DEP_1) | instskip(NEXT) | instid1(VALU_DEP_1)
	v_dual_cndmask_b32 v0, 0, v0, s13 :: v_dual_cndmask_b32 v2, v36, v2, vcc_lo
	v_cndmask_b32_e64 v0, v0, 0x78, vcc_lo
	s_delay_alu instid0(VALU_DEP_1) | instskip(NEXT) | instid1(VALU_DEP_1)
	v_dual_add_nc_u32 v36, 20, v0 :: v_dual_add_nc_u32 v48, 19, v0
	v_lshlrev_b64_e64 v[36:37], v36, -1
	s_delay_alu instid0(VALU_DEP_2) | instskip(NEXT) | instid1(VALU_DEP_2)
	v_lshlrev_b64_e64 v[48:49], v48, 1
	v_bfi_b32 v37, v37, 0, 0
	s_delay_alu instid0(VALU_DEP_3) | instskip(NEXT) | instid1(VALU_DEP_1)
	v_bfi_b32 v36, v36, 0, v2
	v_cmp_eq_u64_e64 s13, v[36:37], v[48:49]
	v_lshrrev_b64 v[36:37], v0, v[2:3]
	s_delay_alu instid0(VALU_DEP_1)
	v_mov_b64_e32 v[48:49], v[36:37]
	s_and_saveexec_b32 s76, s13
; %bb.776:                              ;   in Loop: Header=BB6_356 Depth=4
	v_bfe_u32 v2, v36, 20, 1
	s_delay_alu instid0(VALU_DEP_1) | instskip(NEXT) | instid1(VALU_DEP_1)
	v_add_nc_u64_e32 v[48:49], v[36:37], v[2:3]
	v_add_nc_u64_e32 v[48:49], -1, v[48:49]
; %bb.777:                              ;   in Loop: Header=BB6_356 Depth=4
	s_or_b32 exec_lo, exec_lo, s76
	v_add_nc_u32_e32 v2, 0xffffff81, v31
	v_lshrrev_b32_e32 v31, 23, v36
	s_mov_b32 s13, exec_lo
	s_delay_alu instid0(VALU_DEP_2) | instskip(NEXT) | instid1(VALU_DEP_1)
	v_cndmask_b32_e64 v2, v2, 0xffffff82, vcc_lo
	v_add3_u32 v49, v0, v2, v31
	v_and_b32_e32 v0, 0xfffff, v48
	s_delay_alu instid0(VALU_DEP_1) | instskip(NEXT) | instid1(VALU_DEP_1)
	v_dual_add_nc_u32 v31, 6, v49 :: v_dual_add_nc_u32 v2, v0, v36
                                        ; implicit-def: $vgpr36_vgpr37
                                        ; implicit-def: $vgpr0
	v_cmpx_ne_u32_e32 0, v31
	s_xor_b32 s13, exec_lo, s13
; %bb.778:                              ;   in Loop: Header=BB6_356 Depth=4
	s_delay_alu instid0(VALU_DEP_2) | instskip(SKIP_1) | instid1(VALU_DEP_1)
	v_cmp_lt_u64_e32 vcc_lo, 0xffffff, v[2:3]
	v_add_nc_u32_e32 v0, 7, v49
	v_cndmask_b32_e32 v0, v31, v0, vcc_lo
	v_cndmask_b32_e64 v31, 0, 1, vcc_lo
	s_delay_alu instid0(VALU_DEP_1)
	v_lshrrev_b64 v[36:37], v31, v[2:3]
; %bb.779:                              ;   in Loop: Header=BB6_356 Depth=4
	s_and_not1_saveexec_b32 s13, s13
; %bb.780:                              ;   in Loop: Header=BB6_356 Depth=4
	v_mov_b64_e32 v[36:37], v[2:3]
	v_bfe_u32 v0, v2, 23, 1
; %bb.781:                              ;   in Loop: Header=BB6_356 Depth=4
	s_or_b32 exec_lo, exec_lo, s13
	s_delay_alu instid0(VALU_DEP_2) | instskip(NEXT) | instid1(VALU_DEP_2)
	v_lshrrev_b64 v[36:37], 20, v[36:37]
	v_cmp_gt_i32_e32 vcc_lo, 16, v0
	v_min_i32_e32 v2, 15, v0
	v_cmp_eq_u32_e64 s13, 0, v0
	s_delay_alu instid0(VALU_DEP_2) | instskip(SKIP_1) | instid1(VALU_DEP_2)
	v_dual_cndmask_b32 v37, 0, v37 :: v_dual_lshlrev_b32 v2, 3, v2
	v_cndmask_b32_e32 v36, 7, v36, vcc_lo
	v_and_b32_e32 v2, 0xf8, v2
	s_delay_alu instid0(VALU_DEP_2) | instskip(NEXT) | instid1(VALU_DEP_2)
	v_cmp_eq_u64_e32 vcc_lo, 0, v[36:37]
	v_and_or_b32 v0, v36, 7, v2
	s_and_b32 s13, s13, vcc_lo
	s_delay_alu instid0(VALU_DEP_1) | instid1(SALU_CYCLE_1)
	v_cndmask_b32_e64 v0, v0, 0, s13
	s_delay_alu instid0(VALU_DEP_1)
	v_or_b32_e32 v62, v0, v1
.LBB6_782:                              ;   in Loop: Header=BB6_356 Depth=4
	s_or_b32 exec_lo, exec_lo, s75
                                        ; implicit-def: $vgpr1
.LBB6_783:                              ;   in Loop: Header=BB6_356 Depth=4
	s_and_not1_saveexec_b32 s13, s74
; %bb.784:                              ;   in Loop: Header=BB6_356 Depth=4
	v_or_b32_e32 v62, 0x7e, v1
; %bb.785:                              ;   in Loop: Header=BB6_356 Depth=4
	s_or_b32 exec_lo, exec_lo, s13
                                        ; implicit-def: $vgpr1
.LBB6_786:                              ;   in Loop: Header=BB6_356 Depth=4
	s_and_not1_saveexec_b32 s13, s73
; %bb.787:                              ;   in Loop: Header=BB6_356 Depth=4
	v_or_b32_e32 v62, 0x7f, v1
; %bb.788:                              ;   in Loop: Header=BB6_356 Depth=4
	s_or_b32 exec_lo, exec_lo, s13
	v_dual_mov_b32 v1, 0 :: v_dual_lshrrev_b32 v0, 16, v51
	v_mov_b32_e32 v31, 0
	s_mov_b32 s13, exec_lo
	s_delay_alu instid0(VALU_DEP_2) | instskip(NEXT) | instid1(VALU_DEP_1)
	v_and_b32_e32 v2, 0xff, v0
	v_cmpx_ne_u16_e32 0, v2
	s_cbranch_execz .LBB6_796
; %bb.789:                              ;   in Loop: Header=BB6_356 Depth=4
	v_bfrev_b32_e32 v31, 1
	s_mov_b32 s73, exec_lo
	v_cmpx_ne_u16_e32 0x80, v2
	s_cbranch_execz .LBB6_795
; %bb.790:                              ;   in Loop: Header=BB6_356 Depth=4
	v_bfe_u32 v36, v51, 16, 7
	v_mov_b32_e32 v31, 0x7f800001
	s_mov_b32 s74, exec_lo
	s_delay_alu instid0(VALU_DEP_2)
	v_cmpx_ne_u32_e32 0x7f, v36
	s_cbranch_execz .LBB6_794
; %bb.791:                              ;   in Loop: Header=BB6_356 Depth=4
	v_and_b32_e32 v2, 7, v0
	v_lshrrev_b32_e32 v31, 3, v36
	s_mov_b32 s75, exec_lo
	v_cmpx_gt_u32_e32 8, v36
; %bb.792:                              ;   in Loop: Header=BB6_356 Depth=4
	s_delay_alu instid0(VALU_DEP_3) | instskip(NEXT) | instid1(VALU_DEP_1)
	v_clz_i32_u32_e32 v31, v2
	v_min_u32_e32 v31, 32, v31
	s_delay_alu instid0(VALU_DEP_1) | instskip(NEXT) | instid1(VALU_DEP_1)
	v_subrev_nc_u32_e32 v36, 28, v31
	v_lshlrev_b64_e32 v[36:37], v36, v[2:3]
	s_delay_alu instid0(VALU_DEP_1)
	v_dual_sub_nc_u32 v31, 29, v31 :: v_dual_bitop2_b32 v2, 7, v36 bitop3:0x40
; %bb.793:                              ;   in Loop: Header=BB6_356 Depth=4
	s_or_b32 exec_lo, exec_lo, s75
	s_delay_alu instid0(VALU_DEP_1) | instskip(NEXT) | instid1(VALU_DEP_2)
	v_dual_lshlrev_b32 v0, 24, v0 :: v_dual_lshlrev_b32 v2, 20, v2
	v_lshl_add_u32 v31, v31, 23, 0x3c000000
	s_delay_alu instid0(VALU_DEP_2) | instskip(NEXT) | instid1(VALU_DEP_1)
	v_and_b32_e32 v0, 0x80000000, v0
	v_or3_b32 v31, v2, v0, v31
.LBB6_794:                              ;   in Loop: Header=BB6_356 Depth=4
	s_or_b32 exec_lo, exec_lo, s74
.LBB6_795:                              ;   in Loop: Header=BB6_356 Depth=4
	s_delay_alu instid0(SALU_CYCLE_1)
	s_or_b32 exec_lo, exec_lo, s73
.LBB6_796:                              ;   in Loop: Header=BB6_356 Depth=4
	s_delay_alu instid0(SALU_CYCLE_1) | instskip(SKIP_2) | instid1(VALU_DEP_1)
	s_or_b32 exec_lo, exec_lo, s13
	v_lshrrev_b32_e32 v0, 16, v39
	s_mov_b32 s13, exec_lo
	v_and_b32_e32 v2, 0xff, v0
	s_delay_alu instid0(VALU_DEP_1)
	v_cmpx_ne_u16_e32 0, v2
	s_cbranch_execz .LBB6_804
; %bb.797:                              ;   in Loop: Header=BB6_356 Depth=4
	v_bfrev_b32_e32 v1, 1
	s_mov_b32 s73, exec_lo
	v_cmpx_ne_u16_e32 0x80, v2
	s_cbranch_execz .LBB6_803
; %bb.798:                              ;   in Loop: Header=BB6_356 Depth=4
	v_bfe_u32 v36, v39, 16, 7
	v_mov_b32_e32 v1, 0x7f800001
	s_mov_b32 s74, exec_lo
	s_delay_alu instid0(VALU_DEP_2)
	v_cmpx_ne_u32_e32 0x7f, v36
	s_cbranch_execz .LBB6_802
; %bb.799:                              ;   in Loop: Header=BB6_356 Depth=4
	v_and_b32_e32 v2, 7, v0
	v_lshrrev_b32_e32 v0, 3, v36
	s_mov_b32 s75, exec_lo
	v_cmpx_gt_u32_e32 8, v36
; %bb.800:                              ;   in Loop: Header=BB6_356 Depth=4
	s_delay_alu instid0(VALU_DEP_3) | instskip(NEXT) | instid1(VALU_DEP_1)
	v_clz_i32_u32_e32 v0, v2
	v_min_u32_e32 v0, 32, v0
	s_delay_alu instid0(VALU_DEP_1) | instskip(SKIP_1) | instid1(VALU_DEP_2)
	v_subrev_nc_u32_e32 v1, 28, v0
	v_sub_nc_u32_e32 v0, 29, v0
	v_lshlrev_b64_e32 v[36:37], v1, v[2:3]
	s_delay_alu instid0(VALU_DEP_1)
	v_and_b32_e32 v2, 7, v36
; %bb.801:                              ;   in Loop: Header=BB6_356 Depth=4
	s_or_b32 exec_lo, exec_lo, s75
	s_delay_alu instid0(VALU_DEP_1) | instskip(SKIP_1) | instid1(VALU_DEP_2)
	v_dual_lshlrev_b32 v1, 8, v39 :: v_dual_lshlrev_b32 v2, 20, v2
	v_lshl_add_u32 v0, v0, 23, 0x3c000000
	v_and_b32_e32 v1, 0x80000000, v1
	s_delay_alu instid0(VALU_DEP_1)
	v_or3_b32 v1, v2, v1, v0
.LBB6_802:                              ;   in Loop: Header=BB6_356 Depth=4
	s_or_b32 exec_lo, exec_lo, s74
.LBB6_803:                              ;   in Loop: Header=BB6_356 Depth=4
	s_delay_alu instid0(SALU_CYCLE_1)
	s_or_b32 exec_lo, exec_lo, s73
.LBB6_804:                              ;   in Loop: Header=BB6_356 Depth=4
	s_delay_alu instid0(SALU_CYCLE_1) | instskip(NEXT) | instid1(VALU_DEP_1)
	s_or_b32 exec_lo, exec_lo, s13
	v_add_f32_e32 v0, v31, v1
                                        ; implicit-def: $vgpr48
	s_mov_b32 s13, exec_lo
	s_delay_alu instid0(VALU_DEP_1) | instskip(SKIP_1) | instid1(VALU_DEP_2)
	v_and_b32_e32 v2, 0x7f800000, v0
	v_lshrrev_b32_e32 v1, 24, v0
	v_cmpx_ne_u64_e32 0x7f800000, v[2:3]
	s_xor_b32 s73, exec_lo, s13
	s_cbranch_execz .LBB6_818
; %bb.805:                              ;   in Loop: Header=BB6_356 Depth=4
	v_and_b32_e32 v2, 0x7fffffff, v0
	v_and_b32_e32 v1, 0x80, v1
                                        ; implicit-def: $vgpr48
	s_mov_b32 s13, exec_lo
	s_delay_alu instid0(VALU_DEP_2)
	v_cmpx_gt_u64_e32 0x43e00001, v[2:3]
	s_xor_b32 s74, exec_lo, s13
	s_cbranch_execz .LBB6_815
; %bb.806:                              ;   in Loop: Header=BB6_356 Depth=4
	v_mov_b32_e32 v48, 0
	s_mov_b32 s75, exec_lo
	v_cmpx_ne_u32_e32 0, v0
	s_cbranch_execz .LBB6_814
; %bb.807:                              ;   in Loop: Header=BB6_356 Depth=4
	v_bfe_u32 v31, v0, 23, 8
	v_and_b32_e32 v2, 0x7fffff, v0
	s_delay_alu instid0(VALU_DEP_2) | instskip(SKIP_2) | instid1(VALU_DEP_4)
	v_cmp_gt_u32_e64 s13, 0x7a, v31
	v_sub_nc_u32_e32 v0, 0x79, v31
	v_cmp_eq_u32_e32 vcc_lo, 0, v31
	v_or_b32_e32 v36, 0x800000, v2
	s_delay_alu instid0(VALU_DEP_1) | instskip(NEXT) | instid1(VALU_DEP_1)
	v_dual_cndmask_b32 v0, 0, v0, s13 :: v_dual_cndmask_b32 v2, v36, v2, vcc_lo
	v_cndmask_b32_e64 v0, v0, 0x78, vcc_lo
	s_delay_alu instid0(VALU_DEP_1) | instskip(NEXT) | instid1(VALU_DEP_1)
	v_dual_add_nc_u32 v36, 20, v0 :: v_dual_add_nc_u32 v48, 19, v0
	v_lshlrev_b64_e64 v[36:37], v36, -1
	s_delay_alu instid0(VALU_DEP_2) | instskip(NEXT) | instid1(VALU_DEP_2)
	v_lshlrev_b64_e64 v[48:49], v48, 1
	v_bfi_b32 v37, v37, 0, 0
	s_delay_alu instid0(VALU_DEP_3) | instskip(NEXT) | instid1(VALU_DEP_1)
	v_bfi_b32 v36, v36, 0, v2
	v_cmp_eq_u64_e64 s13, v[36:37], v[48:49]
	v_lshrrev_b64 v[36:37], v0, v[2:3]
	s_delay_alu instid0(VALU_DEP_1)
	v_mov_b64_e32 v[48:49], v[36:37]
	s_and_saveexec_b32 s76, s13
; %bb.808:                              ;   in Loop: Header=BB6_356 Depth=4
	v_bfe_u32 v2, v36, 20, 1
	s_delay_alu instid0(VALU_DEP_1) | instskip(NEXT) | instid1(VALU_DEP_1)
	v_add_nc_u64_e32 v[48:49], v[36:37], v[2:3]
	v_add_nc_u64_e32 v[48:49], -1, v[48:49]
; %bb.809:                              ;   in Loop: Header=BB6_356 Depth=4
	s_or_b32 exec_lo, exec_lo, s76
	v_add_nc_u32_e32 v2, 0xffffff81, v31
	v_lshrrev_b32_e32 v31, 23, v36
	s_mov_b32 s13, exec_lo
	s_delay_alu instid0(VALU_DEP_2) | instskip(NEXT) | instid1(VALU_DEP_1)
	v_cndmask_b32_e64 v2, v2, 0xffffff82, vcc_lo
	v_add3_u32 v49, v0, v2, v31
	v_and_b32_e32 v0, 0xfffff, v48
	s_delay_alu instid0(VALU_DEP_1) | instskip(NEXT) | instid1(VALU_DEP_1)
	v_dual_add_nc_u32 v31, 6, v49 :: v_dual_add_nc_u32 v2, v0, v36
                                        ; implicit-def: $vgpr36_vgpr37
                                        ; implicit-def: $vgpr0
	v_cmpx_ne_u32_e32 0, v31
	s_xor_b32 s13, exec_lo, s13
; %bb.810:                              ;   in Loop: Header=BB6_356 Depth=4
	s_delay_alu instid0(VALU_DEP_2) | instskip(SKIP_1) | instid1(VALU_DEP_1)
	v_cmp_lt_u64_e32 vcc_lo, 0xffffff, v[2:3]
	v_add_nc_u32_e32 v0, 7, v49
	v_cndmask_b32_e32 v0, v31, v0, vcc_lo
	v_cndmask_b32_e64 v31, 0, 1, vcc_lo
	s_delay_alu instid0(VALU_DEP_1)
	v_lshrrev_b64 v[36:37], v31, v[2:3]
; %bb.811:                              ;   in Loop: Header=BB6_356 Depth=4
	s_and_not1_saveexec_b32 s13, s13
; %bb.812:                              ;   in Loop: Header=BB6_356 Depth=4
	v_mov_b64_e32 v[36:37], v[2:3]
	v_bfe_u32 v0, v2, 23, 1
; %bb.813:                              ;   in Loop: Header=BB6_356 Depth=4
	s_or_b32 exec_lo, exec_lo, s13
	s_delay_alu instid0(VALU_DEP_2) | instskip(NEXT) | instid1(VALU_DEP_2)
	v_lshrrev_b64 v[36:37], 20, v[36:37]
	v_cmp_gt_i32_e32 vcc_lo, 16, v0
	v_min_i32_e32 v2, 15, v0
	v_cmp_eq_u32_e64 s13, 0, v0
	s_delay_alu instid0(VALU_DEP_2) | instskip(SKIP_1) | instid1(VALU_DEP_2)
	v_dual_cndmask_b32 v37, 0, v37 :: v_dual_lshlrev_b32 v2, 3, v2
	v_cndmask_b32_e32 v36, 7, v36, vcc_lo
	v_and_b32_e32 v2, 0xf8, v2
	s_delay_alu instid0(VALU_DEP_2) | instskip(NEXT) | instid1(VALU_DEP_2)
	v_cmp_eq_u64_e32 vcc_lo, 0, v[36:37]
	v_and_or_b32 v0, v36, 7, v2
	s_and_b32 s13, s13, vcc_lo
	s_delay_alu instid0(VALU_DEP_1) | instid1(SALU_CYCLE_1)
	v_cndmask_b32_e64 v0, v0, 0, s13
	s_delay_alu instid0(VALU_DEP_1)
	v_or_b32_e32 v48, v0, v1
.LBB6_814:                              ;   in Loop: Header=BB6_356 Depth=4
	s_or_b32 exec_lo, exec_lo, s75
                                        ; implicit-def: $vgpr1
.LBB6_815:                              ;   in Loop: Header=BB6_356 Depth=4
	s_and_not1_saveexec_b32 s13, s74
; %bb.816:                              ;   in Loop: Header=BB6_356 Depth=4
	v_or_b32_e32 v48, 0x7e, v1
; %bb.817:                              ;   in Loop: Header=BB6_356 Depth=4
	s_or_b32 exec_lo, exec_lo, s13
                                        ; implicit-def: $vgpr1
.LBB6_818:                              ;   in Loop: Header=BB6_356 Depth=4
	s_and_not1_saveexec_b32 s13, s73
; %bb.819:                              ;   in Loop: Header=BB6_356 Depth=4
	v_or_b32_e32 v48, 0x7f, v1
; %bb.820:                              ;   in Loop: Header=BB6_356 Depth=4
	s_or_b32 exec_lo, exec_lo, s13
	v_dual_mov_b32 v1, 0 :: v_dual_mov_b32 v31, 0
	s_mov_b32 s13, exec_lo
	v_cmpx_lt_u64_e64 s[22:23], v[50:51]
	s_cbranch_execz .LBB6_828
; %bb.821:                              ;   in Loop: Header=BB6_356 Depth=4
	v_lshrrev_b32_e32 v0, 24, v51
	v_bfrev_b32_e32 v31, 1
	s_mov_b32 s73, exec_lo
	s_delay_alu instid0(VALU_DEP_2)
	v_cmpx_ne_u32_e32 0x80, v0
	s_cbranch_execz .LBB6_827
; %bb.822:                              ;   in Loop: Header=BB6_356 Depth=4
	v_bfe_u32 v36, v51, 24, 7
	v_mov_b32_e32 v31, 0x7f800001
	s_mov_b32 s74, exec_lo
	s_delay_alu instid0(VALU_DEP_2)
	v_cmpx_ne_u32_e32 0x7f, v36
	s_cbranch_execz .LBB6_826
; %bb.823:                              ;   in Loop: Header=BB6_356 Depth=4
	v_and_b32_e32 v2, 7, v0
	v_lshrrev_b32_e32 v31, 3, v36
	s_mov_b32 s75, exec_lo
	v_cmpx_gt_u32_e32 8, v36
; %bb.824:                              ;   in Loop: Header=BB6_356 Depth=4
	s_delay_alu instid0(VALU_DEP_3) | instskip(NEXT) | instid1(VALU_DEP_1)
	v_clz_i32_u32_e32 v31, v2
	v_min_u32_e32 v31, 32, v31
	s_delay_alu instid0(VALU_DEP_1) | instskip(NEXT) | instid1(VALU_DEP_1)
	v_subrev_nc_u32_e32 v36, 28, v31
	v_lshlrev_b64_e32 v[36:37], v36, v[2:3]
	s_delay_alu instid0(VALU_DEP_1)
	v_dual_sub_nc_u32 v31, 29, v31 :: v_dual_bitop2_b32 v2, 7, v36 bitop3:0x40
; %bb.825:                              ;   in Loop: Header=BB6_356 Depth=4
	s_or_b32 exec_lo, exec_lo, s75
	s_delay_alu instid0(VALU_DEP_1) | instskip(NEXT) | instid1(VALU_DEP_2)
	v_dual_lshlrev_b32 v0, 24, v0 :: v_dual_lshlrev_b32 v2, 20, v2
	v_lshl_add_u32 v31, v31, 23, 0x3c000000
	s_delay_alu instid0(VALU_DEP_2) | instskip(NEXT) | instid1(VALU_DEP_1)
	v_and_b32_e32 v0, 0x80000000, v0
	v_or3_b32 v31, v2, v0, v31
.LBB6_826:                              ;   in Loop: Header=BB6_356 Depth=4
	s_or_b32 exec_lo, exec_lo, s74
.LBB6_827:                              ;   in Loop: Header=BB6_356 Depth=4
	s_delay_alu instid0(SALU_CYCLE_1)
	s_or_b32 exec_lo, exec_lo, s73
.LBB6_828:                              ;   in Loop: Header=BB6_356 Depth=4
	s_delay_alu instid0(SALU_CYCLE_1) | instskip(NEXT) | instid1(SALU_CYCLE_1)
	s_or_b32 exec_lo, exec_lo, s13
	s_mov_b32 s13, exec_lo
	v_cmpx_lt_u64_e64 s[22:23], v[38:39]
	s_cbranch_execz .LBB6_836
; %bb.829:                              ;   in Loop: Header=BB6_356 Depth=4
	v_lshrrev_b32_e32 v0, 24, v39
	v_bfrev_b32_e32 v1, 1
	s_mov_b32 s73, exec_lo
	s_delay_alu instid0(VALU_DEP_2)
	v_cmpx_ne_u32_e32 0x80, v0
	s_cbranch_execz .LBB6_835
; %bb.830:                              ;   in Loop: Header=BB6_356 Depth=4
	v_bfe_u32 v36, v39, 24, 7
	v_mov_b32_e32 v1, 0x7f800001
	s_mov_b32 s74, exec_lo
	s_delay_alu instid0(VALU_DEP_2)
	v_cmpx_ne_u32_e32 0x7f, v36
	s_cbranch_execz .LBB6_834
; %bb.831:                              ;   in Loop: Header=BB6_356 Depth=4
	v_and_b32_e32 v2, 7, v0
	v_lshrrev_b32_e32 v1, 3, v36
	s_mov_b32 s75, exec_lo
	v_cmpx_gt_u32_e32 8, v36
; %bb.832:                              ;   in Loop: Header=BB6_356 Depth=4
	s_delay_alu instid0(VALU_DEP_3) | instskip(NEXT) | instid1(VALU_DEP_1)
	v_clz_i32_u32_e32 v1, v2
	v_min_u32_e32 v1, 32, v1
	s_delay_alu instid0(VALU_DEP_1) | instskip(NEXT) | instid1(VALU_DEP_1)
	v_subrev_nc_u32_e32 v36, 28, v1
	v_lshlrev_b64_e32 v[36:37], v36, v[2:3]
	s_delay_alu instid0(VALU_DEP_1)
	v_dual_sub_nc_u32 v1, 29, v1 :: v_dual_bitop2_b32 v2, 7, v36 bitop3:0x40
; %bb.833:                              ;   in Loop: Header=BB6_356 Depth=4
	s_or_b32 exec_lo, exec_lo, s75
	s_delay_alu instid0(VALU_DEP_1) | instskip(NEXT) | instid1(VALU_DEP_2)
	v_dual_lshlrev_b32 v0, 24, v0 :: v_dual_lshlrev_b32 v2, 20, v2
	v_lshl_add_u32 v1, v1, 23, 0x3c000000
	s_delay_alu instid0(VALU_DEP_2) | instskip(NEXT) | instid1(VALU_DEP_1)
	v_and_b32_e32 v0, 0x80000000, v0
	v_or3_b32 v1, v2, v0, v1
.LBB6_834:                              ;   in Loop: Header=BB6_356 Depth=4
	s_or_b32 exec_lo, exec_lo, s74
.LBB6_835:                              ;   in Loop: Header=BB6_356 Depth=4
	s_delay_alu instid0(SALU_CYCLE_1)
	s_or_b32 exec_lo, exec_lo, s73
.LBB6_836:                              ;   in Loop: Header=BB6_356 Depth=4
	s_delay_alu instid0(SALU_CYCLE_1) | instskip(NEXT) | instid1(VALU_DEP_1)
	s_or_b32 exec_lo, exec_lo, s13
	v_add_f32_e32 v0, v31, v1
                                        ; implicit-def: $vgpr49
	s_mov_b32 s13, exec_lo
	s_delay_alu instid0(VALU_DEP_1) | instskip(SKIP_1) | instid1(VALU_DEP_2)
	v_and_b32_e32 v2, 0x7f800000, v0
	v_lshrrev_b32_e32 v1, 24, v0
	v_cmpx_ne_u64_e32 0x7f800000, v[2:3]
	s_xor_b32 s73, exec_lo, s13
	s_cbranch_execz .LBB6_850
; %bb.837:                              ;   in Loop: Header=BB6_356 Depth=4
	v_and_b32_e32 v2, 0x7fffffff, v0
	v_and_b32_e32 v1, 0x80, v1
                                        ; implicit-def: $vgpr49
	s_mov_b32 s13, exec_lo
	s_delay_alu instid0(VALU_DEP_2)
	v_cmpx_gt_u64_e32 0x43e00001, v[2:3]
	s_xor_b32 s74, exec_lo, s13
	s_cbranch_execz .LBB6_847
; %bb.838:                              ;   in Loop: Header=BB6_356 Depth=4
	v_mov_b32_e32 v49, 0
	s_mov_b32 s75, exec_lo
	v_cmpx_ne_u32_e32 0, v0
	s_cbranch_execz .LBB6_846
; %bb.839:                              ;   in Loop: Header=BB6_356 Depth=4
	v_bfe_u32 v31, v0, 23, 8
	v_and_b32_e32 v2, 0x7fffff, v0
	s_delay_alu instid0(VALU_DEP_2) | instskip(SKIP_2) | instid1(VALU_DEP_4)
	v_cmp_gt_u32_e64 s13, 0x7a, v31
	v_sub_nc_u32_e32 v0, 0x79, v31
	v_cmp_eq_u32_e32 vcc_lo, 0, v31
	v_or_b32_e32 v36, 0x800000, v2
	s_delay_alu instid0(VALU_DEP_1) | instskip(NEXT) | instid1(VALU_DEP_1)
	v_dual_cndmask_b32 v0, 0, v0, s13 :: v_dual_cndmask_b32 v2, v36, v2, vcc_lo
	v_cndmask_b32_e64 v0, v0, 0x78, vcc_lo
	s_delay_alu instid0(VALU_DEP_1) | instskip(NEXT) | instid1(VALU_DEP_1)
	v_dual_add_nc_u32 v36, 20, v0 :: v_dual_add_nc_u32 v38, 19, v0
	v_lshlrev_b64_e64 v[36:37], v36, -1
	s_delay_alu instid0(VALU_DEP_2) | instskip(NEXT) | instid1(VALU_DEP_2)
	v_lshlrev_b64_e64 v[38:39], v38, 1
	v_bfi_b32 v37, v37, 0, 0
	s_delay_alu instid0(VALU_DEP_3) | instskip(NEXT) | instid1(VALU_DEP_1)
	v_bfi_b32 v36, v36, 0, v2
	v_cmp_eq_u64_e64 s13, v[36:37], v[38:39]
	v_lshrrev_b64 v[36:37], v0, v[2:3]
	s_delay_alu instid0(VALU_DEP_1)
	v_mov_b64_e32 v[38:39], v[36:37]
	s_and_saveexec_b32 s76, s13
; %bb.840:                              ;   in Loop: Header=BB6_356 Depth=4
	v_bfe_u32 v2, v36, 20, 1
	s_delay_alu instid0(VALU_DEP_1) | instskip(NEXT) | instid1(VALU_DEP_1)
	v_add_nc_u64_e32 v[38:39], v[36:37], v[2:3]
	v_add_nc_u64_e32 v[38:39], -1, v[38:39]
; %bb.841:                              ;   in Loop: Header=BB6_356 Depth=4
	s_or_b32 exec_lo, exec_lo, s76
	v_add_nc_u32_e32 v2, 0xffffff81, v31
	v_lshrrev_b32_e32 v31, 23, v36
	s_mov_b32 s13, exec_lo
	s_delay_alu instid0(VALU_DEP_2) | instskip(NEXT) | instid1(VALU_DEP_1)
	v_cndmask_b32_e64 v2, v2, 0xffffff82, vcc_lo
	v_add3_u32 v39, v0, v2, v31
	v_and_b32_e32 v0, 0xfffff, v38
	s_delay_alu instid0(VALU_DEP_1) | instskip(NEXT) | instid1(VALU_DEP_1)
	v_dual_add_nc_u32 v31, 6, v39 :: v_dual_add_nc_u32 v2, v0, v36
                                        ; implicit-def: $vgpr36_vgpr37
                                        ; implicit-def: $vgpr0
	v_cmpx_ne_u32_e32 0, v31
	s_xor_b32 s13, exec_lo, s13
; %bb.842:                              ;   in Loop: Header=BB6_356 Depth=4
	s_delay_alu instid0(VALU_DEP_2) | instskip(SKIP_1) | instid1(VALU_DEP_1)
	v_cmp_lt_u64_e32 vcc_lo, 0xffffff, v[2:3]
	v_add_nc_u32_e32 v0, 7, v39
	v_cndmask_b32_e32 v0, v31, v0, vcc_lo
	v_cndmask_b32_e64 v31, 0, 1, vcc_lo
	s_delay_alu instid0(VALU_DEP_1)
	v_lshrrev_b64 v[36:37], v31, v[2:3]
; %bb.843:                              ;   in Loop: Header=BB6_356 Depth=4
	s_and_not1_saveexec_b32 s13, s13
; %bb.844:                              ;   in Loop: Header=BB6_356 Depth=4
	v_mov_b64_e32 v[36:37], v[2:3]
	v_bfe_u32 v0, v2, 23, 1
; %bb.845:                              ;   in Loop: Header=BB6_356 Depth=4
	s_or_b32 exec_lo, exec_lo, s13
	s_delay_alu instid0(VALU_DEP_2) | instskip(NEXT) | instid1(VALU_DEP_2)
	v_lshrrev_b64 v[36:37], 20, v[36:37]
	v_cmp_gt_i32_e32 vcc_lo, 16, v0
	v_min_i32_e32 v2, 15, v0
	v_cmp_eq_u32_e64 s13, 0, v0
	s_delay_alu instid0(VALU_DEP_2) | instskip(SKIP_1) | instid1(VALU_DEP_2)
	v_dual_cndmask_b32 v37, 0, v37 :: v_dual_lshlrev_b32 v2, 3, v2
	v_cndmask_b32_e32 v36, 7, v36, vcc_lo
	v_and_b32_e32 v2, 0xf8, v2
	s_delay_alu instid0(VALU_DEP_2) | instskip(NEXT) | instid1(VALU_DEP_2)
	v_cmp_eq_u64_e32 vcc_lo, 0, v[36:37]
	v_and_or_b32 v0, v36, 7, v2
	s_and_b32 s13, s13, vcc_lo
	s_delay_alu instid0(VALU_DEP_1) | instid1(SALU_CYCLE_1)
	v_cndmask_b32_e64 v0, v0, 0, s13
	s_delay_alu instid0(VALU_DEP_1)
	v_or_b32_e32 v49, v0, v1
.LBB6_846:                              ;   in Loop: Header=BB6_356 Depth=4
	s_or_b32 exec_lo, exec_lo, s75
                                        ; implicit-def: $vgpr1
.LBB6_847:                              ;   in Loop: Header=BB6_356 Depth=4
	s_and_not1_saveexec_b32 s13, s74
; %bb.848:                              ;   in Loop: Header=BB6_356 Depth=4
	v_or_b32_e32 v49, 0x7e, v1
; %bb.849:                              ;   in Loop: Header=BB6_356 Depth=4
	s_or_b32 exec_lo, exec_lo, s13
                                        ; implicit-def: $vgpr1
.LBB6_850:                              ;   in Loop: Header=BB6_356 Depth=4
	s_and_not1_saveexec_b32 s13, s73
; %bb.851:                              ;   in Loop: Header=BB6_356 Depth=4
	v_or_b32_e32 v49, 0x7f, v1
; %bb.852:                              ;   in Loop: Header=BB6_356 Depth=4
	s_or_b32 exec_lo, exec_lo, s13
	v_and_b32_e32 v0, 0xff, v32
	v_dual_mov_b32 v1, 0 :: v_dual_mov_b32 v2, 0
	s_mov_b32 s13, exec_lo
	s_delay_alu instid0(VALU_DEP_2)
	v_cmpx_ne_u16_e32 0, v0
	s_cbranch_execz .LBB6_858
; %bb.853:                              ;   in Loop: Header=BB6_356 Depth=4
	v_bfrev_b32_e32 v2, 1
	s_mov_b32 s73, exec_lo
	v_cmpx_ne_u16_e32 0x80, v0
	s_cbranch_execz .LBB6_857
; %bb.854:                              ;   in Loop: Header=BB6_356 Depth=4
	v_and_b32_e32 v0, 0x7f, v32
	v_mov_b32_e32 v2, 0x7f800001
	s_mov_b32 s74, exec_lo
	s_delay_alu instid0(VALU_DEP_2)
	v_cmpx_ne_u32_e32 0x7f, v0
	s_cbranch_execz .LBB6_856
; %bb.855:                              ;   in Loop: Header=BB6_356 Depth=4
	v_and_b32_e32 v2, 7, v32
	v_lshrrev_b32_e32 v31, 3, v0
	v_cmp_gt_u32_e32 vcc_lo, 8, v0
	s_delay_alu instid0(VALU_DEP_3) | instskip(NEXT) | instid1(VALU_DEP_1)
	v_clz_i32_u32_e32 v0, v2
	v_min_u32_e32 v0, 32, v0
	s_delay_alu instid0(VALU_DEP_1) | instskip(NEXT) | instid1(VALU_DEP_1)
	v_subrev_nc_u32_e32 v2, 28, v0
	v_dual_sub_nc_u32 v0, 29, v0 :: v_dual_cndmask_b32 v2, 0, v2, vcc_lo
	s_delay_alu instid0(VALU_DEP_1) | instskip(SKIP_1) | instid1(VALU_DEP_3)
	v_cndmask_b32_e32 v0, v31, v0, vcc_lo
	v_lshlrev_b32_e32 v31, 24, v32
	v_lshlrev_b64_e32 v[36:37], v2, v[32:33]
	s_delay_alu instid0(VALU_DEP_3) | instskip(NEXT) | instid1(VALU_DEP_3)
	v_lshl_add_u32 v0, v0, 23, 0x3c000000
	v_and_b32_e32 v31, 0x80000000, v31
	s_delay_alu instid0(VALU_DEP_3) | instskip(NEXT) | instid1(VALU_DEP_1)
	v_lshlrev_b32_e32 v2, 20, v36
	v_and_b32_e32 v2, 0x700000, v2
	s_delay_alu instid0(VALU_DEP_1)
	v_or3_b32 v2, v2, v31, v0
.LBB6_856:                              ;   in Loop: Header=BB6_356 Depth=4
	s_or_b32 exec_lo, exec_lo, s74
.LBB6_857:                              ;   in Loop: Header=BB6_356 Depth=4
	s_delay_alu instid0(SALU_CYCLE_1)
	s_or_b32 exec_lo, exec_lo, s73
.LBB6_858:                              ;   in Loop: Header=BB6_356 Depth=4
	s_delay_alu instid0(SALU_CYCLE_1) | instskip(SKIP_3) | instid1(VALU_DEP_1)
	s_or_b32 exec_lo, exec_lo, s13
	s_wait_loadcnt 0x2
	v_and_b32_e32 v0, 0xff, v24
	s_mov_b32 s13, exec_lo
	v_cmpx_ne_u16_e32 0, v0
	s_cbranch_execz .LBB6_864
; %bb.859:                              ;   in Loop: Header=BB6_356 Depth=4
	v_bfrev_b32_e32 v1, 1
	s_mov_b32 s73, exec_lo
	v_cmpx_ne_u16_e32 0x80, v0
	s_cbranch_execz .LBB6_863
; %bb.860:                              ;   in Loop: Header=BB6_356 Depth=4
	v_and_b32_e32 v0, 0x7f, v24
	v_mov_b32_e32 v1, 0x7f800001
	s_mov_b32 s74, exec_lo
	s_delay_alu instid0(VALU_DEP_2)
	v_cmpx_ne_u32_e32 0x7f, v0
	s_cbranch_execz .LBB6_862
; %bb.861:                              ;   in Loop: Header=BB6_356 Depth=4
	v_and_b32_e32 v1, 7, v24
	v_lshrrev_b32_e32 v31, 3, v0
	v_cmp_gt_u32_e32 vcc_lo, 8, v0
	s_delay_alu instid0(VALU_DEP_3) | instskip(NEXT) | instid1(VALU_DEP_1)
	v_clz_i32_u32_e32 v0, v1
	v_min_u32_e32 v0, 32, v0
	s_delay_alu instid0(VALU_DEP_1) | instskip(SKIP_1) | instid1(VALU_DEP_1)
	v_subrev_nc_u32_e32 v1, 28, v0
	v_sub_nc_u32_e32 v0, 29, v0
	v_dual_cndmask_b32 v31, v31, v0 :: v_dual_cndmask_b32 v0, 0, v1
	s_delay_alu instid0(VALU_DEP_1) | instskip(NEXT) | instid1(VALU_DEP_2)
	v_lshl_add_u32 v31, v31, 23, 0x3c000000
	v_lshlrev_b64_e32 v[0:1], v0, v[24:25]
	v_lshlrev_b32_e32 v1, 24, v24
	s_delay_alu instid0(VALU_DEP_1) | instskip(NEXT) | instid1(VALU_DEP_3)
	v_and_b32_e32 v1, 0x80000000, v1
	v_lshlrev_b32_e32 v0, 20, v0
	s_delay_alu instid0(VALU_DEP_1) | instskip(NEXT) | instid1(VALU_DEP_1)
	v_and_b32_e32 v0, 0x700000, v0
	v_or3_b32 v1, v0, v1, v31
.LBB6_862:                              ;   in Loop: Header=BB6_356 Depth=4
	s_or_b32 exec_lo, exec_lo, s74
.LBB6_863:                              ;   in Loop: Header=BB6_356 Depth=4
	s_delay_alu instid0(SALU_CYCLE_1)
	s_or_b32 exec_lo, exec_lo, s73
.LBB6_864:                              ;   in Loop: Header=BB6_356 Depth=4
	s_delay_alu instid0(SALU_CYCLE_1) | instskip(NEXT) | instid1(VALU_DEP_1)
	s_or_b32 exec_lo, exec_lo, s13
	v_add_f32_e32 v0, v2, v1
                                        ; implicit-def: $vgpr50
	s_mov_b32 s13, exec_lo
	s_delay_alu instid0(VALU_DEP_1) | instskip(SKIP_1) | instid1(VALU_DEP_2)
	v_and_b32_e32 v2, 0x7f800000, v0
	v_lshrrev_b32_e32 v1, 24, v0
	v_cmpx_ne_u64_e32 0x7f800000, v[2:3]
	s_xor_b32 s73, exec_lo, s13
	s_cbranch_execz .LBB6_878
; %bb.865:                              ;   in Loop: Header=BB6_356 Depth=4
	v_and_b32_e32 v2, 0x7fffffff, v0
	v_and_b32_e32 v1, 0x80, v1
                                        ; implicit-def: $vgpr50
	s_mov_b32 s13, exec_lo
	s_delay_alu instid0(VALU_DEP_2)
	v_cmpx_gt_u64_e32 0x43e00001, v[2:3]
	s_xor_b32 s74, exec_lo, s13
	s_cbranch_execz .LBB6_875
; %bb.866:                              ;   in Loop: Header=BB6_356 Depth=4
	v_mov_b32_e32 v50, 0
	s_mov_b32 s75, exec_lo
	v_cmpx_ne_u32_e32 0, v0
	s_cbranch_execz .LBB6_874
; %bb.867:                              ;   in Loop: Header=BB6_356 Depth=4
	v_bfe_u32 v31, v0, 23, 8
	v_and_b32_e32 v2, 0x7fffff, v0
	s_delay_alu instid0(VALU_DEP_2) | instskip(SKIP_2) | instid1(VALU_DEP_4)
	v_cmp_gt_u32_e64 s13, 0x7a, v31
	v_sub_nc_u32_e32 v0, 0x79, v31
	v_cmp_eq_u32_e32 vcc_lo, 0, v31
	v_or_b32_e32 v36, 0x800000, v2
	s_delay_alu instid0(VALU_DEP_1) | instskip(NEXT) | instid1(VALU_DEP_1)
	v_dual_cndmask_b32 v0, 0, v0, s13 :: v_dual_cndmask_b32 v2, v36, v2, vcc_lo
	v_cndmask_b32_e64 v0, v0, 0x78, vcc_lo
	s_delay_alu instid0(VALU_DEP_1) | instskip(NEXT) | instid1(VALU_DEP_1)
	v_dual_add_nc_u32 v36, 20, v0 :: v_dual_add_nc_u32 v38, 19, v0
	v_lshlrev_b64_e64 v[36:37], v36, -1
	s_delay_alu instid0(VALU_DEP_2) | instskip(NEXT) | instid1(VALU_DEP_2)
	v_lshlrev_b64_e64 v[38:39], v38, 1
	v_bfi_b32 v37, v37, 0, 0
	s_delay_alu instid0(VALU_DEP_3) | instskip(NEXT) | instid1(VALU_DEP_1)
	v_bfi_b32 v36, v36, 0, v2
	v_cmp_eq_u64_e64 s13, v[36:37], v[38:39]
	v_lshrrev_b64 v[36:37], v0, v[2:3]
	s_delay_alu instid0(VALU_DEP_1)
	v_mov_b64_e32 v[38:39], v[36:37]
	s_and_saveexec_b32 s76, s13
; %bb.868:                              ;   in Loop: Header=BB6_356 Depth=4
	v_bfe_u32 v2, v36, 20, 1
	s_delay_alu instid0(VALU_DEP_1) | instskip(NEXT) | instid1(VALU_DEP_1)
	v_add_nc_u64_e32 v[38:39], v[36:37], v[2:3]
	v_add_nc_u64_e32 v[38:39], -1, v[38:39]
; %bb.869:                              ;   in Loop: Header=BB6_356 Depth=4
	s_or_b32 exec_lo, exec_lo, s76
	v_add_nc_u32_e32 v2, 0xffffff81, v31
	v_lshrrev_b32_e32 v31, 23, v36
	s_mov_b32 s13, exec_lo
	s_delay_alu instid0(VALU_DEP_2) | instskip(NEXT) | instid1(VALU_DEP_1)
	v_cndmask_b32_e64 v2, v2, 0xffffff82, vcc_lo
	v_add3_u32 v39, v0, v2, v31
	v_and_b32_e32 v0, 0xfffff, v38
	s_delay_alu instid0(VALU_DEP_1) | instskip(NEXT) | instid1(VALU_DEP_1)
	v_dual_add_nc_u32 v31, 6, v39 :: v_dual_add_nc_u32 v2, v0, v36
                                        ; implicit-def: $vgpr36_vgpr37
                                        ; implicit-def: $vgpr0
	v_cmpx_ne_u32_e32 0, v31
	s_xor_b32 s13, exec_lo, s13
; %bb.870:                              ;   in Loop: Header=BB6_356 Depth=4
	s_delay_alu instid0(VALU_DEP_2) | instskip(SKIP_1) | instid1(VALU_DEP_1)
	v_cmp_lt_u64_e32 vcc_lo, 0xffffff, v[2:3]
	v_add_nc_u32_e32 v0, 7, v39
	v_cndmask_b32_e32 v0, v31, v0, vcc_lo
	v_cndmask_b32_e64 v31, 0, 1, vcc_lo
	s_delay_alu instid0(VALU_DEP_1)
	v_lshrrev_b64 v[36:37], v31, v[2:3]
; %bb.871:                              ;   in Loop: Header=BB6_356 Depth=4
	s_and_not1_saveexec_b32 s13, s13
; %bb.872:                              ;   in Loop: Header=BB6_356 Depth=4
	v_mov_b64_e32 v[36:37], v[2:3]
	v_bfe_u32 v0, v2, 23, 1
; %bb.873:                              ;   in Loop: Header=BB6_356 Depth=4
	s_or_b32 exec_lo, exec_lo, s13
	s_delay_alu instid0(VALU_DEP_2) | instskip(NEXT) | instid1(VALU_DEP_2)
	v_lshrrev_b64 v[36:37], 20, v[36:37]
	v_cmp_gt_i32_e32 vcc_lo, 16, v0
	v_min_i32_e32 v2, 15, v0
	v_cmp_eq_u32_e64 s13, 0, v0
	s_delay_alu instid0(VALU_DEP_2) | instskip(SKIP_1) | instid1(VALU_DEP_2)
	v_dual_cndmask_b32 v37, 0, v37 :: v_dual_lshlrev_b32 v2, 3, v2
	v_cndmask_b32_e32 v36, 7, v36, vcc_lo
	v_and_b32_e32 v2, 0xf8, v2
	s_delay_alu instid0(VALU_DEP_2) | instskip(NEXT) | instid1(VALU_DEP_2)
	v_cmp_eq_u64_e32 vcc_lo, 0, v[36:37]
	v_and_or_b32 v0, v36, 7, v2
	s_and_b32 s13, s13, vcc_lo
	s_delay_alu instid0(VALU_DEP_1) | instid1(SALU_CYCLE_1)
	v_cndmask_b32_e64 v0, v0, 0, s13
	s_delay_alu instid0(VALU_DEP_1)
	v_or_b32_e32 v50, v0, v1
.LBB6_874:                              ;   in Loop: Header=BB6_356 Depth=4
	s_or_b32 exec_lo, exec_lo, s75
                                        ; implicit-def: $vgpr1
.LBB6_875:                              ;   in Loop: Header=BB6_356 Depth=4
	s_and_not1_saveexec_b32 s13, s74
; %bb.876:                              ;   in Loop: Header=BB6_356 Depth=4
	v_or_b32_e32 v50, 0x7e, v1
; %bb.877:                              ;   in Loop: Header=BB6_356 Depth=4
	s_or_b32 exec_lo, exec_lo, s13
                                        ; implicit-def: $vgpr1
.LBB6_878:                              ;   in Loop: Header=BB6_356 Depth=4
	s_and_not1_saveexec_b32 s13, s73
; %bb.879:                              ;   in Loop: Header=BB6_356 Depth=4
	v_or_b32_e32 v50, 0x7f, v1
; %bb.880:                              ;   in Loop: Header=BB6_356 Depth=4
	s_or_b32 exec_lo, exec_lo, s13
	v_lshrrev_b16 v0, 8, v32
	v_dual_mov_b32 v1, 0 :: v_dual_mov_b32 v31, 0
	s_mov_b32 s13, exec_lo
	s_delay_alu instid0(VALU_DEP_2)
	v_cmpx_ne_u16_e32 0, v0
	s_cbranch_execz .LBB6_888
; %bb.881:                              ;   in Loop: Header=BB6_356 Depth=4
	v_bfrev_b32_e32 v31, 1
	s_mov_b32 s73, exec_lo
	v_cmpx_ne_u16_e32 0x80, v0
	s_cbranch_execz .LBB6_887
; %bb.882:                              ;   in Loop: Header=BB6_356 Depth=4
	v_and_b32_e32 v0, 0xffff, v0
	v_mov_b32_e32 v31, 0x7f800001
	s_mov_b32 s74, exec_lo
	s_delay_alu instid0(VALU_DEP_2) | instskip(NEXT) | instid1(VALU_DEP_1)
	v_and_b32_e32 v36, 0x7f, v0
	v_cmpx_ne_u32_e32 0x7f, v36
	s_cbranch_execz .LBB6_886
; %bb.883:                              ;   in Loop: Header=BB6_356 Depth=4
	v_and_b32_e32 v2, 7, v0
	v_lshrrev_b32_e32 v0, 3, v36
	s_mov_b32 s75, exec_lo
	v_cmpx_gt_u32_e32 8, v36
; %bb.884:                              ;   in Loop: Header=BB6_356 Depth=4
	s_delay_alu instid0(VALU_DEP_3) | instskip(NEXT) | instid1(VALU_DEP_1)
	v_clz_i32_u32_e32 v0, v2
	v_min_u32_e32 v0, 32, v0
	s_delay_alu instid0(VALU_DEP_1) | instskip(SKIP_1) | instid1(VALU_DEP_2)
	v_subrev_nc_u32_e32 v31, 28, v0
	v_sub_nc_u32_e32 v0, 29, v0
	v_lshlrev_b64_e32 v[36:37], v31, v[2:3]
	s_delay_alu instid0(VALU_DEP_1)
	v_and_b32_e32 v2, 7, v36
; %bb.885:                              ;   in Loop: Header=BB6_356 Depth=4
	s_or_b32 exec_lo, exec_lo, s75
	s_delay_alu instid0(VALU_DEP_1) | instskip(SKIP_1) | instid1(VALU_DEP_2)
	v_dual_lshlrev_b32 v31, 16, v32 :: v_dual_lshlrev_b32 v2, 20, v2
	v_lshl_add_u32 v0, v0, 23, 0x3c000000
	v_and_b32_e32 v31, 0x80000000, v31
	s_delay_alu instid0(VALU_DEP_1)
	v_or3_b32 v31, v2, v31, v0
.LBB6_886:                              ;   in Loop: Header=BB6_356 Depth=4
	s_or_b32 exec_lo, exec_lo, s74
.LBB6_887:                              ;   in Loop: Header=BB6_356 Depth=4
	s_delay_alu instid0(SALU_CYCLE_1)
	s_or_b32 exec_lo, exec_lo, s73
.LBB6_888:                              ;   in Loop: Header=BB6_356 Depth=4
	s_delay_alu instid0(SALU_CYCLE_1) | instskip(SKIP_2) | instid1(VALU_DEP_1)
	s_or_b32 exec_lo, exec_lo, s13
	v_lshrrev_b16 v0, 8, v24
	s_mov_b32 s13, exec_lo
	v_cmpx_ne_u16_e32 0, v0
	s_cbranch_execz .LBB6_896
; %bb.889:                              ;   in Loop: Header=BB6_356 Depth=4
	v_bfrev_b32_e32 v1, 1
	s_mov_b32 s73, exec_lo
	v_cmpx_ne_u16_e32 0x80, v0
	s_cbranch_execz .LBB6_895
; %bb.890:                              ;   in Loop: Header=BB6_356 Depth=4
	v_and_b32_e32 v0, 0xffff, v0
	v_mov_b32_e32 v1, 0x7f800001
	s_mov_b32 s74, exec_lo
	s_delay_alu instid0(VALU_DEP_2) | instskip(NEXT) | instid1(VALU_DEP_1)
	v_and_b32_e32 v36, 0x7f, v0
	v_cmpx_ne_u32_e32 0x7f, v36
	s_cbranch_execz .LBB6_894
; %bb.891:                              ;   in Loop: Header=BB6_356 Depth=4
	v_and_b32_e32 v2, 7, v0
	v_lshrrev_b32_e32 v0, 3, v36
	s_mov_b32 s75, exec_lo
	v_cmpx_gt_u32_e32 8, v36
; %bb.892:                              ;   in Loop: Header=BB6_356 Depth=4
	s_delay_alu instid0(VALU_DEP_3) | instskip(NEXT) | instid1(VALU_DEP_1)
	v_clz_i32_u32_e32 v0, v2
	v_min_u32_e32 v0, 32, v0
	s_delay_alu instid0(VALU_DEP_1) | instskip(SKIP_1) | instid1(VALU_DEP_2)
	v_subrev_nc_u32_e32 v1, 28, v0
	v_sub_nc_u32_e32 v0, 29, v0
	v_lshlrev_b64_e32 v[36:37], v1, v[2:3]
	s_delay_alu instid0(VALU_DEP_1)
	v_and_b32_e32 v2, 7, v36
; %bb.893:                              ;   in Loop: Header=BB6_356 Depth=4
	s_or_b32 exec_lo, exec_lo, s75
	s_delay_alu instid0(VALU_DEP_1) | instskip(SKIP_1) | instid1(VALU_DEP_2)
	v_dual_lshlrev_b32 v1, 16, v24 :: v_dual_lshlrev_b32 v2, 20, v2
	v_lshl_add_u32 v0, v0, 23, 0x3c000000
	v_and_b32_e32 v1, 0x80000000, v1
	s_delay_alu instid0(VALU_DEP_1)
	v_or3_b32 v1, v2, v1, v0
.LBB6_894:                              ;   in Loop: Header=BB6_356 Depth=4
	s_or_b32 exec_lo, exec_lo, s74
.LBB6_895:                              ;   in Loop: Header=BB6_356 Depth=4
	s_delay_alu instid0(SALU_CYCLE_1)
	s_or_b32 exec_lo, exec_lo, s73
.LBB6_896:                              ;   in Loop: Header=BB6_356 Depth=4
	s_delay_alu instid0(SALU_CYCLE_1) | instskip(NEXT) | instid1(VALU_DEP_1)
	s_or_b32 exec_lo, exec_lo, s13
	v_add_f32_e32 v0, v31, v1
                                        ; implicit-def: $vgpr51
	s_mov_b32 s13, exec_lo
	s_delay_alu instid0(VALU_DEP_1) | instskip(SKIP_1) | instid1(VALU_DEP_2)
	v_and_b32_e32 v2, 0x7f800000, v0
	v_lshrrev_b32_e32 v1, 24, v0
	v_cmpx_ne_u64_e32 0x7f800000, v[2:3]
	s_xor_b32 s73, exec_lo, s13
	s_cbranch_execz .LBB6_910
; %bb.897:                              ;   in Loop: Header=BB6_356 Depth=4
	v_and_b32_e32 v2, 0x7fffffff, v0
	v_and_b32_e32 v1, 0x80, v1
                                        ; implicit-def: $vgpr51
	s_mov_b32 s13, exec_lo
	s_delay_alu instid0(VALU_DEP_2)
	v_cmpx_gt_u64_e32 0x43e00001, v[2:3]
	s_xor_b32 s74, exec_lo, s13
	s_cbranch_execz .LBB6_907
; %bb.898:                              ;   in Loop: Header=BB6_356 Depth=4
	v_mov_b32_e32 v51, 0
	s_mov_b32 s75, exec_lo
	v_cmpx_ne_u32_e32 0, v0
	s_cbranch_execz .LBB6_906
; %bb.899:                              ;   in Loop: Header=BB6_356 Depth=4
	v_bfe_u32 v31, v0, 23, 8
	v_and_b32_e32 v2, 0x7fffff, v0
	s_delay_alu instid0(VALU_DEP_2) | instskip(SKIP_2) | instid1(VALU_DEP_4)
	v_cmp_gt_u32_e64 s13, 0x7a, v31
	v_sub_nc_u32_e32 v0, 0x79, v31
	v_cmp_eq_u32_e32 vcc_lo, 0, v31
	v_or_b32_e32 v36, 0x800000, v2
	s_delay_alu instid0(VALU_DEP_1) | instskip(NEXT) | instid1(VALU_DEP_1)
	v_dual_cndmask_b32 v0, 0, v0, s13 :: v_dual_cndmask_b32 v2, v36, v2, vcc_lo
	v_cndmask_b32_e64 v0, v0, 0x78, vcc_lo
	s_delay_alu instid0(VALU_DEP_1) | instskip(NEXT) | instid1(VALU_DEP_1)
	v_dual_add_nc_u32 v36, 20, v0 :: v_dual_add_nc_u32 v38, 19, v0
	v_lshlrev_b64_e64 v[36:37], v36, -1
	s_delay_alu instid0(VALU_DEP_2) | instskip(NEXT) | instid1(VALU_DEP_2)
	v_lshlrev_b64_e64 v[38:39], v38, 1
	v_bfi_b32 v37, v37, 0, 0
	s_delay_alu instid0(VALU_DEP_3) | instskip(NEXT) | instid1(VALU_DEP_1)
	v_bfi_b32 v36, v36, 0, v2
	v_cmp_eq_u64_e64 s13, v[36:37], v[38:39]
	v_lshrrev_b64 v[36:37], v0, v[2:3]
	s_delay_alu instid0(VALU_DEP_1)
	v_mov_b64_e32 v[38:39], v[36:37]
	s_and_saveexec_b32 s76, s13
; %bb.900:                              ;   in Loop: Header=BB6_356 Depth=4
	v_bfe_u32 v2, v36, 20, 1
	s_delay_alu instid0(VALU_DEP_1) | instskip(NEXT) | instid1(VALU_DEP_1)
	v_add_nc_u64_e32 v[38:39], v[36:37], v[2:3]
	v_add_nc_u64_e32 v[38:39], -1, v[38:39]
; %bb.901:                              ;   in Loop: Header=BB6_356 Depth=4
	s_or_b32 exec_lo, exec_lo, s76
	v_add_nc_u32_e32 v2, 0xffffff81, v31
	v_lshrrev_b32_e32 v31, 23, v36
	s_mov_b32 s13, exec_lo
	s_delay_alu instid0(VALU_DEP_2) | instskip(NEXT) | instid1(VALU_DEP_1)
	v_cndmask_b32_e64 v2, v2, 0xffffff82, vcc_lo
	v_add3_u32 v39, v0, v2, v31
	v_and_b32_e32 v0, 0xfffff, v38
	s_delay_alu instid0(VALU_DEP_1) | instskip(NEXT) | instid1(VALU_DEP_1)
	v_dual_add_nc_u32 v31, 6, v39 :: v_dual_add_nc_u32 v2, v0, v36
                                        ; implicit-def: $vgpr36_vgpr37
                                        ; implicit-def: $vgpr0
	v_cmpx_ne_u32_e32 0, v31
	s_xor_b32 s13, exec_lo, s13
; %bb.902:                              ;   in Loop: Header=BB6_356 Depth=4
	s_delay_alu instid0(VALU_DEP_2) | instskip(SKIP_1) | instid1(VALU_DEP_1)
	v_cmp_lt_u64_e32 vcc_lo, 0xffffff, v[2:3]
	v_add_nc_u32_e32 v0, 7, v39
	v_cndmask_b32_e32 v0, v31, v0, vcc_lo
	v_cndmask_b32_e64 v31, 0, 1, vcc_lo
	s_delay_alu instid0(VALU_DEP_1)
	v_lshrrev_b64 v[36:37], v31, v[2:3]
; %bb.903:                              ;   in Loop: Header=BB6_356 Depth=4
	s_and_not1_saveexec_b32 s13, s13
; %bb.904:                              ;   in Loop: Header=BB6_356 Depth=4
	v_mov_b64_e32 v[36:37], v[2:3]
	v_bfe_u32 v0, v2, 23, 1
; %bb.905:                              ;   in Loop: Header=BB6_356 Depth=4
	s_or_b32 exec_lo, exec_lo, s13
	s_delay_alu instid0(VALU_DEP_2) | instskip(NEXT) | instid1(VALU_DEP_2)
	v_lshrrev_b64 v[36:37], 20, v[36:37]
	v_cmp_gt_i32_e32 vcc_lo, 16, v0
	v_min_i32_e32 v2, 15, v0
	v_cmp_eq_u32_e64 s13, 0, v0
	s_delay_alu instid0(VALU_DEP_2) | instskip(SKIP_1) | instid1(VALU_DEP_2)
	v_dual_cndmask_b32 v37, 0, v37 :: v_dual_lshlrev_b32 v2, 3, v2
	v_cndmask_b32_e32 v36, 7, v36, vcc_lo
	v_and_b32_e32 v2, 0xf8, v2
	s_delay_alu instid0(VALU_DEP_2) | instskip(NEXT) | instid1(VALU_DEP_2)
	v_cmp_eq_u64_e32 vcc_lo, 0, v[36:37]
	v_and_or_b32 v0, v36, 7, v2
	s_and_b32 s13, s13, vcc_lo
	s_delay_alu instid0(VALU_DEP_1) | instid1(SALU_CYCLE_1)
	v_cndmask_b32_e64 v0, v0, 0, s13
	s_delay_alu instid0(VALU_DEP_1)
	v_or_b32_e32 v51, v0, v1
.LBB6_906:                              ;   in Loop: Header=BB6_356 Depth=4
	s_or_b32 exec_lo, exec_lo, s75
                                        ; implicit-def: $vgpr1
.LBB6_907:                              ;   in Loop: Header=BB6_356 Depth=4
	s_and_not1_saveexec_b32 s13, s74
; %bb.908:                              ;   in Loop: Header=BB6_356 Depth=4
	v_or_b32_e32 v51, 0x7e, v1
; %bb.909:                              ;   in Loop: Header=BB6_356 Depth=4
	s_or_b32 exec_lo, exec_lo, s13
                                        ; implicit-def: $vgpr1
.LBB6_910:                              ;   in Loop: Header=BB6_356 Depth=4
	s_and_not1_saveexec_b32 s13, s73
; %bb.911:                              ;   in Loop: Header=BB6_356 Depth=4
	v_or_b32_e32 v51, 0x7f, v1
; %bb.912:                              ;   in Loop: Header=BB6_356 Depth=4
	s_or_b32 exec_lo, exec_lo, s13
	v_dual_mov_b32 v1, 0 :: v_dual_lshrrev_b32 v0, 16, v32
	v_mov_b32_e32 v31, 0
	s_mov_b32 s13, exec_lo
	s_delay_alu instid0(VALU_DEP_2) | instskip(NEXT) | instid1(VALU_DEP_1)
	v_and_b32_e32 v2, 0xff, v0
	v_cmpx_ne_u16_e32 0, v2
	s_cbranch_execz .LBB6_920
; %bb.913:                              ;   in Loop: Header=BB6_356 Depth=4
	v_bfrev_b32_e32 v31, 1
	s_mov_b32 s73, exec_lo
	v_cmpx_ne_u16_e32 0x80, v2
	s_cbranch_execz .LBB6_919
; %bb.914:                              ;   in Loop: Header=BB6_356 Depth=4
	v_bfe_u32 v36, v32, 16, 7
	v_mov_b32_e32 v31, 0x7f800001
	s_mov_b32 s74, exec_lo
	s_delay_alu instid0(VALU_DEP_2)
	v_cmpx_ne_u32_e32 0x7f, v36
	s_cbranch_execz .LBB6_918
; %bb.915:                              ;   in Loop: Header=BB6_356 Depth=4
	v_and_b32_e32 v2, 7, v0
	v_lshrrev_b32_e32 v31, 3, v36
	s_mov_b32 s75, exec_lo
	v_cmpx_gt_u32_e32 8, v36
; %bb.916:                              ;   in Loop: Header=BB6_356 Depth=4
	s_delay_alu instid0(VALU_DEP_3) | instskip(NEXT) | instid1(VALU_DEP_1)
	v_clz_i32_u32_e32 v31, v2
	v_min_u32_e32 v31, 32, v31
	s_delay_alu instid0(VALU_DEP_1) | instskip(NEXT) | instid1(VALU_DEP_1)
	v_subrev_nc_u32_e32 v36, 28, v31
	v_lshlrev_b64_e32 v[36:37], v36, v[2:3]
	s_delay_alu instid0(VALU_DEP_1)
	v_dual_sub_nc_u32 v31, 29, v31 :: v_dual_bitop2_b32 v2, 7, v36 bitop3:0x40
; %bb.917:                              ;   in Loop: Header=BB6_356 Depth=4
	s_or_b32 exec_lo, exec_lo, s75
	s_delay_alu instid0(VALU_DEP_1) | instskip(NEXT) | instid1(VALU_DEP_2)
	v_dual_lshlrev_b32 v0, 24, v0 :: v_dual_lshlrev_b32 v2, 20, v2
	v_lshl_add_u32 v31, v31, 23, 0x3c000000
	s_delay_alu instid0(VALU_DEP_2) | instskip(NEXT) | instid1(VALU_DEP_1)
	v_and_b32_e32 v0, 0x80000000, v0
	v_or3_b32 v31, v2, v0, v31
.LBB6_918:                              ;   in Loop: Header=BB6_356 Depth=4
	s_or_b32 exec_lo, exec_lo, s74
.LBB6_919:                              ;   in Loop: Header=BB6_356 Depth=4
	s_delay_alu instid0(SALU_CYCLE_1)
	s_or_b32 exec_lo, exec_lo, s73
.LBB6_920:                              ;   in Loop: Header=BB6_356 Depth=4
	s_delay_alu instid0(SALU_CYCLE_1) | instskip(SKIP_2) | instid1(VALU_DEP_1)
	s_or_b32 exec_lo, exec_lo, s13
	v_lshrrev_b32_e32 v0, 16, v24
	s_mov_b32 s13, exec_lo
	v_and_b32_e32 v2, 0xff, v0
	s_delay_alu instid0(VALU_DEP_1)
	v_cmpx_ne_u16_e32 0, v2
	s_cbranch_execz .LBB6_928
; %bb.921:                              ;   in Loop: Header=BB6_356 Depth=4
	v_bfrev_b32_e32 v1, 1
	s_mov_b32 s73, exec_lo
	v_cmpx_ne_u16_e32 0x80, v2
	s_cbranch_execz .LBB6_927
; %bb.922:                              ;   in Loop: Header=BB6_356 Depth=4
	v_bfe_u32 v36, v24, 16, 7
	v_mov_b32_e32 v1, 0x7f800001
	s_mov_b32 s74, exec_lo
	s_delay_alu instid0(VALU_DEP_2)
	v_cmpx_ne_u32_e32 0x7f, v36
	s_cbranch_execz .LBB6_926
; %bb.923:                              ;   in Loop: Header=BB6_356 Depth=4
	v_and_b32_e32 v2, 7, v0
	v_lshrrev_b32_e32 v0, 3, v36
	s_mov_b32 s75, exec_lo
	v_cmpx_gt_u32_e32 8, v36
; %bb.924:                              ;   in Loop: Header=BB6_356 Depth=4
	s_delay_alu instid0(VALU_DEP_3) | instskip(NEXT) | instid1(VALU_DEP_1)
	v_clz_i32_u32_e32 v0, v2
	v_min_u32_e32 v0, 32, v0
	s_delay_alu instid0(VALU_DEP_1) | instskip(SKIP_1) | instid1(VALU_DEP_2)
	v_subrev_nc_u32_e32 v1, 28, v0
	v_sub_nc_u32_e32 v0, 29, v0
	v_lshlrev_b64_e32 v[36:37], v1, v[2:3]
	s_delay_alu instid0(VALU_DEP_1)
	v_and_b32_e32 v2, 7, v36
; %bb.925:                              ;   in Loop: Header=BB6_356 Depth=4
	s_or_b32 exec_lo, exec_lo, s75
	s_delay_alu instid0(VALU_DEP_1) | instskip(SKIP_1) | instid1(VALU_DEP_2)
	v_dual_lshlrev_b32 v1, 8, v24 :: v_dual_lshlrev_b32 v2, 20, v2
	v_lshl_add_u32 v0, v0, 23, 0x3c000000
	v_and_b32_e32 v1, 0x80000000, v1
	s_delay_alu instid0(VALU_DEP_1)
	v_or3_b32 v1, v2, v1, v0
.LBB6_926:                              ;   in Loop: Header=BB6_356 Depth=4
	s_or_b32 exec_lo, exec_lo, s74
.LBB6_927:                              ;   in Loop: Header=BB6_356 Depth=4
	s_delay_alu instid0(SALU_CYCLE_1)
	s_or_b32 exec_lo, exec_lo, s73
.LBB6_928:                              ;   in Loop: Header=BB6_356 Depth=4
	s_delay_alu instid0(SALU_CYCLE_1) | instskip(NEXT) | instid1(VALU_DEP_1)
	s_or_b32 exec_lo, exec_lo, s13
	v_add_f32_e32 v0, v31, v1
                                        ; implicit-def: $vgpr63
	s_mov_b32 s13, exec_lo
	s_delay_alu instid0(VALU_DEP_1) | instskip(SKIP_1) | instid1(VALU_DEP_2)
	v_and_b32_e32 v2, 0x7f800000, v0
	v_lshrrev_b32_e32 v1, 24, v0
	v_cmpx_ne_u64_e32 0x7f800000, v[2:3]
	s_xor_b32 s73, exec_lo, s13
	s_cbranch_execz .LBB6_942
; %bb.929:                              ;   in Loop: Header=BB6_356 Depth=4
	v_and_b32_e32 v2, 0x7fffffff, v0
	v_and_b32_e32 v1, 0x80, v1
                                        ; implicit-def: $vgpr63
	s_mov_b32 s13, exec_lo
	s_delay_alu instid0(VALU_DEP_2)
	v_cmpx_gt_u64_e32 0x43e00001, v[2:3]
	s_xor_b32 s74, exec_lo, s13
	s_cbranch_execz .LBB6_939
; %bb.930:                              ;   in Loop: Header=BB6_356 Depth=4
	v_mov_b32_e32 v63, 0
	s_mov_b32 s75, exec_lo
	v_cmpx_ne_u32_e32 0, v0
	s_cbranch_execz .LBB6_938
; %bb.931:                              ;   in Loop: Header=BB6_356 Depth=4
	v_bfe_u32 v31, v0, 23, 8
	v_and_b32_e32 v2, 0x7fffff, v0
	s_delay_alu instid0(VALU_DEP_2) | instskip(SKIP_2) | instid1(VALU_DEP_4)
	v_cmp_gt_u32_e64 s13, 0x7a, v31
	v_sub_nc_u32_e32 v0, 0x79, v31
	v_cmp_eq_u32_e32 vcc_lo, 0, v31
	v_or_b32_e32 v36, 0x800000, v2
	s_delay_alu instid0(VALU_DEP_1) | instskip(NEXT) | instid1(VALU_DEP_1)
	v_dual_cndmask_b32 v0, 0, v0, s13 :: v_dual_cndmask_b32 v2, v36, v2, vcc_lo
	v_cndmask_b32_e64 v0, v0, 0x78, vcc_lo
	s_delay_alu instid0(VALU_DEP_1) | instskip(NEXT) | instid1(VALU_DEP_1)
	v_dual_add_nc_u32 v36, 20, v0 :: v_dual_add_nc_u32 v38, 19, v0
	v_lshlrev_b64_e64 v[36:37], v36, -1
	s_delay_alu instid0(VALU_DEP_2) | instskip(NEXT) | instid1(VALU_DEP_2)
	v_lshlrev_b64_e64 v[38:39], v38, 1
	v_bfi_b32 v37, v37, 0, 0
	s_delay_alu instid0(VALU_DEP_3) | instskip(NEXT) | instid1(VALU_DEP_1)
	v_bfi_b32 v36, v36, 0, v2
	v_cmp_eq_u64_e64 s13, v[36:37], v[38:39]
	v_lshrrev_b64 v[36:37], v0, v[2:3]
	s_delay_alu instid0(VALU_DEP_1)
	v_mov_b64_e32 v[38:39], v[36:37]
	s_and_saveexec_b32 s76, s13
; %bb.932:                              ;   in Loop: Header=BB6_356 Depth=4
	v_bfe_u32 v2, v36, 20, 1
	s_delay_alu instid0(VALU_DEP_1) | instskip(NEXT) | instid1(VALU_DEP_1)
	v_add_nc_u64_e32 v[38:39], v[36:37], v[2:3]
	v_add_nc_u64_e32 v[38:39], -1, v[38:39]
; %bb.933:                              ;   in Loop: Header=BB6_356 Depth=4
	s_or_b32 exec_lo, exec_lo, s76
	v_add_nc_u32_e32 v2, 0xffffff81, v31
	v_lshrrev_b32_e32 v31, 23, v36
	s_mov_b32 s13, exec_lo
	s_delay_alu instid0(VALU_DEP_2) | instskip(NEXT) | instid1(VALU_DEP_1)
	v_cndmask_b32_e64 v2, v2, 0xffffff82, vcc_lo
	v_add3_u32 v39, v0, v2, v31
	v_and_b32_e32 v0, 0xfffff, v38
	s_delay_alu instid0(VALU_DEP_1) | instskip(NEXT) | instid1(VALU_DEP_1)
	v_dual_add_nc_u32 v31, 6, v39 :: v_dual_add_nc_u32 v2, v0, v36
                                        ; implicit-def: $vgpr36_vgpr37
                                        ; implicit-def: $vgpr0
	v_cmpx_ne_u32_e32 0, v31
	s_xor_b32 s13, exec_lo, s13
; %bb.934:                              ;   in Loop: Header=BB6_356 Depth=4
	s_delay_alu instid0(VALU_DEP_2) | instskip(SKIP_1) | instid1(VALU_DEP_1)
	v_cmp_lt_u64_e32 vcc_lo, 0xffffff, v[2:3]
	v_add_nc_u32_e32 v0, 7, v39
	v_cndmask_b32_e32 v0, v31, v0, vcc_lo
	v_cndmask_b32_e64 v31, 0, 1, vcc_lo
	s_delay_alu instid0(VALU_DEP_1)
	v_lshrrev_b64 v[36:37], v31, v[2:3]
; %bb.935:                              ;   in Loop: Header=BB6_356 Depth=4
	s_and_not1_saveexec_b32 s13, s13
; %bb.936:                              ;   in Loop: Header=BB6_356 Depth=4
	v_mov_b64_e32 v[36:37], v[2:3]
	v_bfe_u32 v0, v2, 23, 1
; %bb.937:                              ;   in Loop: Header=BB6_356 Depth=4
	s_or_b32 exec_lo, exec_lo, s13
	s_delay_alu instid0(VALU_DEP_2) | instskip(NEXT) | instid1(VALU_DEP_2)
	v_lshrrev_b64 v[36:37], 20, v[36:37]
	v_cmp_gt_i32_e32 vcc_lo, 16, v0
	v_min_i32_e32 v2, 15, v0
	v_cmp_eq_u32_e64 s13, 0, v0
	s_delay_alu instid0(VALU_DEP_2) | instskip(SKIP_1) | instid1(VALU_DEP_2)
	v_dual_cndmask_b32 v37, 0, v37 :: v_dual_lshlrev_b32 v2, 3, v2
	v_cndmask_b32_e32 v36, 7, v36, vcc_lo
	v_and_b32_e32 v2, 0xf8, v2
	s_delay_alu instid0(VALU_DEP_2) | instskip(NEXT) | instid1(VALU_DEP_2)
	v_cmp_eq_u64_e32 vcc_lo, 0, v[36:37]
	v_and_or_b32 v0, v36, 7, v2
	s_and_b32 s13, s13, vcc_lo
	s_delay_alu instid0(VALU_DEP_1) | instid1(SALU_CYCLE_1)
	v_cndmask_b32_e64 v0, v0, 0, s13
	s_delay_alu instid0(VALU_DEP_1)
	v_or_b32_e32 v63, v0, v1
.LBB6_938:                              ;   in Loop: Header=BB6_356 Depth=4
	s_or_b32 exec_lo, exec_lo, s75
                                        ; implicit-def: $vgpr1
.LBB6_939:                              ;   in Loop: Header=BB6_356 Depth=4
	s_and_not1_saveexec_b32 s13, s74
; %bb.940:                              ;   in Loop: Header=BB6_356 Depth=4
	v_or_b32_e32 v63, 0x7e, v1
; %bb.941:                              ;   in Loop: Header=BB6_356 Depth=4
	s_or_b32 exec_lo, exec_lo, s13
                                        ; implicit-def: $vgpr1
.LBB6_942:                              ;   in Loop: Header=BB6_356 Depth=4
	s_and_not1_saveexec_b32 s13, s73
; %bb.943:                              ;   in Loop: Header=BB6_356 Depth=4
	v_or_b32_e32 v63, 0x7f, v1
; %bb.944:                              ;   in Loop: Header=BB6_356 Depth=4
	s_or_b32 exec_lo, exec_lo, s13
	v_dual_mov_b32 v1, 0 :: v_dual_mov_b32 v31, 0
	s_mov_b32 s13, exec_lo
	v_cmpx_lt_u32_e32 0xffffff, v32
	s_cbranch_execz .LBB6_952
; %bb.945:                              ;   in Loop: Header=BB6_356 Depth=4
	v_lshrrev_b32_e32 v0, 24, v32
	v_bfrev_b32_e32 v31, 1
	s_mov_b32 s73, exec_lo
	s_delay_alu instid0(VALU_DEP_2)
	v_cmpx_ne_u32_e32 0x80, v0
	s_cbranch_execz .LBB6_951
; %bb.946:                              ;   in Loop: Header=BB6_356 Depth=4
	v_bfe_u32 v36, v32, 24, 7
	v_mov_b32_e32 v31, 0x7f800001
	s_mov_b32 s74, exec_lo
	s_delay_alu instid0(VALU_DEP_2)
	v_cmpx_ne_u32_e32 0x7f, v36
	s_cbranch_execz .LBB6_950
; %bb.947:                              ;   in Loop: Header=BB6_356 Depth=4
	v_and_b32_e32 v2, 7, v0
	v_lshrrev_b32_e32 v31, 3, v36
	s_mov_b32 s75, exec_lo
	v_cmpx_gt_u32_e32 8, v36
; %bb.948:                              ;   in Loop: Header=BB6_356 Depth=4
	s_delay_alu instid0(VALU_DEP_3) | instskip(NEXT) | instid1(VALU_DEP_1)
	v_clz_i32_u32_e32 v31, v2
	v_min_u32_e32 v31, 32, v31
	s_delay_alu instid0(VALU_DEP_1) | instskip(NEXT) | instid1(VALU_DEP_1)
	v_subrev_nc_u32_e32 v36, 28, v31
	v_lshlrev_b64_e32 v[36:37], v36, v[2:3]
	s_delay_alu instid0(VALU_DEP_1)
	v_dual_sub_nc_u32 v31, 29, v31 :: v_dual_bitop2_b32 v2, 7, v36 bitop3:0x40
; %bb.949:                              ;   in Loop: Header=BB6_356 Depth=4
	s_or_b32 exec_lo, exec_lo, s75
	s_delay_alu instid0(VALU_DEP_1) | instskip(NEXT) | instid1(VALU_DEP_2)
	v_dual_lshlrev_b32 v0, 24, v0 :: v_dual_lshlrev_b32 v2, 20, v2
	v_lshl_add_u32 v31, v31, 23, 0x3c000000
	s_delay_alu instid0(VALU_DEP_2) | instskip(NEXT) | instid1(VALU_DEP_1)
	v_and_b32_e32 v0, 0x80000000, v0
	v_or3_b32 v31, v2, v0, v31
.LBB6_950:                              ;   in Loop: Header=BB6_356 Depth=4
	s_or_b32 exec_lo, exec_lo, s74
.LBB6_951:                              ;   in Loop: Header=BB6_356 Depth=4
	s_delay_alu instid0(SALU_CYCLE_1)
	s_or_b32 exec_lo, exec_lo, s73
.LBB6_952:                              ;   in Loop: Header=BB6_356 Depth=4
	s_delay_alu instid0(SALU_CYCLE_1) | instskip(NEXT) | instid1(SALU_CYCLE_1)
	s_or_b32 exec_lo, exec_lo, s13
	s_mov_b32 s13, exec_lo
	v_cmpx_lt_u32_e32 0xffffff, v24
	s_cbranch_execz .LBB6_960
; %bb.953:                              ;   in Loop: Header=BB6_356 Depth=4
	v_lshrrev_b32_e32 v0, 24, v24
	v_bfrev_b32_e32 v1, 1
	s_mov_b32 s73, exec_lo
	s_delay_alu instid0(VALU_DEP_2)
	v_cmpx_ne_u32_e32 0x80, v0
	s_cbranch_execz .LBB6_959
; %bb.954:                              ;   in Loop: Header=BB6_356 Depth=4
	v_bfe_u32 v36, v24, 24, 7
	v_mov_b32_e32 v1, 0x7f800001
	s_mov_b32 s74, exec_lo
	s_delay_alu instid0(VALU_DEP_2)
	v_cmpx_ne_u32_e32 0x7f, v36
	s_cbranch_execz .LBB6_958
; %bb.955:                              ;   in Loop: Header=BB6_356 Depth=4
	v_and_b32_e32 v2, 7, v0
	v_lshrrev_b32_e32 v1, 3, v36
	s_mov_b32 s75, exec_lo
	v_cmpx_gt_u32_e32 8, v36
; %bb.956:                              ;   in Loop: Header=BB6_356 Depth=4
	s_delay_alu instid0(VALU_DEP_3) | instskip(NEXT) | instid1(VALU_DEP_1)
	v_clz_i32_u32_e32 v1, v2
	v_min_u32_e32 v1, 32, v1
	s_delay_alu instid0(VALU_DEP_1) | instskip(NEXT) | instid1(VALU_DEP_1)
	v_subrev_nc_u32_e32 v36, 28, v1
	v_lshlrev_b64_e32 v[36:37], v36, v[2:3]
	s_delay_alu instid0(VALU_DEP_1)
	v_dual_sub_nc_u32 v1, 29, v1 :: v_dual_bitop2_b32 v2, 7, v36 bitop3:0x40
; %bb.957:                              ;   in Loop: Header=BB6_356 Depth=4
	s_or_b32 exec_lo, exec_lo, s75
	s_delay_alu instid0(VALU_DEP_1) | instskip(NEXT) | instid1(VALU_DEP_2)
	v_dual_lshlrev_b32 v0, 24, v0 :: v_dual_lshlrev_b32 v2, 20, v2
	v_lshl_add_u32 v1, v1, 23, 0x3c000000
	s_delay_alu instid0(VALU_DEP_2) | instskip(NEXT) | instid1(VALU_DEP_1)
	v_and_b32_e32 v0, 0x80000000, v0
	v_or3_b32 v1, v2, v0, v1
.LBB6_958:                              ;   in Loop: Header=BB6_356 Depth=4
	s_or_b32 exec_lo, exec_lo, s74
.LBB6_959:                              ;   in Loop: Header=BB6_356 Depth=4
	s_delay_alu instid0(SALU_CYCLE_1)
	s_or_b32 exec_lo, exec_lo, s73
.LBB6_960:                              ;   in Loop: Header=BB6_356 Depth=4
	s_delay_alu instid0(SALU_CYCLE_1) | instskip(NEXT) | instid1(VALU_DEP_1)
	s_or_b32 exec_lo, exec_lo, s13
	v_add_f32_e32 v0, v31, v1
                                        ; implicit-def: $vgpr31
	s_mov_b32 s13, exec_lo
	s_delay_alu instid0(VALU_DEP_1) | instskip(SKIP_1) | instid1(VALU_DEP_2)
	v_and_b32_e32 v2, 0x7f800000, v0
	v_lshrrev_b32_e32 v1, 24, v0
	v_cmpx_ne_u64_e32 0x7f800000, v[2:3]
	s_xor_b32 s73, exec_lo, s13
	s_cbranch_execz .LBB6_974
; %bb.961:                              ;   in Loop: Header=BB6_356 Depth=4
	v_and_b32_e32 v2, 0x7fffffff, v0
	v_and_b32_e32 v1, 0x80, v1
                                        ; implicit-def: $vgpr31
	s_mov_b32 s13, exec_lo
	s_delay_alu instid0(VALU_DEP_2)
	v_cmpx_gt_u64_e32 0x43e00001, v[2:3]
	s_xor_b32 s74, exec_lo, s13
	s_cbranch_execz .LBB6_971
; %bb.962:                              ;   in Loop: Header=BB6_356 Depth=4
	v_mov_b32_e32 v31, 0
	s_mov_b32 s75, exec_lo
	v_cmpx_ne_u32_e32 0, v0
	s_cbranch_execz .LBB6_970
; %bb.963:                              ;   in Loop: Header=BB6_356 Depth=4
	v_bfe_u32 v31, v0, 23, 8
	v_and_b32_e32 v2, 0x7fffff, v0
	s_delay_alu instid0(VALU_DEP_2) | instskip(SKIP_2) | instid1(VALU_DEP_4)
	v_cmp_gt_u32_e64 s13, 0x7a, v31
	v_sub_nc_u32_e32 v0, 0x79, v31
	v_cmp_eq_u32_e32 vcc_lo, 0, v31
	v_or_b32_e32 v36, 0x800000, v2
	s_delay_alu instid0(VALU_DEP_1) | instskip(NEXT) | instid1(VALU_DEP_1)
	v_dual_cndmask_b32 v0, 0, v0, s13 :: v_dual_cndmask_b32 v2, v36, v2, vcc_lo
	v_cndmask_b32_e64 v0, v0, 0x78, vcc_lo
	s_delay_alu instid0(VALU_DEP_1) | instskip(NEXT) | instid1(VALU_DEP_1)
	v_dual_add_nc_u32 v36, 20, v0 :: v_dual_add_nc_u32 v38, 19, v0
	v_lshlrev_b64_e64 v[36:37], v36, -1
	s_delay_alu instid0(VALU_DEP_2) | instskip(NEXT) | instid1(VALU_DEP_2)
	v_lshlrev_b64_e64 v[38:39], v38, 1
	v_bfi_b32 v37, v37, 0, 0
	s_delay_alu instid0(VALU_DEP_3) | instskip(NEXT) | instid1(VALU_DEP_1)
	v_bfi_b32 v36, v36, 0, v2
	v_cmp_eq_u64_e64 s13, v[36:37], v[38:39]
	v_lshrrev_b64 v[36:37], v0, v[2:3]
	s_delay_alu instid0(VALU_DEP_1)
	v_mov_b64_e32 v[38:39], v[36:37]
	s_and_saveexec_b32 s76, s13
; %bb.964:                              ;   in Loop: Header=BB6_356 Depth=4
	v_bfe_u32 v2, v36, 20, 1
	s_delay_alu instid0(VALU_DEP_1) | instskip(NEXT) | instid1(VALU_DEP_1)
	v_add_nc_u64_e32 v[38:39], v[36:37], v[2:3]
	v_add_nc_u64_e32 v[38:39], -1, v[38:39]
; %bb.965:                              ;   in Loop: Header=BB6_356 Depth=4
	s_or_b32 exec_lo, exec_lo, s76
	v_add_nc_u32_e32 v2, 0xffffff81, v31
	v_lshrrev_b32_e32 v31, 23, v36
	s_mov_b32 s13, exec_lo
	s_delay_alu instid0(VALU_DEP_2) | instskip(NEXT) | instid1(VALU_DEP_1)
	v_cndmask_b32_e64 v2, v2, 0xffffff82, vcc_lo
	v_add3_u32 v39, v0, v2, v31
	v_and_b32_e32 v0, 0xfffff, v38
	s_delay_alu instid0(VALU_DEP_1) | instskip(NEXT) | instid1(VALU_DEP_1)
	v_dual_add_nc_u32 v31, 6, v39 :: v_dual_add_nc_u32 v2, v0, v36
                                        ; implicit-def: $vgpr36_vgpr37
                                        ; implicit-def: $vgpr0
	v_cmpx_ne_u32_e32 0, v31
	s_xor_b32 s13, exec_lo, s13
; %bb.966:                              ;   in Loop: Header=BB6_356 Depth=4
	s_delay_alu instid0(VALU_DEP_2) | instskip(SKIP_1) | instid1(VALU_DEP_1)
	v_cmp_lt_u64_e32 vcc_lo, 0xffffff, v[2:3]
	v_add_nc_u32_e32 v0, 7, v39
	v_cndmask_b32_e32 v0, v31, v0, vcc_lo
	v_cndmask_b32_e64 v31, 0, 1, vcc_lo
	s_delay_alu instid0(VALU_DEP_1)
	v_lshrrev_b64 v[36:37], v31, v[2:3]
; %bb.967:                              ;   in Loop: Header=BB6_356 Depth=4
	s_and_not1_saveexec_b32 s13, s13
; %bb.968:                              ;   in Loop: Header=BB6_356 Depth=4
	v_mov_b64_e32 v[36:37], v[2:3]
	v_bfe_u32 v0, v2, 23, 1
; %bb.969:                              ;   in Loop: Header=BB6_356 Depth=4
	s_or_b32 exec_lo, exec_lo, s13
	s_delay_alu instid0(VALU_DEP_2) | instskip(NEXT) | instid1(VALU_DEP_2)
	v_lshrrev_b64 v[36:37], 20, v[36:37]
	v_cmp_gt_i32_e32 vcc_lo, 16, v0
	v_min_i32_e32 v2, 15, v0
	v_cmp_eq_u32_e64 s13, 0, v0
	s_delay_alu instid0(VALU_DEP_2) | instskip(SKIP_1) | instid1(VALU_DEP_2)
	v_dual_cndmask_b32 v37, 0, v37 :: v_dual_lshlrev_b32 v2, 3, v2
	v_cndmask_b32_e32 v36, 7, v36, vcc_lo
	v_and_b32_e32 v2, 0xf8, v2
	s_delay_alu instid0(VALU_DEP_2) | instskip(NEXT) | instid1(VALU_DEP_2)
	v_cmp_eq_u64_e32 vcc_lo, 0, v[36:37]
	v_and_or_b32 v0, v36, 7, v2
	s_and_b32 s13, s13, vcc_lo
	s_delay_alu instid0(VALU_DEP_1) | instid1(SALU_CYCLE_1)
	v_cndmask_b32_e64 v0, v0, 0, s13
	s_delay_alu instid0(VALU_DEP_1)
	v_or_b32_e32 v31, v0, v1
.LBB6_970:                              ;   in Loop: Header=BB6_356 Depth=4
	s_or_b32 exec_lo, exec_lo, s75
                                        ; implicit-def: $vgpr1
.LBB6_971:                              ;   in Loop: Header=BB6_356 Depth=4
	s_and_not1_saveexec_b32 s13, s74
; %bb.972:                              ;   in Loop: Header=BB6_356 Depth=4
	v_or_b32_e32 v31, 0x7e, v1
; %bb.973:                              ;   in Loop: Header=BB6_356 Depth=4
	s_or_b32 exec_lo, exec_lo, s13
                                        ; implicit-def: $vgpr1
.LBB6_974:                              ;   in Loop: Header=BB6_356 Depth=4
	s_and_not1_saveexec_b32 s13, s73
; %bb.975:                              ;   in Loop: Header=BB6_356 Depth=4
	v_or_b32_e32 v31, 0x7f, v1
; %bb.976:                              ;   in Loop: Header=BB6_356 Depth=4
	s_or_b32 exec_lo, exec_lo, s13
	v_and_b32_e32 v0, 0xff, v33
	v_dual_mov_b32 v2, v33 :: v_dual_mov_b32 v1, 0
	v_mov_b32_e32 v36, 0
	s_mov_b32 s13, exec_lo
	s_delay_alu instid0(VALU_DEP_3)
	v_cmpx_ne_u16_e32 0, v0
	s_cbranch_execz .LBB6_982
; %bb.977:                              ;   in Loop: Header=BB6_356 Depth=4
	v_bfrev_b32_e32 v36, 1
	s_mov_b32 s73, exec_lo
	v_cmpx_ne_u16_e32 0x80, v0
	s_cbranch_execz .LBB6_981
; %bb.978:                              ;   in Loop: Header=BB6_356 Depth=4
	v_and_b32_e32 v0, 0x7f, v33
	v_mov_b32_e32 v36, 0x7f800001
	s_mov_b32 s74, exec_lo
	s_delay_alu instid0(VALU_DEP_2)
	v_cmpx_ne_u32_e32 0x7f, v0
	s_cbranch_execz .LBB6_980
; %bb.979:                              ;   in Loop: Header=BB6_356 Depth=4
	v_dual_lshrrev_b32 v37, 3, v0 :: v_dual_bitop2_b32 v36, 7, v33 bitop3:0x40
	v_cmp_gt_u32_e32 vcc_lo, 8, v0
	s_delay_alu instid0(VALU_DEP_2) | instskip(NEXT) | instid1(VALU_DEP_1)
	v_clz_i32_u32_e32 v0, v36
	v_min_u32_e32 v0, 32, v0
	s_delay_alu instid0(VALU_DEP_1) | instskip(SKIP_1) | instid1(VALU_DEP_2)
	v_subrev_nc_u32_e32 v36, 28, v0
	v_sub_nc_u32_e32 v0, 29, v0
	v_cndmask_b32_e32 v36, 0, v36, vcc_lo
	s_delay_alu instid0(VALU_DEP_2) | instskip(NEXT) | instid1(VALU_DEP_2)
	v_cndmask_b32_e32 v0, v37, v0, vcc_lo
	v_lshlrev_b64_e32 v[36:37], v36, v[2:3]
	v_lshlrev_b32_e32 v37, 24, v2
	s_delay_alu instid0(VALU_DEP_3) | instskip(NEXT) | instid1(VALU_DEP_2)
	v_lshl_add_u32 v0, v0, 23, 0x3c000000
	v_and_b32_e32 v37, 0x80000000, v37
	s_delay_alu instid0(VALU_DEP_4) | instskip(NEXT) | instid1(VALU_DEP_1)
	v_lshlrev_b32_e32 v36, 20, v36
	v_and_b32_e32 v36, 0x700000, v36
	s_delay_alu instid0(VALU_DEP_1)
	v_or3_b32 v36, v36, v37, v0
.LBB6_980:                              ;   in Loop: Header=BB6_356 Depth=4
	s_or_b32 exec_lo, exec_lo, s74
.LBB6_981:                              ;   in Loop: Header=BB6_356 Depth=4
	s_delay_alu instid0(SALU_CYCLE_1)
	s_or_b32 exec_lo, exec_lo, s73
.LBB6_982:                              ;   in Loop: Header=BB6_356 Depth=4
	s_delay_alu instid0(SALU_CYCLE_1) | instskip(SKIP_2) | instid1(VALU_DEP_1)
	s_or_b32 exec_lo, exec_lo, s13
	v_and_b32_e32 v0, 0xff, v25
	s_mov_b32 s13, exec_lo
	v_cmpx_ne_u16_e32 0, v0
	s_cbranch_execz .LBB6_988
; %bb.983:                              ;   in Loop: Header=BB6_356 Depth=4
	v_bfrev_b32_e32 v1, 1
	s_mov_b32 s73, exec_lo
	v_cmpx_ne_u16_e32 0x80, v0
	s_cbranch_execz .LBB6_987
; %bb.984:                              ;   in Loop: Header=BB6_356 Depth=4
	v_and_b32_e32 v0, 0x7f, v25
	v_mov_b32_e32 v1, 0x7f800001
	s_mov_b32 s74, exec_lo
	s_delay_alu instid0(VALU_DEP_2)
	v_cmpx_ne_u32_e32 0x7f, v0
	s_cbranch_execz .LBB6_986
; %bb.985:                              ;   in Loop: Header=BB6_356 Depth=4
	v_dual_lshrrev_b32 v37, 3, v0 :: v_dual_bitop2_b32 v1, 7, v25 bitop3:0x40
	v_cmp_gt_u32_e32 vcc_lo, 8, v0
	v_mov_b32_e32 v0, v25
	s_delay_alu instid0(VALU_DEP_3) | instskip(NEXT) | instid1(VALU_DEP_1)
	v_clz_i32_u32_e32 v1, v1
	v_min_u32_e32 v1, 32, v1
	s_delay_alu instid0(VALU_DEP_1) | instskip(SKIP_1) | instid1(VALU_DEP_2)
	v_sub_nc_u32_e32 v38, 29, v1
	v_subrev_nc_u32_e32 v39, 28, v1
	v_dual_mov_b32 v1, v3 :: v_dual_cndmask_b32 v37, v37, v38, vcc_lo
	s_delay_alu instid0(VALU_DEP_2) | instskip(NEXT) | instid1(VALU_DEP_2)
	v_cndmask_b32_e32 v38, 0, v39, vcc_lo
	v_lshl_add_u32 v37, v37, 23, 0x3c000000
	s_delay_alu instid0(VALU_DEP_2) | instskip(SKIP_1) | instid1(VALU_DEP_1)
	v_lshlrev_b64_e32 v[38:39], v38, v[0:1]
	v_lshlrev_b32_e32 v0, 24, v0
	v_and_b32_e32 v0, 0x80000000, v0
	s_delay_alu instid0(VALU_DEP_3) | instskip(NEXT) | instid1(VALU_DEP_1)
	v_lshlrev_b32_e32 v1, 20, v38
	v_and_b32_e32 v1, 0x700000, v1
	s_delay_alu instid0(VALU_DEP_1)
	v_or3_b32 v1, v1, v0, v37
.LBB6_986:                              ;   in Loop: Header=BB6_356 Depth=4
	s_or_b32 exec_lo, exec_lo, s74
.LBB6_987:                              ;   in Loop: Header=BB6_356 Depth=4
	s_delay_alu instid0(SALU_CYCLE_1)
	s_or_b32 exec_lo, exec_lo, s73
.LBB6_988:                              ;   in Loop: Header=BB6_356 Depth=4
	s_delay_alu instid0(SALU_CYCLE_1) | instskip(NEXT) | instid1(VALU_DEP_1)
	s_or_b32 exec_lo, exec_lo, s13
	v_dual_add_f32 v0, v36, v1 :: v_dual_mov_b32 v37, v3
                                        ; implicit-def: $vgpr1
	s_delay_alu instid0(VALU_DEP_1) | instskip(NEXT) | instid1(VALU_DEP_1)
	v_and_b32_e32 v36, 0x7f800000, v0
	v_cmp_ne_u64_e32 vcc_lo, 0x7f800000, v[36:37]
	v_lshrrev_b32_e32 v36, 24, v0
	s_and_saveexec_b32 s13, vcc_lo
	s_delay_alu instid0(SALU_CYCLE_1)
	s_xor_b32 s73, exec_lo, s13
	s_cbranch_execz .LBB6_1002
; %bb.989:                              ;   in Loop: Header=BB6_356 Depth=4
	v_and_b32_e32 v38, 0x7fffffff, v0
	v_mov_b32_e32 v39, v3
	v_and_b32_e32 v53, 0x80, v36
                                        ; implicit-def: $vgpr1
	s_mov_b32 s13, exec_lo
	s_delay_alu instid0(VALU_DEP_2)
	v_cmpx_gt_u64_e32 0x43e00001, v[38:39]
	s_xor_b32 s74, exec_lo, s13
	s_cbranch_execz .LBB6_999
; %bb.990:                              ;   in Loop: Header=BB6_356 Depth=4
	v_mov_b32_e32 v1, 0
	s_mov_b32 s75, exec_lo
	v_cmpx_ne_u32_e32 0, v0
	s_cbranch_execz .LBB6_998
; %bb.991:                              ;   in Loop: Header=BB6_356 Depth=4
	v_and_b32_e32 v36, 0x7fffff, v0
	v_bfe_u32 v1, v0, 23, 8
	s_delay_alu instid0(VALU_DEP_2) | instskip(NEXT) | instid1(VALU_DEP_2)
	v_or_b32_e32 v37, 0x800000, v36
	v_cmp_eq_u32_e32 vcc_lo, 0, v1
	v_cmp_gt_u32_e64 s13, 0x7a, v1
	v_sub_nc_u32_e32 v0, 0x79, v1
	s_delay_alu instid0(VALU_DEP_4) | instskip(NEXT) | instid1(VALU_DEP_2)
	v_dual_cndmask_b32 v36, v37, v36 :: v_dual_mov_b32 v37, v3
	v_cndmask_b32_e64 v0, 0, v0, s13
	s_delay_alu instid0(VALU_DEP_1) | instskip(NEXT) | instid1(VALU_DEP_1)
	v_cndmask_b32_e64 v0, v0, 0x78, vcc_lo
	v_dual_add_nc_u32 v38, 20, v0 :: v_dual_add_nc_u32 v52, 19, v0
	s_delay_alu instid0(VALU_DEP_1) | instskip(NEXT) | instid1(VALU_DEP_2)
	v_lshlrev_b64_e64 v[38:39], v38, -1
	v_lshlrev_b64_e64 v[66:67], v52, 1
	s_delay_alu instid0(VALU_DEP_2) | instskip(SKIP_1) | instid1(VALU_DEP_4)
	v_bfi_b32 v38, v38, 0, v36
	v_lshrrev_b64 v[36:37], v0, v[36:37]
	v_bfi_b32 v39, v39, 0, 0
	s_delay_alu instid0(VALU_DEP_1) | instskip(NEXT) | instid1(VALU_DEP_3)
	v_cmp_eq_u64_e64 s13, v[38:39], v[66:67]
	v_mov_b64_e32 v[38:39], v[36:37]
	s_and_saveexec_b32 s76, s13
; %bb.992:                              ;   in Loop: Header=BB6_356 Depth=4
	v_bfe_u32 v38, v36, 20, 1
	v_mov_b32_e32 v39, v3
	s_delay_alu instid0(VALU_DEP_1) | instskip(NEXT) | instid1(VALU_DEP_1)
	v_add_nc_u64_e32 v[38:39], v[36:37], v[38:39]
	v_add_nc_u64_e32 v[38:39], -1, v[38:39]
; %bb.993:                              ;   in Loop: Header=BB6_356 Depth=4
	s_or_b32 exec_lo, exec_lo, s76
	v_add_nc_u32_e32 v1, 0xffffff81, v1
	v_lshrrev_b32_e32 v37, 23, v36
	s_mov_b32 s13, exec_lo
	s_delay_alu instid0(VALU_DEP_2) | instskip(NEXT) | instid1(VALU_DEP_1)
	v_cndmask_b32_e64 v1, v1, 0xffffff82, vcc_lo
	v_add3_u32 v39, v0, v1, v37
	v_and_b32_e32 v0, 0xfffff, v38
	s_delay_alu instid0(VALU_DEP_2) | instskip(NEXT) | instid1(VALU_DEP_2)
	v_dual_mov_b32 v37, v3 :: v_dual_add_nc_u32 v1, 6, v39
	v_add_nc_u32_e32 v36, v0, v36
                                        ; implicit-def: $vgpr0
	s_delay_alu instid0(VALU_DEP_2)
	v_cmpx_ne_u32_e32 0, v1
	s_xor_b32 s13, exec_lo, s13
; %bb.994:                              ;   in Loop: Header=BB6_356 Depth=4
	s_delay_alu instid0(VALU_DEP_2) | instskip(SKIP_1) | instid1(VALU_DEP_1)
	v_cmp_lt_u64_e32 vcc_lo, 0xffffff, v[36:37]
	v_add_nc_u32_e32 v0, 7, v39
	v_cndmask_b32_e32 v0, v1, v0, vcc_lo
	v_cndmask_b32_e64 v1, 0, 1, vcc_lo
	s_delay_alu instid0(VALU_DEP_1)
	v_lshrrev_b64 v[36:37], v1, v[36:37]
; %bb.995:                              ;   in Loop: Header=BB6_356 Depth=4
	s_and_not1_saveexec_b32 s13, s13
; %bb.996:                              ;   in Loop: Header=BB6_356 Depth=4
	s_delay_alu instid0(VALU_DEP_1)
	v_bfe_u32 v0, v36, 23, 1
; %bb.997:                              ;   in Loop: Header=BB6_356 Depth=4
	s_or_b32 exec_lo, exec_lo, s13
	s_delay_alu instid0(VALU_DEP_2) | instskip(NEXT) | instid1(VALU_DEP_2)
	v_lshrrev_b64 v[36:37], 20, v[36:37]
	v_cmp_gt_i32_e32 vcc_lo, 16, v0
	v_min_i32_e32 v1, 15, v0
	v_cmp_eq_u32_e64 s13, 0, v0
	s_delay_alu instid0(VALU_DEP_4) | instskip(NEXT) | instid1(VALU_DEP_3)
	v_cndmask_b32_e32 v37, 0, v37, vcc_lo
	v_dual_cndmask_b32 v36, 7, v36 :: v_dual_lshlrev_b32 v1, 3, v1
	s_delay_alu instid0(VALU_DEP_1) | instskip(NEXT) | instid1(VALU_DEP_2)
	v_and_b32_e32 v1, 0xf8, v1
	v_cmp_eq_u64_e32 vcc_lo, 0, v[36:37]
	s_delay_alu instid0(VALU_DEP_2)
	v_and_or_b32 v0, v36, 7, v1
	s_and_b32 s13, s13, vcc_lo
	s_delay_alu instid0(VALU_DEP_1) | instid1(SALU_CYCLE_1)
	v_cndmask_b32_e64 v0, v0, 0, s13
	s_delay_alu instid0(VALU_DEP_1)
	v_or_b32_e32 v1, v0, v53
.LBB6_998:                              ;   in Loop: Header=BB6_356 Depth=4
	s_or_b32 exec_lo, exec_lo, s75
                                        ; implicit-def: $vgpr53
.LBB6_999:                              ;   in Loop: Header=BB6_356 Depth=4
	s_and_not1_saveexec_b32 s13, s74
; %bb.1000:                             ;   in Loop: Header=BB6_356 Depth=4
	v_or_b32_e32 v1, 0x7e, v53
; %bb.1001:                             ;   in Loop: Header=BB6_356 Depth=4
	s_or_b32 exec_lo, exec_lo, s13
                                        ; implicit-def: $vgpr36
.LBB6_1002:                             ;   in Loop: Header=BB6_356 Depth=4
	s_and_not1_saveexec_b32 s13, s73
; %bb.1003:                             ;   in Loop: Header=BB6_356 Depth=4
	v_or_b32_e32 v1, 0x7f, v36
; %bb.1004:                             ;   in Loop: Header=BB6_356 Depth=4
	s_or_b32 exec_lo, exec_lo, s13
	v_lshrrev_b16 v0, 8, v2
	v_dual_mov_b32 v38, 0 :: v_dual_mov_b32 v36, 0
	s_mov_b32 s13, exec_lo
	s_delay_alu instid0(VALU_DEP_2)
	v_cmpx_ne_u16_e32 0, v0
	s_cbranch_execz .LBB6_1012
; %bb.1005:                             ;   in Loop: Header=BB6_356 Depth=4
	v_bfrev_b32_e32 v36, 1
	s_mov_b32 s73, exec_lo
	v_cmpx_ne_u16_e32 0x80, v0
	s_cbranch_execz .LBB6_1011
; %bb.1006:                             ;   in Loop: Header=BB6_356 Depth=4
	v_and_b32_e32 v0, 0xffff, v0
	v_mov_b32_e32 v36, 0x7f800001
	s_mov_b32 s74, exec_lo
	s_delay_alu instid0(VALU_DEP_2) | instskip(NEXT) | instid1(VALU_DEP_1)
	v_and_b32_e32 v39, 0x7f, v0
	v_cmpx_ne_u32_e32 0x7f, v39
	s_cbranch_execz .LBB6_1010
; %bb.1007:                             ;   in Loop: Header=BB6_356 Depth=4
	v_dual_mov_b32 v37, v3 :: v_dual_bitop2_b32 v36, 7, v0 bitop3:0x40
	v_lshrrev_b32_e32 v0, 3, v39
	s_mov_b32 s75, exec_lo
	v_cmpx_gt_u32_e32 8, v39
; %bb.1008:                             ;   in Loop: Header=BB6_356 Depth=4
	s_delay_alu instid0(VALU_DEP_3) | instskip(NEXT) | instid1(VALU_DEP_1)
	v_clz_i32_u32_e32 v0, v36
	v_min_u32_e32 v0, 32, v0
	s_delay_alu instid0(VALU_DEP_1) | instskip(SKIP_1) | instid1(VALU_DEP_2)
	v_subrev_nc_u32_e32 v39, 28, v0
	v_sub_nc_u32_e32 v0, 29, v0
	v_lshlrev_b64_e32 v[36:37], v39, v[36:37]
	s_delay_alu instid0(VALU_DEP_1)
	v_and_b32_e32 v36, 7, v36
; %bb.1009:                             ;   in Loop: Header=BB6_356 Depth=4
	s_or_b32 exec_lo, exec_lo, s75
	s_delay_alu instid0(VALU_DEP_1) | instskip(SKIP_1) | instid1(VALU_DEP_2)
	v_dual_lshlrev_b32 v2, 16, v2 :: v_dual_lshlrev_b32 v36, 20, v36
	v_lshl_add_u32 v0, v0, 23, 0x3c000000
	v_and_b32_e32 v2, 0x80000000, v2
	s_delay_alu instid0(VALU_DEP_1)
	v_or3_b32 v36, v36, v2, v0
.LBB6_1010:                             ;   in Loop: Header=BB6_356 Depth=4
	s_or_b32 exec_lo, exec_lo, s74
.LBB6_1011:                             ;   in Loop: Header=BB6_356 Depth=4
	s_delay_alu instid0(SALU_CYCLE_1)
	s_or_b32 exec_lo, exec_lo, s73
.LBB6_1012:                             ;   in Loop: Header=BB6_356 Depth=4
	s_delay_alu instid0(SALU_CYCLE_1) | instskip(SKIP_2) | instid1(VALU_DEP_1)
	s_or_b32 exec_lo, exec_lo, s13
	v_lshrrev_b16 v0, 8, v25
	s_mov_b32 s13, exec_lo
	v_cmpx_ne_u16_e32 0, v0
	s_cbranch_execz .LBB6_1020
; %bb.1013:                             ;   in Loop: Header=BB6_356 Depth=4
	v_bfrev_b32_e32 v38, 1
	s_mov_b32 s73, exec_lo
	v_cmpx_ne_u16_e32 0x80, v0
	s_cbranch_execz .LBB6_1019
; %bb.1014:                             ;   in Loop: Header=BB6_356 Depth=4
	v_and_b32_e32 v0, 0xffff, v0
	v_mov_b32_e32 v38, 0x7f800001
	s_mov_b32 s74, exec_lo
	s_delay_alu instid0(VALU_DEP_2) | instskip(NEXT) | instid1(VALU_DEP_1)
	v_and_b32_e32 v37, 0x7f, v0
	v_cmpx_ne_u32_e32 0x7f, v37
	s_cbranch_execz .LBB6_1018
; %bb.1015:                             ;   in Loop: Header=BB6_356 Depth=4
	v_dual_lshrrev_b32 v0, 3, v37 :: v_dual_bitop2_b32 v2, 7, v0 bitop3:0x40
	s_mov_b32 s75, exec_lo
	v_cmpx_gt_u32_e32 8, v37
; %bb.1016:                             ;   in Loop: Header=BB6_356 Depth=4
	s_delay_alu instid0(VALU_DEP_2) | instskip(NEXT) | instid1(VALU_DEP_1)
	v_clz_i32_u32_e32 v0, v2
	v_min_u32_e32 v0, 32, v0
	s_delay_alu instid0(VALU_DEP_1) | instskip(NEXT) | instid1(VALU_DEP_1)
	v_subrev_nc_u32_e32 v37, 28, v0
	v_lshlrev_b64_e32 v[38:39], v37, v[2:3]
	s_delay_alu instid0(VALU_DEP_1)
	v_dual_sub_nc_u32 v0, 29, v0 :: v_dual_bitop2_b32 v2, 7, v38 bitop3:0x40
; %bb.1017:                             ;   in Loop: Header=BB6_356 Depth=4
	s_or_b32 exec_lo, exec_lo, s75
	s_delay_alu instid0(VALU_DEP_1) | instskip(NEXT) | instid1(VALU_DEP_2)
	v_dual_lshlrev_b32 v37, 16, v25 :: v_dual_lshlrev_b32 v2, 20, v2
	v_lshl_add_u32 v0, v0, 23, 0x3c000000
	s_delay_alu instid0(VALU_DEP_2) | instskip(NEXT) | instid1(VALU_DEP_1)
	v_and_b32_e32 v37, 0x80000000, v37
	v_or3_b32 v38, v2, v37, v0
.LBB6_1018:                             ;   in Loop: Header=BB6_356 Depth=4
	s_or_b32 exec_lo, exec_lo, s74
.LBB6_1019:                             ;   in Loop: Header=BB6_356 Depth=4
	s_delay_alu instid0(SALU_CYCLE_1)
	s_or_b32 exec_lo, exec_lo, s73
.LBB6_1020:                             ;   in Loop: Header=BB6_356 Depth=4
	s_delay_alu instid0(SALU_CYCLE_1) | instskip(NEXT) | instid1(VALU_DEP_1)
	s_or_b32 exec_lo, exec_lo, s13
	v_add_f32_e32 v0, v36, v38
                                        ; implicit-def: $vgpr111
	s_mov_b32 s13, exec_lo
	s_delay_alu instid0(VALU_DEP_1) | instskip(SKIP_1) | instid1(VALU_DEP_2)
	v_and_b32_e32 v2, 0x7f800000, v0
	v_lshrrev_b32_e32 v36, 24, v0
	v_cmpx_ne_u64_e32 0x7f800000, v[2:3]
	s_xor_b32 s73, exec_lo, s13
	s_cbranch_execz .LBB6_1034
; %bb.1021:                             ;   in Loop: Header=BB6_356 Depth=4
	v_and_b32_e32 v2, 0x7fffffff, v0
	v_and_b32_e32 v53, 0x80, v36
                                        ; implicit-def: $vgpr111
	s_mov_b32 s13, exec_lo
	s_delay_alu instid0(VALU_DEP_2)
	v_cmpx_gt_u64_e32 0x43e00001, v[2:3]
	s_xor_b32 s74, exec_lo, s13
	s_cbranch_execz .LBB6_1031
; %bb.1022:                             ;   in Loop: Header=BB6_356 Depth=4
	v_mov_b32_e32 v111, 0
	s_mov_b32 s75, exec_lo
	v_cmpx_ne_u32_e32 0, v0
	s_cbranch_execz .LBB6_1030
; %bb.1023:                             ;   in Loop: Header=BB6_356 Depth=4
	v_bfe_u32 v66, v0, 23, 8
	v_and_b32_e32 v2, 0x7fffff, v0
	s_delay_alu instid0(VALU_DEP_2) | instskip(SKIP_2) | instid1(VALU_DEP_4)
	v_cmp_gt_u32_e64 s13, 0x7a, v66
	v_sub_nc_u32_e32 v0, 0x79, v66
	v_cmp_eq_u32_e32 vcc_lo, 0, v66
	v_or_b32_e32 v36, 0x800000, v2
	s_delay_alu instid0(VALU_DEP_1) | instskip(NEXT) | instid1(VALU_DEP_1)
	v_dual_cndmask_b32 v0, 0, v0, s13 :: v_dual_cndmask_b32 v2, v36, v2, vcc_lo
	v_cndmask_b32_e64 v0, v0, 0x78, vcc_lo
	s_delay_alu instid0(VALU_DEP_1) | instskip(NEXT) | instid1(VALU_DEP_1)
	v_dual_add_nc_u32 v36, 20, v0 :: v_dual_add_nc_u32 v38, 19, v0
	v_lshlrev_b64_e64 v[36:37], v36, -1
	s_delay_alu instid0(VALU_DEP_2) | instskip(NEXT) | instid1(VALU_DEP_2)
	v_lshlrev_b64_e64 v[38:39], v38, 1
	v_bfi_b32 v37, v37, 0, 0
	s_delay_alu instid0(VALU_DEP_3) | instskip(NEXT) | instid1(VALU_DEP_1)
	v_bfi_b32 v36, v36, 0, v2
	v_cmp_eq_u64_e64 s13, v[36:37], v[38:39]
	v_lshrrev_b64 v[36:37], v0, v[2:3]
	s_delay_alu instid0(VALU_DEP_1)
	v_mov_b64_e32 v[38:39], v[36:37]
	s_and_saveexec_b32 s76, s13
; %bb.1024:                             ;   in Loop: Header=BB6_356 Depth=4
	v_bfe_u32 v2, v36, 20, 1
	s_delay_alu instid0(VALU_DEP_1) | instskip(NEXT) | instid1(VALU_DEP_1)
	v_add_nc_u64_e32 v[38:39], v[36:37], v[2:3]
	v_add_nc_u64_e32 v[38:39], -1, v[38:39]
; %bb.1025:                             ;   in Loop: Header=BB6_356 Depth=4
	s_or_b32 exec_lo, exec_lo, s76
	v_add_nc_u32_e32 v2, 0xffffff81, v66
	v_lshrrev_b32_e32 v37, 23, v36
	s_mov_b32 s13, exec_lo
	s_delay_alu instid0(VALU_DEP_2) | instskip(NEXT) | instid1(VALU_DEP_1)
	v_cndmask_b32_e64 v2, v2, 0xffffff82, vcc_lo
	v_add3_u32 v39, v0, v2, v37
	v_and_b32_e32 v0, 0xfffff, v38
	s_delay_alu instid0(VALU_DEP_1) | instskip(NEXT) | instid1(VALU_DEP_1)
	v_dual_add_nc_u32 v38, 6, v39 :: v_dual_add_nc_u32 v2, v0, v36
                                        ; implicit-def: $vgpr36_vgpr37
                                        ; implicit-def: $vgpr0
	v_cmpx_ne_u32_e32 0, v38
	s_xor_b32 s13, exec_lo, s13
; %bb.1026:                             ;   in Loop: Header=BB6_356 Depth=4
	s_delay_alu instid0(VALU_DEP_2) | instskip(SKIP_2) | instid1(VALU_DEP_2)
	v_cmp_lt_u64_e32 vcc_lo, 0xffffff, v[2:3]
	v_add_nc_u32_e32 v0, 7, v39
	v_cndmask_b32_e64 v36, 0, 1, vcc_lo
	v_cndmask_b32_e32 v0, v38, v0, vcc_lo
	s_delay_alu instid0(VALU_DEP_2)
	v_lshrrev_b64 v[36:37], v36, v[2:3]
; %bb.1027:                             ;   in Loop: Header=BB6_356 Depth=4
	s_and_not1_saveexec_b32 s13, s13
; %bb.1028:                             ;   in Loop: Header=BB6_356 Depth=4
	v_mov_b64_e32 v[36:37], v[2:3]
	v_bfe_u32 v0, v2, 23, 1
; %bb.1029:                             ;   in Loop: Header=BB6_356 Depth=4
	s_or_b32 exec_lo, exec_lo, s13
	s_delay_alu instid0(VALU_DEP_2) | instskip(NEXT) | instid1(VALU_DEP_2)
	v_lshrrev_b64 v[36:37], 20, v[36:37]
	v_cmp_gt_i32_e32 vcc_lo, 16, v0
	v_min_i32_e32 v2, 15, v0
	v_cmp_eq_u32_e64 s13, 0, v0
	s_delay_alu instid0(VALU_DEP_2) | instskip(SKIP_1) | instid1(VALU_DEP_2)
	v_dual_cndmask_b32 v37, 0, v37 :: v_dual_lshlrev_b32 v2, 3, v2
	v_cndmask_b32_e32 v36, 7, v36, vcc_lo
	v_and_b32_e32 v2, 0xf8, v2
	s_delay_alu instid0(VALU_DEP_2) | instskip(NEXT) | instid1(VALU_DEP_2)
	v_cmp_eq_u64_e32 vcc_lo, 0, v[36:37]
	v_and_or_b32 v0, v36, 7, v2
	s_and_b32 s13, s13, vcc_lo
	s_delay_alu instid0(VALU_DEP_1) | instid1(SALU_CYCLE_1)
	v_cndmask_b32_e64 v0, v0, 0, s13
	s_delay_alu instid0(VALU_DEP_1)
	v_or_b32_e32 v111, v0, v53
.LBB6_1030:                             ;   in Loop: Header=BB6_356 Depth=4
	s_or_b32 exec_lo, exec_lo, s75
                                        ; implicit-def: $vgpr53
.LBB6_1031:                             ;   in Loop: Header=BB6_356 Depth=4
	s_and_not1_saveexec_b32 s13, s74
; %bb.1032:                             ;   in Loop: Header=BB6_356 Depth=4
	v_or_b32_e32 v111, 0x7e, v53
; %bb.1033:                             ;   in Loop: Header=BB6_356 Depth=4
	s_or_b32 exec_lo, exec_lo, s13
                                        ; implicit-def: $vgpr36
.LBB6_1034:                             ;   in Loop: Header=BB6_356 Depth=4
	s_and_not1_saveexec_b32 s13, s73
; %bb.1035:                             ;   in Loop: Header=BB6_356 Depth=4
	v_or_b32_e32 v111, 0x7f, v36
; %bb.1036:                             ;   in Loop: Header=BB6_356 Depth=4
	s_or_b32 exec_lo, exec_lo, s13
	v_dual_lshrrev_b32 v0, 16, v33 :: v_dual_mov_b32 v36, 0
	v_mov_b32_e32 v37, 0
	s_mov_b32 s13, exec_lo
	s_delay_alu instid0(VALU_DEP_2) | instskip(NEXT) | instid1(VALU_DEP_1)
	v_and_b32_e32 v2, 0xff, v0
	v_cmpx_ne_u16_e32 0, v2
	s_cbranch_execz .LBB6_1044
; %bb.1037:                             ;   in Loop: Header=BB6_356 Depth=4
	v_bfrev_b32_e32 v37, 1
	s_mov_b32 s73, exec_lo
	v_cmpx_ne_u16_e32 0x80, v2
	s_cbranch_execz .LBB6_1043
; %bb.1038:                             ;   in Loop: Header=BB6_356 Depth=4
	v_bfe_u32 v38, v33, 16, 7
	v_mov_b32_e32 v37, 0x7f800001
	s_mov_b32 s74, exec_lo
	s_delay_alu instid0(VALU_DEP_2)
	v_cmpx_ne_u32_e32 0x7f, v38
	s_cbranch_execz .LBB6_1042
; %bb.1039:                             ;   in Loop: Header=BB6_356 Depth=4
	v_dual_lshrrev_b32 v37, 3, v38 :: v_dual_bitop2_b32 v2, 7, v0 bitop3:0x40
	s_mov_b32 s75, exec_lo
	v_cmpx_gt_u32_e32 8, v38
; %bb.1040:                             ;   in Loop: Header=BB6_356 Depth=4
	s_delay_alu instid0(VALU_DEP_2) | instskip(NEXT) | instid1(VALU_DEP_1)
	v_clz_i32_u32_e32 v37, v2
	v_min_u32_e32 v37, 32, v37
	s_delay_alu instid0(VALU_DEP_1) | instskip(NEXT) | instid1(VALU_DEP_1)
	v_subrev_nc_u32_e32 v38, 28, v37
	v_lshlrev_b64_e32 v[38:39], v38, v[2:3]
	s_delay_alu instid0(VALU_DEP_1)
	v_dual_sub_nc_u32 v37, 29, v37 :: v_dual_bitop2_b32 v2, 7, v38 bitop3:0x40
; %bb.1041:                             ;   in Loop: Header=BB6_356 Depth=4
	s_or_b32 exec_lo, exec_lo, s75
	s_delay_alu instid0(VALU_DEP_1) | instskip(NEXT) | instid1(VALU_DEP_2)
	v_dual_lshlrev_b32 v0, 24, v0 :: v_dual_lshlrev_b32 v2, 20, v2
	v_lshl_add_u32 v37, v37, 23, 0x3c000000
	s_delay_alu instid0(VALU_DEP_2) | instskip(NEXT) | instid1(VALU_DEP_1)
	v_and_b32_e32 v0, 0x80000000, v0
	v_or3_b32 v37, v2, v0, v37
.LBB6_1042:                             ;   in Loop: Header=BB6_356 Depth=4
	s_or_b32 exec_lo, exec_lo, s74
.LBB6_1043:                             ;   in Loop: Header=BB6_356 Depth=4
	s_delay_alu instid0(SALU_CYCLE_1)
	s_or_b32 exec_lo, exec_lo, s73
.LBB6_1044:                             ;   in Loop: Header=BB6_356 Depth=4
	s_delay_alu instid0(SALU_CYCLE_1) | instskip(SKIP_2) | instid1(VALU_DEP_1)
	s_or_b32 exec_lo, exec_lo, s13
	v_lshrrev_b32_e32 v0, 16, v25
	s_mov_b32 s13, exec_lo
	v_and_b32_e32 v2, 0xff, v0
	s_delay_alu instid0(VALU_DEP_1)
	v_cmpx_ne_u16_e32 0, v2
	s_cbranch_execz .LBB6_1052
; %bb.1045:                             ;   in Loop: Header=BB6_356 Depth=4
	v_bfrev_b32_e32 v36, 1
	s_mov_b32 s73, exec_lo
	v_cmpx_ne_u16_e32 0x80, v2
	s_cbranch_execz .LBB6_1051
; %bb.1046:                             ;   in Loop: Header=BB6_356 Depth=4
	v_bfe_u32 v38, v25, 16, 7
	v_mov_b32_e32 v36, 0x7f800001
	s_mov_b32 s74, exec_lo
	s_delay_alu instid0(VALU_DEP_2)
	v_cmpx_ne_u32_e32 0x7f, v38
	s_cbranch_execz .LBB6_1050
; %bb.1047:                             ;   in Loop: Header=BB6_356 Depth=4
	v_dual_lshrrev_b32 v0, 3, v38 :: v_dual_bitop2_b32 v2, 7, v0 bitop3:0x40
	s_mov_b32 s75, exec_lo
	v_cmpx_gt_u32_e32 8, v38
; %bb.1048:                             ;   in Loop: Header=BB6_356 Depth=4
	s_delay_alu instid0(VALU_DEP_2) | instskip(NEXT) | instid1(VALU_DEP_1)
	v_clz_i32_u32_e32 v0, v2
	v_min_u32_e32 v0, 32, v0
	s_delay_alu instid0(VALU_DEP_1) | instskip(NEXT) | instid1(VALU_DEP_1)
	v_subrev_nc_u32_e32 v36, 28, v0
	v_lshlrev_b64_e32 v[38:39], v36, v[2:3]
	s_delay_alu instid0(VALU_DEP_1)
	v_dual_sub_nc_u32 v0, 29, v0 :: v_dual_bitop2_b32 v2, 7, v38 bitop3:0x40
; %bb.1049:                             ;   in Loop: Header=BB6_356 Depth=4
	s_or_b32 exec_lo, exec_lo, s75
	s_delay_alu instid0(VALU_DEP_1) | instskip(NEXT) | instid1(VALU_DEP_2)
	v_dual_lshlrev_b32 v36, 8, v25 :: v_dual_lshlrev_b32 v2, 20, v2
	v_lshl_add_u32 v0, v0, 23, 0x3c000000
	s_delay_alu instid0(VALU_DEP_2) | instskip(NEXT) | instid1(VALU_DEP_1)
	v_and_b32_e32 v36, 0x80000000, v36
	v_or3_b32 v36, v2, v36, v0
.LBB6_1050:                             ;   in Loop: Header=BB6_356 Depth=4
	s_or_b32 exec_lo, exec_lo, s74
.LBB6_1051:                             ;   in Loop: Header=BB6_356 Depth=4
	s_delay_alu instid0(SALU_CYCLE_1)
	s_or_b32 exec_lo, exec_lo, s73
.LBB6_1052:                             ;   in Loop: Header=BB6_356 Depth=4
	s_delay_alu instid0(SALU_CYCLE_1) | instskip(NEXT) | instid1(VALU_DEP_1)
	s_or_b32 exec_lo, exec_lo, s13
	v_add_f32_e32 v0, v37, v36
                                        ; implicit-def: $vgpr36
	s_mov_b32 s13, exec_lo
	s_delay_alu instid0(VALU_DEP_1) | instskip(SKIP_1) | instid1(VALU_DEP_2)
	v_and_b32_e32 v2, 0x7f800000, v0
	v_lshrrev_b32_e32 v37, 24, v0
	v_cmpx_ne_u64_e32 0x7f800000, v[2:3]
	s_xor_b32 s73, exec_lo, s13
	s_cbranch_execz .LBB6_1066
; %bb.1053:                             ;   in Loop: Header=BB6_356 Depth=4
	v_and_b32_e32 v2, 0x7fffffff, v0
	v_and_b32_e32 v53, 0x80, v37
                                        ; implicit-def: $vgpr36
	s_mov_b32 s13, exec_lo
	s_delay_alu instid0(VALU_DEP_2)
	v_cmpx_gt_u64_e32 0x43e00001, v[2:3]
	s_xor_b32 s74, exec_lo, s13
	s_cbranch_execz .LBB6_1063
; %bb.1054:                             ;   in Loop: Header=BB6_356 Depth=4
	v_mov_b32_e32 v36, 0
	s_mov_b32 s75, exec_lo
	v_cmpx_ne_u32_e32 0, v0
	s_cbranch_execz .LBB6_1062
; %bb.1055:                             ;   in Loop: Header=BB6_356 Depth=4
	v_bfe_u32 v66, v0, 23, 8
	v_and_b32_e32 v2, 0x7fffff, v0
	s_delay_alu instid0(VALU_DEP_2) | instskip(SKIP_2) | instid1(VALU_DEP_4)
	v_cmp_gt_u32_e64 s13, 0x7a, v66
	v_sub_nc_u32_e32 v0, 0x79, v66
	v_cmp_eq_u32_e32 vcc_lo, 0, v66
	v_or_b32_e32 v36, 0x800000, v2
	s_delay_alu instid0(VALU_DEP_1) | instskip(NEXT) | instid1(VALU_DEP_1)
	v_dual_cndmask_b32 v0, 0, v0, s13 :: v_dual_cndmask_b32 v2, v36, v2, vcc_lo
	v_cndmask_b32_e64 v0, v0, 0x78, vcc_lo
	s_delay_alu instid0(VALU_DEP_1) | instskip(NEXT) | instid1(VALU_DEP_1)
	v_dual_add_nc_u32 v36, 20, v0 :: v_dual_add_nc_u32 v38, 19, v0
	v_lshlrev_b64_e64 v[36:37], v36, -1
	s_delay_alu instid0(VALU_DEP_2) | instskip(NEXT) | instid1(VALU_DEP_2)
	v_lshlrev_b64_e64 v[38:39], v38, 1
	v_bfi_b32 v37, v37, 0, 0
	s_delay_alu instid0(VALU_DEP_3) | instskip(NEXT) | instid1(VALU_DEP_1)
	v_bfi_b32 v36, v36, 0, v2
	v_cmp_eq_u64_e64 s13, v[36:37], v[38:39]
	v_lshrrev_b64 v[36:37], v0, v[2:3]
	s_delay_alu instid0(VALU_DEP_1)
	v_mov_b64_e32 v[38:39], v[36:37]
	s_and_saveexec_b32 s76, s13
; %bb.1056:                             ;   in Loop: Header=BB6_356 Depth=4
	v_bfe_u32 v2, v36, 20, 1
	s_delay_alu instid0(VALU_DEP_1) | instskip(NEXT) | instid1(VALU_DEP_1)
	v_add_nc_u64_e32 v[38:39], v[36:37], v[2:3]
	v_add_nc_u64_e32 v[38:39], -1, v[38:39]
; %bb.1057:                             ;   in Loop: Header=BB6_356 Depth=4
	s_or_b32 exec_lo, exec_lo, s76
	v_add_nc_u32_e32 v2, 0xffffff81, v66
	v_lshrrev_b32_e32 v37, 23, v36
	s_mov_b32 s13, exec_lo
	s_delay_alu instid0(VALU_DEP_2) | instskip(NEXT) | instid1(VALU_DEP_1)
	v_cndmask_b32_e64 v2, v2, 0xffffff82, vcc_lo
	v_add3_u32 v39, v0, v2, v37
	v_and_b32_e32 v0, 0xfffff, v38
	s_delay_alu instid0(VALU_DEP_1) | instskip(NEXT) | instid1(VALU_DEP_1)
	v_dual_add_nc_u32 v38, 6, v39 :: v_dual_add_nc_u32 v2, v0, v36
                                        ; implicit-def: $vgpr36_vgpr37
                                        ; implicit-def: $vgpr0
	v_cmpx_ne_u32_e32 0, v38
	s_xor_b32 s13, exec_lo, s13
; %bb.1058:                             ;   in Loop: Header=BB6_356 Depth=4
	s_delay_alu instid0(VALU_DEP_2) | instskip(SKIP_2) | instid1(VALU_DEP_2)
	v_cmp_lt_u64_e32 vcc_lo, 0xffffff, v[2:3]
	v_add_nc_u32_e32 v0, 7, v39
	v_cndmask_b32_e64 v36, 0, 1, vcc_lo
	v_cndmask_b32_e32 v0, v38, v0, vcc_lo
	s_delay_alu instid0(VALU_DEP_2)
	v_lshrrev_b64 v[36:37], v36, v[2:3]
; %bb.1059:                             ;   in Loop: Header=BB6_356 Depth=4
	s_and_not1_saveexec_b32 s13, s13
; %bb.1060:                             ;   in Loop: Header=BB6_356 Depth=4
	v_mov_b64_e32 v[36:37], v[2:3]
	v_bfe_u32 v0, v2, 23, 1
; %bb.1061:                             ;   in Loop: Header=BB6_356 Depth=4
	s_or_b32 exec_lo, exec_lo, s13
	s_delay_alu instid0(VALU_DEP_2) | instskip(NEXT) | instid1(VALU_DEP_2)
	v_lshrrev_b64 v[36:37], 20, v[36:37]
	v_cmp_gt_i32_e32 vcc_lo, 16, v0
	v_min_i32_e32 v2, 15, v0
	v_cmp_eq_u32_e64 s13, 0, v0
	s_delay_alu instid0(VALU_DEP_2) | instskip(SKIP_1) | instid1(VALU_DEP_2)
	v_dual_cndmask_b32 v37, 0, v37 :: v_dual_lshlrev_b32 v2, 3, v2
	v_cndmask_b32_e32 v36, 7, v36, vcc_lo
	v_and_b32_e32 v2, 0xf8, v2
	s_delay_alu instid0(VALU_DEP_2) | instskip(NEXT) | instid1(VALU_DEP_2)
	v_cmp_eq_u64_e32 vcc_lo, 0, v[36:37]
	v_and_or_b32 v0, v36, 7, v2
	s_and_b32 s13, s13, vcc_lo
	s_delay_alu instid0(VALU_DEP_1) | instid1(SALU_CYCLE_1)
	v_cndmask_b32_e64 v0, v0, 0, s13
	s_delay_alu instid0(VALU_DEP_1)
	v_or_b32_e32 v36, v0, v53
.LBB6_1062:                             ;   in Loop: Header=BB6_356 Depth=4
	s_or_b32 exec_lo, exec_lo, s75
                                        ; implicit-def: $vgpr53
.LBB6_1063:                             ;   in Loop: Header=BB6_356 Depth=4
	s_and_not1_saveexec_b32 s13, s74
; %bb.1064:                             ;   in Loop: Header=BB6_356 Depth=4
	v_or_b32_e32 v36, 0x7e, v53
; %bb.1065:                             ;   in Loop: Header=BB6_356 Depth=4
	s_or_b32 exec_lo, exec_lo, s13
                                        ; implicit-def: $vgpr37
.LBB6_1066:                             ;   in Loop: Header=BB6_356 Depth=4
	s_and_not1_saveexec_b32 s13, s73
; %bb.1067:                             ;   in Loop: Header=BB6_356 Depth=4
	v_or_b32_e32 v36, 0x7f, v37
; %bb.1068:                             ;   in Loop: Header=BB6_356 Depth=4
	s_or_b32 exec_lo, exec_lo, s13
	v_cmp_lt_u64_e32 vcc_lo, s[22:23], v[32:33]
	v_dual_mov_b32 v32, 0 :: v_dual_mov_b32 v37, 0
	s_and_saveexec_b32 s13, vcc_lo
	s_cbranch_execz .LBB6_1076
; %bb.1069:                             ;   in Loop: Header=BB6_356 Depth=4
	v_lshrrev_b32_e32 v0, 24, v33
	v_bfrev_b32_e32 v37, 1
	s_mov_b32 s73, exec_lo
	s_delay_alu instid0(VALU_DEP_2)
	v_cmpx_ne_u32_e32 0x80, v0
	s_cbranch_execz .LBB6_1075
; %bb.1070:                             ;   in Loop: Header=BB6_356 Depth=4
	v_bfe_u32 v38, v33, 24, 7
	v_mov_b32_e32 v37, 0x7f800001
	s_mov_b32 s74, exec_lo
	s_delay_alu instid0(VALU_DEP_2)
	v_cmpx_ne_u32_e32 0x7f, v38
	s_cbranch_execz .LBB6_1074
; %bb.1071:                             ;   in Loop: Header=BB6_356 Depth=4
	v_dual_lshrrev_b32 v33, 3, v38 :: v_dual_bitop2_b32 v2, 7, v0 bitop3:0x40
	s_mov_b32 s75, exec_lo
	v_cmpx_gt_u32_e32 8, v38
; %bb.1072:                             ;   in Loop: Header=BB6_356 Depth=4
	s_delay_alu instid0(VALU_DEP_2) | instskip(NEXT) | instid1(VALU_DEP_1)
	v_clz_i32_u32_e32 v33, v2
	v_min_u32_e32 v33, 32, v33
	s_delay_alu instid0(VALU_DEP_1) | instskip(NEXT) | instid1(VALU_DEP_1)
	v_subrev_nc_u32_e32 v37, 28, v33
	v_lshlrev_b64_e32 v[38:39], v37, v[2:3]
	s_delay_alu instid0(VALU_DEP_1)
	v_dual_sub_nc_u32 v33, 29, v33 :: v_dual_bitop2_b32 v2, 7, v38 bitop3:0x40
; %bb.1073:                             ;   in Loop: Header=BB6_356 Depth=4
	s_or_b32 exec_lo, exec_lo, s75
	s_delay_alu instid0(VALU_DEP_1) | instskip(NEXT) | instid1(VALU_DEP_2)
	v_dual_lshlrev_b32 v0, 24, v0 :: v_dual_lshlrev_b32 v2, 20, v2
	v_lshl_add_u32 v33, v33, 23, 0x3c000000
	s_delay_alu instid0(VALU_DEP_2) | instskip(NEXT) | instid1(VALU_DEP_1)
	v_and_b32_e32 v0, 0x80000000, v0
	v_or3_b32 v37, v2, v0, v33
.LBB6_1074:                             ;   in Loop: Header=BB6_356 Depth=4
	s_or_b32 exec_lo, exec_lo, s74
.LBB6_1075:                             ;   in Loop: Header=BB6_356 Depth=4
	s_delay_alu instid0(SALU_CYCLE_1)
	s_or_b32 exec_lo, exec_lo, s73
.LBB6_1076:                             ;   in Loop: Header=BB6_356 Depth=4
	s_delay_alu instid0(SALU_CYCLE_1) | instskip(NEXT) | instid1(SALU_CYCLE_1)
	s_or_b32 exec_lo, exec_lo, s13
	s_mov_b32 s13, exec_lo
	v_cmpx_lt_u64_e64 s[22:23], v[24:25]
	s_cbranch_execz .LBB6_1084
; %bb.1077:                             ;   in Loop: Header=BB6_356 Depth=4
	v_lshrrev_b32_e32 v0, 24, v25
	v_bfrev_b32_e32 v32, 1
	s_mov_b32 s73, exec_lo
	s_delay_alu instid0(VALU_DEP_2)
	v_cmpx_ne_u32_e32 0x80, v0
	s_cbranch_execz .LBB6_1083
; %bb.1078:                             ;   in Loop: Header=BB6_356 Depth=4
	v_bfe_u32 v25, v25, 24, 7
	v_mov_b32_e32 v32, 0x7f800001
	s_mov_b32 s74, exec_lo
	s_delay_alu instid0(VALU_DEP_2)
	v_cmpx_ne_u32_e32 0x7f, v25
	s_cbranch_execz .LBB6_1082
; %bb.1079:                             ;   in Loop: Header=BB6_356 Depth=4
	v_dual_lshrrev_b32 v24, 3, v25 :: v_dual_bitop2_b32 v2, 7, v0 bitop3:0x40
	s_mov_b32 s75, exec_lo
	v_cmpx_gt_u32_e32 8, v25
; %bb.1080:                             ;   in Loop: Header=BB6_356 Depth=4
	s_delay_alu instid0(VALU_DEP_2) | instskip(NEXT) | instid1(VALU_DEP_1)
	v_clz_i32_u32_e32 v24, v2
	v_min_u32_e32 v24, 32, v24
	s_delay_alu instid0(VALU_DEP_1) | instskip(SKIP_1) | instid1(VALU_DEP_2)
	v_subrev_nc_u32_e32 v25, 28, v24
	v_sub_nc_u32_e32 v24, 29, v24
	v_lshlrev_b64_e32 v[32:33], v25, v[2:3]
	s_delay_alu instid0(VALU_DEP_1)
	v_and_b32_e32 v2, 7, v32
; %bb.1081:                             ;   in Loop: Header=BB6_356 Depth=4
	s_or_b32 exec_lo, exec_lo, s75
	s_delay_alu instid0(VALU_DEP_1) | instskip(SKIP_1) | instid1(VALU_DEP_2)
	v_dual_lshlrev_b32 v0, 24, v0 :: v_dual_lshlrev_b32 v2, 20, v2
	v_lshl_add_u32 v24, v24, 23, 0x3c000000
	v_and_b32_e32 v0, 0x80000000, v0
	s_delay_alu instid0(VALU_DEP_1)
	v_or3_b32 v32, v2, v0, v24
.LBB6_1082:                             ;   in Loop: Header=BB6_356 Depth=4
	s_or_b32 exec_lo, exec_lo, s74
.LBB6_1083:                             ;   in Loop: Header=BB6_356 Depth=4
	s_delay_alu instid0(SALU_CYCLE_1)
	s_or_b32 exec_lo, exec_lo, s73
.LBB6_1084:                             ;   in Loop: Header=BB6_356 Depth=4
	s_delay_alu instid0(SALU_CYCLE_1) | instskip(NEXT) | instid1(VALU_DEP_1)
	s_or_b32 exec_lo, exec_lo, s13
	v_add_f32_e32 v0, v37, v32
                                        ; implicit-def: $vgpr37
	s_mov_b32 s13, exec_lo
	s_delay_alu instid0(VALU_DEP_1) | instskip(SKIP_1) | instid1(VALU_DEP_2)
	v_and_b32_e32 v2, 0x7f800000, v0
	v_lshrrev_b32_e32 v24, 24, v0
	v_cmpx_ne_u64_e32 0x7f800000, v[2:3]
	s_xor_b32 s73, exec_lo, s13
	s_cbranch_execz .LBB6_1098
; %bb.1085:                             ;   in Loop: Header=BB6_356 Depth=4
	v_and_b32_e32 v2, 0x7fffffff, v0
	v_and_b32_e32 v38, 0x80, v24
                                        ; implicit-def: $vgpr37
	s_mov_b32 s13, exec_lo
	s_delay_alu instid0(VALU_DEP_2)
	v_cmpx_gt_u64_e32 0x43e00001, v[2:3]
	s_xor_b32 s74, exec_lo, s13
	s_cbranch_execz .LBB6_1095
; %bb.1086:                             ;   in Loop: Header=BB6_356 Depth=4
	v_mov_b32_e32 v37, 0
	s_mov_b32 s75, exec_lo
	v_cmpx_ne_u32_e32 0, v0
	s_cbranch_execz .LBB6_1094
; %bb.1087:                             ;   in Loop: Header=BB6_356 Depth=4
	v_bfe_u32 v37, v0, 23, 8
	v_and_b32_e32 v2, 0x7fffff, v0
	s_delay_alu instid0(VALU_DEP_2) | instskip(SKIP_2) | instid1(VALU_DEP_4)
	v_cmp_gt_u32_e64 s13, 0x7a, v37
	v_sub_nc_u32_e32 v0, 0x79, v37
	v_cmp_eq_u32_e32 vcc_lo, 0, v37
	v_or_b32_e32 v24, 0x800000, v2
	s_delay_alu instid0(VALU_DEP_1) | instskip(NEXT) | instid1(VALU_DEP_1)
	v_dual_cndmask_b32 v0, 0, v0, s13 :: v_dual_cndmask_b32 v2, v24, v2, vcc_lo
	v_cndmask_b32_e64 v0, v0, 0x78, vcc_lo
	s_delay_alu instid0(VALU_DEP_1) | instskip(NEXT) | instid1(VALU_DEP_1)
	v_dual_add_nc_u32 v24, 20, v0 :: v_dual_add_nc_u32 v32, 19, v0
	v_lshlrev_b64_e64 v[24:25], v24, -1
	s_delay_alu instid0(VALU_DEP_2) | instskip(NEXT) | instid1(VALU_DEP_2)
	v_lshlrev_b64_e64 v[32:33], v32, 1
	v_bfi_b32 v25, v25, 0, 0
	s_delay_alu instid0(VALU_DEP_3) | instskip(NEXT) | instid1(VALU_DEP_1)
	v_bfi_b32 v24, v24, 0, v2
	v_cmp_eq_u64_e64 s13, v[24:25], v[32:33]
	v_lshrrev_b64 v[24:25], v0, v[2:3]
	s_delay_alu instid0(VALU_DEP_1)
	v_mov_b64_e32 v[32:33], v[24:25]
	s_and_saveexec_b32 s76, s13
; %bb.1088:                             ;   in Loop: Header=BB6_356 Depth=4
	v_bfe_u32 v2, v24, 20, 1
	s_delay_alu instid0(VALU_DEP_1) | instskip(NEXT) | instid1(VALU_DEP_1)
	v_add_nc_u64_e32 v[32:33], v[24:25], v[2:3]
	v_add_nc_u64_e32 v[32:33], -1, v[32:33]
; %bb.1089:                             ;   in Loop: Header=BB6_356 Depth=4
	s_or_b32 exec_lo, exec_lo, s76
	v_add_nc_u32_e32 v2, 0xffffff81, v37
	v_lshrrev_b32_e32 v25, 23, v24
	s_mov_b32 s13, exec_lo
	s_delay_alu instid0(VALU_DEP_2) | instskip(NEXT) | instid1(VALU_DEP_1)
	v_cndmask_b32_e64 v2, v2, 0xffffff82, vcc_lo
	v_add3_u32 v33, v0, v2, v25
	v_and_b32_e32 v0, 0xfffff, v32
	s_delay_alu instid0(VALU_DEP_1) | instskip(NEXT) | instid1(VALU_DEP_1)
	v_dual_add_nc_u32 v32, 6, v33 :: v_dual_add_nc_u32 v2, v0, v24
                                        ; implicit-def: $vgpr24_vgpr25
                                        ; implicit-def: $vgpr0
	v_cmpx_ne_u32_e32 0, v32
	s_xor_b32 s13, exec_lo, s13
; %bb.1090:                             ;   in Loop: Header=BB6_356 Depth=4
	s_delay_alu instid0(VALU_DEP_2) | instskip(SKIP_2) | instid1(VALU_DEP_2)
	v_cmp_lt_u64_e32 vcc_lo, 0xffffff, v[2:3]
	v_add_nc_u32_e32 v0, 7, v33
	v_cndmask_b32_e64 v24, 0, 1, vcc_lo
	v_cndmask_b32_e32 v0, v32, v0, vcc_lo
	s_delay_alu instid0(VALU_DEP_2)
	v_lshrrev_b64 v[24:25], v24, v[2:3]
; %bb.1091:                             ;   in Loop: Header=BB6_356 Depth=4
	s_and_not1_saveexec_b32 s13, s13
; %bb.1092:                             ;   in Loop: Header=BB6_356 Depth=4
	v_mov_b64_e32 v[24:25], v[2:3]
	v_bfe_u32 v0, v2, 23, 1
; %bb.1093:                             ;   in Loop: Header=BB6_356 Depth=4
	s_or_b32 exec_lo, exec_lo, s13
	s_delay_alu instid0(VALU_DEP_2) | instskip(NEXT) | instid1(VALU_DEP_2)
	v_lshrrev_b64 v[24:25], 20, v[24:25]
	v_cmp_gt_i32_e32 vcc_lo, 16, v0
	v_min_i32_e32 v2, 15, v0
	v_cmp_eq_u32_e64 s13, 0, v0
	s_delay_alu instid0(VALU_DEP_2) | instskip(SKIP_1) | instid1(VALU_DEP_2)
	v_dual_cndmask_b32 v25, 0, v25 :: v_dual_lshlrev_b32 v2, 3, v2
	v_cndmask_b32_e32 v24, 7, v24, vcc_lo
	v_and_b32_e32 v2, 0xf8, v2
	s_delay_alu instid0(VALU_DEP_2) | instskip(NEXT) | instid1(VALU_DEP_2)
	v_cmp_eq_u64_e32 vcc_lo, 0, v[24:25]
	v_and_or_b32 v0, v24, 7, v2
	s_and_b32 s13, s13, vcc_lo
	s_delay_alu instid0(VALU_DEP_1) | instid1(SALU_CYCLE_1)
	v_cndmask_b32_e64 v0, v0, 0, s13
	s_delay_alu instid0(VALU_DEP_1)
	v_or_b32_e32 v37, v0, v38
.LBB6_1094:                             ;   in Loop: Header=BB6_356 Depth=4
	s_or_b32 exec_lo, exec_lo, s75
                                        ; implicit-def: $vgpr38
.LBB6_1095:                             ;   in Loop: Header=BB6_356 Depth=4
	s_and_not1_saveexec_b32 s13, s74
; %bb.1096:                             ;   in Loop: Header=BB6_356 Depth=4
	v_or_b32_e32 v37, 0x7e, v38
; %bb.1097:                             ;   in Loop: Header=BB6_356 Depth=4
	s_or_b32 exec_lo, exec_lo, s13
                                        ; implicit-def: $vgpr24
.LBB6_1098:                             ;   in Loop: Header=BB6_356 Depth=4
	s_and_not1_saveexec_b32 s13, s73
; %bb.1099:                             ;   in Loop: Header=BB6_356 Depth=4
	v_or_b32_e32 v37, 0x7f, v24
; %bb.1100:                             ;   in Loop: Header=BB6_356 Depth=4
	s_or_b32 exec_lo, exec_lo, s13
	v_and_b32_e32 v0, 0xff, v34
	v_dual_mov_b32 v2, 0 :: v_dual_mov_b32 v24, 0
	s_mov_b32 s13, exec_lo
	s_delay_alu instid0(VALU_DEP_2)
	v_cmpx_ne_u16_e32 0, v0
	s_cbranch_execz .LBB6_1106
; %bb.1101:                             ;   in Loop: Header=BB6_356 Depth=4
	v_bfrev_b32_e32 v24, 1
	s_mov_b32 s73, exec_lo
	v_cmpx_ne_u16_e32 0x80, v0
	s_cbranch_execz .LBB6_1105
; %bb.1102:                             ;   in Loop: Header=BB6_356 Depth=4
	v_and_b32_e32 v0, 0x7f, v34
	v_mov_b32_e32 v24, 0x7f800001
	s_mov_b32 s74, exec_lo
	s_delay_alu instid0(VALU_DEP_2)
	v_cmpx_ne_u32_e32 0x7f, v0
	s_cbranch_execz .LBB6_1104
; %bb.1103:                             ;   in Loop: Header=BB6_356 Depth=4
	v_dual_lshrrev_b32 v25, 3, v0 :: v_dual_bitop2_b32 v24, 7, v34 bitop3:0x40
	v_cmp_gt_u32_e32 vcc_lo, 8, v0
	s_delay_alu instid0(VALU_DEP_2) | instskip(NEXT) | instid1(VALU_DEP_1)
	v_clz_i32_u32_e32 v0, v24
	v_min_u32_e32 v0, 32, v0
	s_delay_alu instid0(VALU_DEP_1) | instskip(SKIP_1) | instid1(VALU_DEP_2)
	v_subrev_nc_u32_e32 v24, 28, v0
	v_sub_nc_u32_e32 v0, 29, v0
	v_cndmask_b32_e32 v24, 0, v24, vcc_lo
	s_delay_alu instid0(VALU_DEP_2) | instskip(NEXT) | instid1(VALU_DEP_2)
	v_cndmask_b32_e32 v0, v25, v0, vcc_lo
	v_lshlrev_b64_e32 v[24:25], v24, v[34:35]
	v_lshlrev_b32_e32 v25, 24, v34
	s_delay_alu instid0(VALU_DEP_3) | instskip(NEXT) | instid1(VALU_DEP_2)
	v_lshl_add_u32 v0, v0, 23, 0x3c000000
	v_and_b32_e32 v25, 0x80000000, v25
	s_delay_alu instid0(VALU_DEP_4) | instskip(NEXT) | instid1(VALU_DEP_1)
	v_lshlrev_b32_e32 v24, 20, v24
	v_and_b32_e32 v24, 0x700000, v24
	s_delay_alu instid0(VALU_DEP_1)
	v_or3_b32 v24, v24, v25, v0
.LBB6_1104:                             ;   in Loop: Header=BB6_356 Depth=4
	s_or_b32 exec_lo, exec_lo, s74
.LBB6_1105:                             ;   in Loop: Header=BB6_356 Depth=4
	s_delay_alu instid0(SALU_CYCLE_1)
	s_or_b32 exec_lo, exec_lo, s73
.LBB6_1106:                             ;   in Loop: Header=BB6_356 Depth=4
	s_delay_alu instid0(SALU_CYCLE_1) | instskip(SKIP_2) | instid1(VALU_DEP_1)
	s_or_b32 exec_lo, exec_lo, s13
	v_and_b32_e32 v0, 0xff, v26
	s_mov_b32 s13, exec_lo
	v_cmpx_ne_u16_e32 0, v0
	s_cbranch_execz .LBB6_1112
; %bb.1107:                             ;   in Loop: Header=BB6_356 Depth=4
	v_bfrev_b32_e32 v2, 1
	s_mov_b32 s73, exec_lo
	v_cmpx_ne_u16_e32 0x80, v0
	s_cbranch_execz .LBB6_1111
; %bb.1108:                             ;   in Loop: Header=BB6_356 Depth=4
	v_and_b32_e32 v0, 0x7f, v26
	v_mov_b32_e32 v2, 0x7f800001
	s_mov_b32 s74, exec_lo
	s_delay_alu instid0(VALU_DEP_2)
	v_cmpx_ne_u32_e32 0x7f, v0
	s_cbranch_execz .LBB6_1110
; %bb.1109:                             ;   in Loop: Header=BB6_356 Depth=4
	v_dual_lshrrev_b32 v25, 3, v0 :: v_dual_bitop2_b32 v2, 7, v26 bitop3:0x40
	v_cmp_gt_u32_e32 vcc_lo, 8, v0
	s_delay_alu instid0(VALU_DEP_2) | instskip(NEXT) | instid1(VALU_DEP_1)
	v_clz_i32_u32_e32 v0, v2
	v_min_u32_e32 v0, 32, v0
	s_delay_alu instid0(VALU_DEP_1) | instskip(NEXT) | instid1(VALU_DEP_1)
	v_subrev_nc_u32_e32 v2, 28, v0
	v_dual_sub_nc_u32 v0, 29, v0 :: v_dual_cndmask_b32 v2, 0, v2, vcc_lo
	s_delay_alu instid0(VALU_DEP_1) | instskip(NEXT) | instid1(VALU_DEP_2)
	v_dual_cndmask_b32 v0, v25, v0 :: v_dual_lshlrev_b32 v25, 24, v26
	v_lshlrev_b64_e32 v[32:33], v2, v[26:27]
	s_delay_alu instid0(VALU_DEP_2) | instskip(NEXT) | instid1(VALU_DEP_3)
	v_lshl_add_u32 v0, v0, 23, 0x3c000000
	v_and_b32_e32 v25, 0x80000000, v25
	s_delay_alu instid0(VALU_DEP_3) | instskip(NEXT) | instid1(VALU_DEP_1)
	v_lshlrev_b32_e32 v2, 20, v32
	v_and_b32_e32 v2, 0x700000, v2
	s_delay_alu instid0(VALU_DEP_1)
	v_or3_b32 v2, v2, v25, v0
.LBB6_1110:                             ;   in Loop: Header=BB6_356 Depth=4
	s_or_b32 exec_lo, exec_lo, s74
.LBB6_1111:                             ;   in Loop: Header=BB6_356 Depth=4
	s_delay_alu instid0(SALU_CYCLE_1)
	s_or_b32 exec_lo, exec_lo, s73
.LBB6_1112:                             ;   in Loop: Header=BB6_356 Depth=4
	s_delay_alu instid0(SALU_CYCLE_1) | instskip(NEXT) | instid1(VALU_DEP_1)
	s_or_b32 exec_lo, exec_lo, s13
	v_add_f32_e32 v0, v24, v2
                                        ; implicit-def: $vgpr38
	s_mov_b32 s13, exec_lo
	s_delay_alu instid0(VALU_DEP_1) | instskip(SKIP_1) | instid1(VALU_DEP_2)
	v_and_b32_e32 v2, 0x7f800000, v0
	v_lshrrev_b32_e32 v24, 24, v0
	v_cmpx_ne_u64_e32 0x7f800000, v[2:3]
	s_xor_b32 s73, exec_lo, s13
	s_cbranch_execz .LBB6_1126
; %bb.1113:                             ;   in Loop: Header=BB6_356 Depth=4
	v_and_b32_e32 v2, 0x7fffffff, v0
	v_and_b32_e32 v39, 0x80, v24
                                        ; implicit-def: $vgpr38
	s_mov_b32 s13, exec_lo
	s_delay_alu instid0(VALU_DEP_2)
	v_cmpx_gt_u64_e32 0x43e00001, v[2:3]
	s_xor_b32 s74, exec_lo, s13
	s_cbranch_execz .LBB6_1123
; %bb.1114:                             ;   in Loop: Header=BB6_356 Depth=4
	v_mov_b32_e32 v38, 0
	s_mov_b32 s75, exec_lo
	v_cmpx_ne_u32_e32 0, v0
	s_cbranch_execz .LBB6_1122
; %bb.1115:                             ;   in Loop: Header=BB6_356 Depth=4
	v_bfe_u32 v38, v0, 23, 8
	v_and_b32_e32 v2, 0x7fffff, v0
	s_delay_alu instid0(VALU_DEP_2) | instskip(SKIP_2) | instid1(VALU_DEP_4)
	v_cmp_gt_u32_e64 s13, 0x7a, v38
	v_sub_nc_u32_e32 v0, 0x79, v38
	v_cmp_eq_u32_e32 vcc_lo, 0, v38
	v_or_b32_e32 v24, 0x800000, v2
	s_delay_alu instid0(VALU_DEP_1) | instskip(NEXT) | instid1(VALU_DEP_1)
	v_dual_cndmask_b32 v0, 0, v0, s13 :: v_dual_cndmask_b32 v2, v24, v2, vcc_lo
	v_cndmask_b32_e64 v0, v0, 0x78, vcc_lo
	s_delay_alu instid0(VALU_DEP_1) | instskip(NEXT) | instid1(VALU_DEP_1)
	v_dual_add_nc_u32 v24, 20, v0 :: v_dual_add_nc_u32 v32, 19, v0
	v_lshlrev_b64_e64 v[24:25], v24, -1
	s_delay_alu instid0(VALU_DEP_2) | instskip(NEXT) | instid1(VALU_DEP_2)
	v_lshlrev_b64_e64 v[32:33], v32, 1
	v_bfi_b32 v25, v25, 0, 0
	s_delay_alu instid0(VALU_DEP_3) | instskip(NEXT) | instid1(VALU_DEP_1)
	v_bfi_b32 v24, v24, 0, v2
	v_cmp_eq_u64_e64 s13, v[24:25], v[32:33]
	v_lshrrev_b64 v[24:25], v0, v[2:3]
	s_delay_alu instid0(VALU_DEP_1)
	v_mov_b64_e32 v[32:33], v[24:25]
	s_and_saveexec_b32 s76, s13
; %bb.1116:                             ;   in Loop: Header=BB6_356 Depth=4
	v_bfe_u32 v2, v24, 20, 1
	s_delay_alu instid0(VALU_DEP_1) | instskip(NEXT) | instid1(VALU_DEP_1)
	v_add_nc_u64_e32 v[32:33], v[24:25], v[2:3]
	v_add_nc_u64_e32 v[32:33], -1, v[32:33]
; %bb.1117:                             ;   in Loop: Header=BB6_356 Depth=4
	s_or_b32 exec_lo, exec_lo, s76
	v_add_nc_u32_e32 v2, 0xffffff81, v38
	v_lshrrev_b32_e32 v25, 23, v24
	s_mov_b32 s13, exec_lo
	s_delay_alu instid0(VALU_DEP_2) | instskip(NEXT) | instid1(VALU_DEP_1)
	v_cndmask_b32_e64 v2, v2, 0xffffff82, vcc_lo
	v_add3_u32 v33, v0, v2, v25
	v_and_b32_e32 v0, 0xfffff, v32
	s_delay_alu instid0(VALU_DEP_1) | instskip(NEXT) | instid1(VALU_DEP_1)
	v_dual_add_nc_u32 v32, 6, v33 :: v_dual_add_nc_u32 v2, v0, v24
                                        ; implicit-def: $vgpr24_vgpr25
                                        ; implicit-def: $vgpr0
	v_cmpx_ne_u32_e32 0, v32
	s_xor_b32 s13, exec_lo, s13
; %bb.1118:                             ;   in Loop: Header=BB6_356 Depth=4
	s_delay_alu instid0(VALU_DEP_2) | instskip(SKIP_2) | instid1(VALU_DEP_2)
	v_cmp_lt_u64_e32 vcc_lo, 0xffffff, v[2:3]
	v_add_nc_u32_e32 v0, 7, v33
	v_cndmask_b32_e64 v24, 0, 1, vcc_lo
	v_cndmask_b32_e32 v0, v32, v0, vcc_lo
	s_delay_alu instid0(VALU_DEP_2)
	v_lshrrev_b64 v[24:25], v24, v[2:3]
; %bb.1119:                             ;   in Loop: Header=BB6_356 Depth=4
	s_and_not1_saveexec_b32 s13, s13
; %bb.1120:                             ;   in Loop: Header=BB6_356 Depth=4
	v_mov_b64_e32 v[24:25], v[2:3]
	v_bfe_u32 v0, v2, 23, 1
; %bb.1121:                             ;   in Loop: Header=BB6_356 Depth=4
	s_or_b32 exec_lo, exec_lo, s13
	s_delay_alu instid0(VALU_DEP_2) | instskip(NEXT) | instid1(VALU_DEP_2)
	v_lshrrev_b64 v[24:25], 20, v[24:25]
	v_cmp_gt_i32_e32 vcc_lo, 16, v0
	v_min_i32_e32 v2, 15, v0
	v_cmp_eq_u32_e64 s13, 0, v0
	s_delay_alu instid0(VALU_DEP_2) | instskip(SKIP_1) | instid1(VALU_DEP_2)
	v_dual_cndmask_b32 v25, 0, v25 :: v_dual_lshlrev_b32 v2, 3, v2
	v_cndmask_b32_e32 v24, 7, v24, vcc_lo
	v_and_b32_e32 v2, 0xf8, v2
	s_delay_alu instid0(VALU_DEP_2) | instskip(NEXT) | instid1(VALU_DEP_2)
	v_cmp_eq_u64_e32 vcc_lo, 0, v[24:25]
	v_and_or_b32 v0, v24, 7, v2
	s_and_b32 s13, s13, vcc_lo
	s_delay_alu instid0(VALU_DEP_1) | instid1(SALU_CYCLE_1)
	v_cndmask_b32_e64 v0, v0, 0, s13
	s_delay_alu instid0(VALU_DEP_1)
	v_or_b32_e32 v38, v0, v39
.LBB6_1122:                             ;   in Loop: Header=BB6_356 Depth=4
	s_or_b32 exec_lo, exec_lo, s75
                                        ; implicit-def: $vgpr39
.LBB6_1123:                             ;   in Loop: Header=BB6_356 Depth=4
	s_and_not1_saveexec_b32 s13, s74
; %bb.1124:                             ;   in Loop: Header=BB6_356 Depth=4
	v_or_b32_e32 v38, 0x7e, v39
; %bb.1125:                             ;   in Loop: Header=BB6_356 Depth=4
	s_or_b32 exec_lo, exec_lo, s13
                                        ; implicit-def: $vgpr24
.LBB6_1126:                             ;   in Loop: Header=BB6_356 Depth=4
	s_and_not1_saveexec_b32 s13, s73
; %bb.1127:                             ;   in Loop: Header=BB6_356 Depth=4
	v_or_b32_e32 v38, 0x7f, v24
; %bb.1128:                             ;   in Loop: Header=BB6_356 Depth=4
	s_or_b32 exec_lo, exec_lo, s13
	v_lshrrev_b16 v0, 8, v34
	v_dual_mov_b32 v24, 0 :: v_dual_mov_b32 v25, 0
	s_mov_b32 s13, exec_lo
	s_delay_alu instid0(VALU_DEP_2)
	v_cmpx_ne_u16_e32 0, v0
	s_cbranch_execz .LBB6_1136
; %bb.1129:                             ;   in Loop: Header=BB6_356 Depth=4
	v_bfrev_b32_e32 v25, 1
	s_mov_b32 s73, exec_lo
	v_cmpx_ne_u16_e32 0x80, v0
	s_cbranch_execz .LBB6_1135
; %bb.1130:                             ;   in Loop: Header=BB6_356 Depth=4
	v_and_b32_e32 v0, 0xffff, v0
	v_mov_b32_e32 v25, 0x7f800001
	s_mov_b32 s74, exec_lo
	s_delay_alu instid0(VALU_DEP_2) | instskip(NEXT) | instid1(VALU_DEP_1)
	v_and_b32_e32 v32, 0x7f, v0
	v_cmpx_ne_u32_e32 0x7f, v32
	s_cbranch_execz .LBB6_1134
; %bb.1131:                             ;   in Loop: Header=BB6_356 Depth=4
	v_and_b32_e32 v2, 7, v0
	v_lshrrev_b32_e32 v0, 3, v32
	s_mov_b32 s75, exec_lo
	v_cmpx_gt_u32_e32 8, v32
; %bb.1132:                             ;   in Loop: Header=BB6_356 Depth=4
	s_delay_alu instid0(VALU_DEP_3) | instskip(NEXT) | instid1(VALU_DEP_1)
	v_clz_i32_u32_e32 v0, v2
	v_min_u32_e32 v0, 32, v0
	s_delay_alu instid0(VALU_DEP_1) | instskip(SKIP_1) | instid1(VALU_DEP_2)
	v_subrev_nc_u32_e32 v25, 28, v0
	v_sub_nc_u32_e32 v0, 29, v0
	v_lshlrev_b64_e32 v[32:33], v25, v[2:3]
	s_delay_alu instid0(VALU_DEP_1)
	v_and_b32_e32 v2, 7, v32
; %bb.1133:                             ;   in Loop: Header=BB6_356 Depth=4
	s_or_b32 exec_lo, exec_lo, s75
	v_lshlrev_b32_e32 v25, 16, v34
	s_delay_alu instid0(VALU_DEP_2) | instskip(SKIP_1) | instid1(VALU_DEP_3)
	v_lshlrev_b32_e32 v2, 20, v2
	v_lshl_add_u32 v0, v0, 23, 0x3c000000
	v_and_b32_e32 v25, 0x80000000, v25
	s_delay_alu instid0(VALU_DEP_1)
	v_or3_b32 v25, v2, v25, v0
.LBB6_1134:                             ;   in Loop: Header=BB6_356 Depth=4
	s_or_b32 exec_lo, exec_lo, s74
.LBB6_1135:                             ;   in Loop: Header=BB6_356 Depth=4
	s_delay_alu instid0(SALU_CYCLE_1)
	s_or_b32 exec_lo, exec_lo, s73
.LBB6_1136:                             ;   in Loop: Header=BB6_356 Depth=4
	s_delay_alu instid0(SALU_CYCLE_1) | instskip(SKIP_2) | instid1(VALU_DEP_1)
	s_or_b32 exec_lo, exec_lo, s13
	v_lshrrev_b16 v0, 8, v26
	s_mov_b32 s13, exec_lo
	v_cmpx_ne_u16_e32 0, v0
	s_cbranch_execz .LBB6_1144
; %bb.1137:                             ;   in Loop: Header=BB6_356 Depth=4
	v_bfrev_b32_e32 v24, 1
	s_mov_b32 s73, exec_lo
	v_cmpx_ne_u16_e32 0x80, v0
	s_cbranch_execz .LBB6_1143
; %bb.1138:                             ;   in Loop: Header=BB6_356 Depth=4
	v_and_b32_e32 v0, 0xffff, v0
	v_mov_b32_e32 v24, 0x7f800001
	s_mov_b32 s74, exec_lo
	s_delay_alu instid0(VALU_DEP_2) | instskip(NEXT) | instid1(VALU_DEP_1)
	v_and_b32_e32 v32, 0x7f, v0
	v_cmpx_ne_u32_e32 0x7f, v32
	s_cbranch_execz .LBB6_1142
; %bb.1139:                             ;   in Loop: Header=BB6_356 Depth=4
	v_and_b32_e32 v2, 7, v0
	v_lshrrev_b32_e32 v0, 3, v32
	s_mov_b32 s75, exec_lo
	v_cmpx_gt_u32_e32 8, v32
; %bb.1140:                             ;   in Loop: Header=BB6_356 Depth=4
	s_delay_alu instid0(VALU_DEP_3) | instskip(NEXT) | instid1(VALU_DEP_1)
	v_clz_i32_u32_e32 v0, v2
	v_min_u32_e32 v0, 32, v0
	s_delay_alu instid0(VALU_DEP_1) | instskip(SKIP_1) | instid1(VALU_DEP_2)
	v_subrev_nc_u32_e32 v24, 28, v0
	v_sub_nc_u32_e32 v0, 29, v0
	v_lshlrev_b64_e32 v[32:33], v24, v[2:3]
	s_delay_alu instid0(VALU_DEP_1)
	v_and_b32_e32 v2, 7, v32
; %bb.1141:                             ;   in Loop: Header=BB6_356 Depth=4
	s_or_b32 exec_lo, exec_lo, s75
	v_lshlrev_b32_e32 v24, 16, v26
	s_delay_alu instid0(VALU_DEP_2) | instskip(SKIP_1) | instid1(VALU_DEP_3)
	v_lshlrev_b32_e32 v2, 20, v2
	v_lshl_add_u32 v0, v0, 23, 0x3c000000
	v_and_b32_e32 v24, 0x80000000, v24
	s_delay_alu instid0(VALU_DEP_1)
	v_or3_b32 v24, v2, v24, v0
.LBB6_1142:                             ;   in Loop: Header=BB6_356 Depth=4
	s_or_b32 exec_lo, exec_lo, s74
.LBB6_1143:                             ;   in Loop: Header=BB6_356 Depth=4
	s_delay_alu instid0(SALU_CYCLE_1)
	s_or_b32 exec_lo, exec_lo, s73
.LBB6_1144:                             ;   in Loop: Header=BB6_356 Depth=4
	s_delay_alu instid0(SALU_CYCLE_1) | instskip(NEXT) | instid1(VALU_DEP_1)
	s_or_b32 exec_lo, exec_lo, s13
	v_add_f32_e32 v0, v25, v24
                                        ; implicit-def: $vgpr39
	s_mov_b32 s13, exec_lo
	s_delay_alu instid0(VALU_DEP_1) | instskip(SKIP_1) | instid1(VALU_DEP_2)
	v_and_b32_e32 v2, 0x7f800000, v0
	v_lshrrev_b32_e32 v24, 24, v0
	v_cmpx_ne_u64_e32 0x7f800000, v[2:3]
	s_xor_b32 s73, exec_lo, s13
	s_cbranch_execz .LBB6_1158
; %bb.1145:                             ;   in Loop: Header=BB6_356 Depth=4
	v_and_b32_e32 v2, 0x7fffffff, v0
	v_and_b32_e32 v53, 0x80, v24
                                        ; implicit-def: $vgpr39
	s_mov_b32 s13, exec_lo
	s_delay_alu instid0(VALU_DEP_2)
	v_cmpx_gt_u64_e32 0x43e00001, v[2:3]
	s_xor_b32 s74, exec_lo, s13
	s_cbranch_execz .LBB6_1155
; %bb.1146:                             ;   in Loop: Header=BB6_356 Depth=4
	v_mov_b32_e32 v39, 0
	s_mov_b32 s75, exec_lo
	v_cmpx_ne_u32_e32 0, v0
	s_cbranch_execz .LBB6_1154
; %bb.1147:                             ;   in Loop: Header=BB6_356 Depth=4
	v_bfe_u32 v39, v0, 23, 8
	v_and_b32_e32 v2, 0x7fffff, v0
	s_delay_alu instid0(VALU_DEP_2) | instskip(SKIP_2) | instid1(VALU_DEP_4)
	v_cmp_gt_u32_e64 s13, 0x7a, v39
	v_sub_nc_u32_e32 v0, 0x79, v39
	v_cmp_eq_u32_e32 vcc_lo, 0, v39
	v_or_b32_e32 v24, 0x800000, v2
	s_delay_alu instid0(VALU_DEP_1) | instskip(NEXT) | instid1(VALU_DEP_1)
	v_dual_cndmask_b32 v0, 0, v0, s13 :: v_dual_cndmask_b32 v2, v24, v2, vcc_lo
	v_cndmask_b32_e64 v0, v0, 0x78, vcc_lo
	s_delay_alu instid0(VALU_DEP_1) | instskip(NEXT) | instid1(VALU_DEP_1)
	v_dual_add_nc_u32 v24, 20, v0 :: v_dual_add_nc_u32 v32, 19, v0
	v_lshlrev_b64_e64 v[24:25], v24, -1
	s_delay_alu instid0(VALU_DEP_2) | instskip(NEXT) | instid1(VALU_DEP_2)
	v_lshlrev_b64_e64 v[32:33], v32, 1
	v_bfi_b32 v25, v25, 0, 0
	s_delay_alu instid0(VALU_DEP_3) | instskip(NEXT) | instid1(VALU_DEP_1)
	v_bfi_b32 v24, v24, 0, v2
	v_cmp_eq_u64_e64 s13, v[24:25], v[32:33]
	v_lshrrev_b64 v[24:25], v0, v[2:3]
	s_delay_alu instid0(VALU_DEP_1)
	v_mov_b64_e32 v[32:33], v[24:25]
	s_and_saveexec_b32 s76, s13
; %bb.1148:                             ;   in Loop: Header=BB6_356 Depth=4
	v_bfe_u32 v2, v24, 20, 1
	s_delay_alu instid0(VALU_DEP_1) | instskip(NEXT) | instid1(VALU_DEP_1)
	v_add_nc_u64_e32 v[32:33], v[24:25], v[2:3]
	v_add_nc_u64_e32 v[32:33], -1, v[32:33]
; %bb.1149:                             ;   in Loop: Header=BB6_356 Depth=4
	s_or_b32 exec_lo, exec_lo, s76
	v_add_nc_u32_e32 v2, 0xffffff81, v39
	v_lshrrev_b32_e32 v25, 23, v24
	s_mov_b32 s13, exec_lo
	s_delay_alu instid0(VALU_DEP_2) | instskip(NEXT) | instid1(VALU_DEP_1)
	v_cndmask_b32_e64 v2, v2, 0xffffff82, vcc_lo
	v_add3_u32 v33, v0, v2, v25
	v_and_b32_e32 v0, 0xfffff, v32
	s_delay_alu instid0(VALU_DEP_1) | instskip(NEXT) | instid1(VALU_DEP_1)
	v_dual_add_nc_u32 v32, 6, v33 :: v_dual_add_nc_u32 v2, v0, v24
                                        ; implicit-def: $vgpr24_vgpr25
                                        ; implicit-def: $vgpr0
	v_cmpx_ne_u32_e32 0, v32
	s_xor_b32 s13, exec_lo, s13
; %bb.1150:                             ;   in Loop: Header=BB6_356 Depth=4
	s_delay_alu instid0(VALU_DEP_2) | instskip(SKIP_2) | instid1(VALU_DEP_2)
	v_cmp_lt_u64_e32 vcc_lo, 0xffffff, v[2:3]
	v_add_nc_u32_e32 v0, 7, v33
	v_cndmask_b32_e64 v24, 0, 1, vcc_lo
	v_cndmask_b32_e32 v0, v32, v0, vcc_lo
	s_delay_alu instid0(VALU_DEP_2)
	v_lshrrev_b64 v[24:25], v24, v[2:3]
; %bb.1151:                             ;   in Loop: Header=BB6_356 Depth=4
	s_and_not1_saveexec_b32 s13, s13
; %bb.1152:                             ;   in Loop: Header=BB6_356 Depth=4
	v_mov_b64_e32 v[24:25], v[2:3]
	v_bfe_u32 v0, v2, 23, 1
; %bb.1153:                             ;   in Loop: Header=BB6_356 Depth=4
	s_or_b32 exec_lo, exec_lo, s13
	s_delay_alu instid0(VALU_DEP_2) | instskip(NEXT) | instid1(VALU_DEP_2)
	v_lshrrev_b64 v[24:25], 20, v[24:25]
	v_cmp_gt_i32_e32 vcc_lo, 16, v0
	v_min_i32_e32 v2, 15, v0
	v_cmp_eq_u32_e64 s13, 0, v0
	s_delay_alu instid0(VALU_DEP_2) | instskip(SKIP_1) | instid1(VALU_DEP_2)
	v_dual_cndmask_b32 v25, 0, v25 :: v_dual_lshlrev_b32 v2, 3, v2
	v_cndmask_b32_e32 v24, 7, v24, vcc_lo
	v_and_b32_e32 v2, 0xf8, v2
	s_delay_alu instid0(VALU_DEP_2) | instskip(NEXT) | instid1(VALU_DEP_2)
	v_cmp_eq_u64_e32 vcc_lo, 0, v[24:25]
	v_and_or_b32 v0, v24, 7, v2
	s_and_b32 s13, s13, vcc_lo
	s_delay_alu instid0(VALU_DEP_1) | instid1(SALU_CYCLE_1)
	v_cndmask_b32_e64 v0, v0, 0, s13
	s_delay_alu instid0(VALU_DEP_1)
	v_or_b32_e32 v39, v0, v53
.LBB6_1154:                             ;   in Loop: Header=BB6_356 Depth=4
	s_or_b32 exec_lo, exec_lo, s75
                                        ; implicit-def: $vgpr53
.LBB6_1155:                             ;   in Loop: Header=BB6_356 Depth=4
	s_and_not1_saveexec_b32 s13, s74
; %bb.1156:                             ;   in Loop: Header=BB6_356 Depth=4
	v_or_b32_e32 v39, 0x7e, v53
; %bb.1157:                             ;   in Loop: Header=BB6_356 Depth=4
	s_or_b32 exec_lo, exec_lo, s13
                                        ; implicit-def: $vgpr24
.LBB6_1158:                             ;   in Loop: Header=BB6_356 Depth=4
	s_and_not1_saveexec_b32 s13, s73
; %bb.1159:                             ;   in Loop: Header=BB6_356 Depth=4
	v_or_b32_e32 v39, 0x7f, v24
; %bb.1160:                             ;   in Loop: Header=BB6_356 Depth=4
	s_or_b32 exec_lo, exec_lo, s13
	v_dual_lshrrev_b32 v0, 16, v34 :: v_dual_mov_b32 v24, 0
	v_mov_b32_e32 v25, 0
	s_mov_b32 s13, exec_lo
	s_delay_alu instid0(VALU_DEP_2) | instskip(NEXT) | instid1(VALU_DEP_1)
	v_and_b32_e32 v2, 0xff, v0
	v_cmpx_ne_u16_e32 0, v2
	s_cbranch_execz .LBB6_1168
; %bb.1161:                             ;   in Loop: Header=BB6_356 Depth=4
	v_bfrev_b32_e32 v25, 1
	s_mov_b32 s73, exec_lo
	v_cmpx_ne_u16_e32 0x80, v2
	s_cbranch_execz .LBB6_1167
; %bb.1162:                             ;   in Loop: Header=BB6_356 Depth=4
	v_bfe_u32 v32, v34, 16, 7
	v_mov_b32_e32 v25, 0x7f800001
	s_mov_b32 s74, exec_lo
	s_delay_alu instid0(VALU_DEP_2)
	v_cmpx_ne_u32_e32 0x7f, v32
	s_cbranch_execz .LBB6_1166
; %bb.1163:                             ;   in Loop: Header=BB6_356 Depth=4
	v_and_b32_e32 v2, 7, v0
	v_lshrrev_b32_e32 v25, 3, v32
	s_mov_b32 s75, exec_lo
	v_cmpx_gt_u32_e32 8, v32
; %bb.1164:                             ;   in Loop: Header=BB6_356 Depth=4
	s_delay_alu instid0(VALU_DEP_3) | instskip(NEXT) | instid1(VALU_DEP_1)
	v_clz_i32_u32_e32 v25, v2
	v_min_u32_e32 v25, 32, v25
	s_delay_alu instid0(VALU_DEP_1) | instskip(NEXT) | instid1(VALU_DEP_1)
	v_subrev_nc_u32_e32 v32, 28, v25
	v_lshlrev_b64_e32 v[32:33], v32, v[2:3]
	s_delay_alu instid0(VALU_DEP_1)
	v_dual_sub_nc_u32 v25, 29, v25 :: v_dual_bitop2_b32 v2, 7, v32 bitop3:0x40
; %bb.1165:                             ;   in Loop: Header=BB6_356 Depth=4
	s_or_b32 exec_lo, exec_lo, s75
	s_delay_alu instid0(VALU_DEP_1) | instskip(NEXT) | instid1(VALU_DEP_2)
	v_dual_lshlrev_b32 v0, 24, v0 :: v_dual_lshlrev_b32 v2, 20, v2
	v_lshl_add_u32 v25, v25, 23, 0x3c000000
	s_delay_alu instid0(VALU_DEP_2) | instskip(NEXT) | instid1(VALU_DEP_1)
	v_and_b32_e32 v0, 0x80000000, v0
	v_or3_b32 v25, v2, v0, v25
.LBB6_1166:                             ;   in Loop: Header=BB6_356 Depth=4
	s_or_b32 exec_lo, exec_lo, s74
.LBB6_1167:                             ;   in Loop: Header=BB6_356 Depth=4
	s_delay_alu instid0(SALU_CYCLE_1)
	s_or_b32 exec_lo, exec_lo, s73
.LBB6_1168:                             ;   in Loop: Header=BB6_356 Depth=4
	s_delay_alu instid0(SALU_CYCLE_1) | instskip(SKIP_2) | instid1(VALU_DEP_1)
	s_or_b32 exec_lo, exec_lo, s13
	v_lshrrev_b32_e32 v0, 16, v26
	s_mov_b32 s13, exec_lo
	v_and_b32_e32 v2, 0xff, v0
	s_delay_alu instid0(VALU_DEP_1)
	v_cmpx_ne_u16_e32 0, v2
	s_cbranch_execz .LBB6_1176
; %bb.1169:                             ;   in Loop: Header=BB6_356 Depth=4
	v_bfrev_b32_e32 v24, 1
	s_mov_b32 s73, exec_lo
	v_cmpx_ne_u16_e32 0x80, v2
	s_cbranch_execz .LBB6_1175
; %bb.1170:                             ;   in Loop: Header=BB6_356 Depth=4
	v_bfe_u32 v32, v26, 16, 7
	v_mov_b32_e32 v24, 0x7f800001
	s_mov_b32 s74, exec_lo
	s_delay_alu instid0(VALU_DEP_2)
	v_cmpx_ne_u32_e32 0x7f, v32
	s_cbranch_execz .LBB6_1174
; %bb.1171:                             ;   in Loop: Header=BB6_356 Depth=4
	v_and_b32_e32 v2, 7, v0
	v_lshrrev_b32_e32 v0, 3, v32
	s_mov_b32 s75, exec_lo
	v_cmpx_gt_u32_e32 8, v32
; %bb.1172:                             ;   in Loop: Header=BB6_356 Depth=4
	s_delay_alu instid0(VALU_DEP_3) | instskip(NEXT) | instid1(VALU_DEP_1)
	v_clz_i32_u32_e32 v0, v2
	v_min_u32_e32 v0, 32, v0
	s_delay_alu instid0(VALU_DEP_1) | instskip(SKIP_1) | instid1(VALU_DEP_2)
	v_subrev_nc_u32_e32 v24, 28, v0
	v_sub_nc_u32_e32 v0, 29, v0
	v_lshlrev_b64_e32 v[32:33], v24, v[2:3]
	s_delay_alu instid0(VALU_DEP_1)
	v_and_b32_e32 v2, 7, v32
; %bb.1173:                             ;   in Loop: Header=BB6_356 Depth=4
	s_or_b32 exec_lo, exec_lo, s75
	v_lshlrev_b32_e32 v24, 8, v26
	s_delay_alu instid0(VALU_DEP_2) | instskip(SKIP_1) | instid1(VALU_DEP_3)
	v_lshlrev_b32_e32 v2, 20, v2
	v_lshl_add_u32 v0, v0, 23, 0x3c000000
	v_and_b32_e32 v24, 0x80000000, v24
	s_delay_alu instid0(VALU_DEP_1)
	v_or3_b32 v24, v2, v24, v0
.LBB6_1174:                             ;   in Loop: Header=BB6_356 Depth=4
	s_or_b32 exec_lo, exec_lo, s74
.LBB6_1175:                             ;   in Loop: Header=BB6_356 Depth=4
	s_delay_alu instid0(SALU_CYCLE_1)
	s_or_b32 exec_lo, exec_lo, s73
.LBB6_1176:                             ;   in Loop: Header=BB6_356 Depth=4
	s_delay_alu instid0(SALU_CYCLE_1) | instskip(NEXT) | instid1(VALU_DEP_1)
	s_or_b32 exec_lo, exec_lo, s13
	v_add_f32_e32 v0, v25, v24
                                        ; implicit-def: $vgpr120
	s_mov_b32 s13, exec_lo
	s_delay_alu instid0(VALU_DEP_1) | instskip(SKIP_1) | instid1(VALU_DEP_2)
	v_and_b32_e32 v2, 0x7f800000, v0
	v_lshrrev_b32_e32 v24, 24, v0
	v_cmpx_ne_u64_e32 0x7f800000, v[2:3]
	s_xor_b32 s73, exec_lo, s13
	s_cbranch_execz .LBB6_1190
; %bb.1177:                             ;   in Loop: Header=BB6_356 Depth=4
	v_and_b32_e32 v2, 0x7fffffff, v0
	v_and_b32_e32 v53, 0x80, v24
                                        ; implicit-def: $vgpr120
	s_mov_b32 s13, exec_lo
	s_delay_alu instid0(VALU_DEP_2)
	v_cmpx_gt_u64_e32 0x43e00001, v[2:3]
	s_xor_b32 s74, exec_lo, s13
	s_cbranch_execz .LBB6_1187
; %bb.1178:                             ;   in Loop: Header=BB6_356 Depth=4
	v_mov_b32_e32 v120, 0
	s_mov_b32 s75, exec_lo
	v_cmpx_ne_u32_e32 0, v0
	s_cbranch_execz .LBB6_1186
; %bb.1179:                             ;   in Loop: Header=BB6_356 Depth=4
	v_bfe_u32 v66, v0, 23, 8
	v_and_b32_e32 v2, 0x7fffff, v0
	s_delay_alu instid0(VALU_DEP_2) | instskip(SKIP_2) | instid1(VALU_DEP_4)
	v_cmp_gt_u32_e64 s13, 0x7a, v66
	v_sub_nc_u32_e32 v0, 0x79, v66
	v_cmp_eq_u32_e32 vcc_lo, 0, v66
	v_or_b32_e32 v24, 0x800000, v2
	s_delay_alu instid0(VALU_DEP_1) | instskip(NEXT) | instid1(VALU_DEP_1)
	v_dual_cndmask_b32 v0, 0, v0, s13 :: v_dual_cndmask_b32 v2, v24, v2, vcc_lo
	v_cndmask_b32_e64 v0, v0, 0x78, vcc_lo
	s_delay_alu instid0(VALU_DEP_1) | instskip(NEXT) | instid1(VALU_DEP_1)
	v_dual_add_nc_u32 v24, 20, v0 :: v_dual_add_nc_u32 v32, 19, v0
	v_lshlrev_b64_e64 v[24:25], v24, -1
	s_delay_alu instid0(VALU_DEP_2) | instskip(NEXT) | instid1(VALU_DEP_2)
	v_lshlrev_b64_e64 v[32:33], v32, 1
	v_bfi_b32 v25, v25, 0, 0
	s_delay_alu instid0(VALU_DEP_3) | instskip(NEXT) | instid1(VALU_DEP_1)
	v_bfi_b32 v24, v24, 0, v2
	v_cmp_eq_u64_e64 s13, v[24:25], v[32:33]
	v_lshrrev_b64 v[24:25], v0, v[2:3]
	s_delay_alu instid0(VALU_DEP_1)
	v_mov_b64_e32 v[32:33], v[24:25]
	s_and_saveexec_b32 s76, s13
; %bb.1180:                             ;   in Loop: Header=BB6_356 Depth=4
	v_bfe_u32 v2, v24, 20, 1
	s_delay_alu instid0(VALU_DEP_1) | instskip(NEXT) | instid1(VALU_DEP_1)
	v_add_nc_u64_e32 v[32:33], v[24:25], v[2:3]
	v_add_nc_u64_e32 v[32:33], -1, v[32:33]
; %bb.1181:                             ;   in Loop: Header=BB6_356 Depth=4
	s_or_b32 exec_lo, exec_lo, s76
	v_add_nc_u32_e32 v2, 0xffffff81, v66
	v_lshrrev_b32_e32 v25, 23, v24
	s_mov_b32 s13, exec_lo
	s_delay_alu instid0(VALU_DEP_2) | instskip(NEXT) | instid1(VALU_DEP_1)
	v_cndmask_b32_e64 v2, v2, 0xffffff82, vcc_lo
	v_add3_u32 v33, v0, v2, v25
	v_and_b32_e32 v0, 0xfffff, v32
	s_delay_alu instid0(VALU_DEP_1) | instskip(NEXT) | instid1(VALU_DEP_1)
	v_dual_add_nc_u32 v32, 6, v33 :: v_dual_add_nc_u32 v2, v0, v24
                                        ; implicit-def: $vgpr24_vgpr25
                                        ; implicit-def: $vgpr0
	v_cmpx_ne_u32_e32 0, v32
	s_xor_b32 s13, exec_lo, s13
; %bb.1182:                             ;   in Loop: Header=BB6_356 Depth=4
	s_delay_alu instid0(VALU_DEP_2) | instskip(SKIP_2) | instid1(VALU_DEP_2)
	v_cmp_lt_u64_e32 vcc_lo, 0xffffff, v[2:3]
	v_add_nc_u32_e32 v0, 7, v33
	v_cndmask_b32_e64 v24, 0, 1, vcc_lo
	v_cndmask_b32_e32 v0, v32, v0, vcc_lo
	s_delay_alu instid0(VALU_DEP_2)
	v_lshrrev_b64 v[24:25], v24, v[2:3]
; %bb.1183:                             ;   in Loop: Header=BB6_356 Depth=4
	s_and_not1_saveexec_b32 s13, s13
; %bb.1184:                             ;   in Loop: Header=BB6_356 Depth=4
	v_mov_b64_e32 v[24:25], v[2:3]
	v_bfe_u32 v0, v2, 23, 1
; %bb.1185:                             ;   in Loop: Header=BB6_356 Depth=4
	s_or_b32 exec_lo, exec_lo, s13
	s_delay_alu instid0(VALU_DEP_2) | instskip(NEXT) | instid1(VALU_DEP_2)
	v_lshrrev_b64 v[24:25], 20, v[24:25]
	v_cmp_gt_i32_e32 vcc_lo, 16, v0
	v_min_i32_e32 v2, 15, v0
	v_cmp_eq_u32_e64 s13, 0, v0
	s_delay_alu instid0(VALU_DEP_2) | instskip(SKIP_1) | instid1(VALU_DEP_2)
	v_dual_cndmask_b32 v25, 0, v25 :: v_dual_lshlrev_b32 v2, 3, v2
	v_cndmask_b32_e32 v24, 7, v24, vcc_lo
	v_and_b32_e32 v2, 0xf8, v2
	s_delay_alu instid0(VALU_DEP_2) | instskip(NEXT) | instid1(VALU_DEP_2)
	v_cmp_eq_u64_e32 vcc_lo, 0, v[24:25]
	v_and_or_b32 v0, v24, 7, v2
	s_and_b32 s13, s13, vcc_lo
	s_delay_alu instid0(VALU_DEP_1) | instid1(SALU_CYCLE_1)
	v_cndmask_b32_e64 v0, v0, 0, s13
	s_delay_alu instid0(VALU_DEP_1)
	v_or_b32_e32 v120, v0, v53
.LBB6_1186:                             ;   in Loop: Header=BB6_356 Depth=4
	s_or_b32 exec_lo, exec_lo, s75
                                        ; implicit-def: $vgpr53
.LBB6_1187:                             ;   in Loop: Header=BB6_356 Depth=4
	s_and_not1_saveexec_b32 s13, s74
; %bb.1188:                             ;   in Loop: Header=BB6_356 Depth=4
	v_or_b32_e32 v120, 0x7e, v53
; %bb.1189:                             ;   in Loop: Header=BB6_356 Depth=4
	s_or_b32 exec_lo, exec_lo, s13
                                        ; implicit-def: $vgpr24
.LBB6_1190:                             ;   in Loop: Header=BB6_356 Depth=4
	s_and_not1_saveexec_b32 s13, s73
; %bb.1191:                             ;   in Loop: Header=BB6_356 Depth=4
	v_or_b32_e32 v120, 0x7f, v24
; %bb.1192:                             ;   in Loop: Header=BB6_356 Depth=4
	s_or_b32 exec_lo, exec_lo, s13
	v_dual_mov_b32 v24, 0 :: v_dual_mov_b32 v25, 0
	s_mov_b32 s13, exec_lo
	v_cmpx_lt_u32_e32 0xffffff, v34
	s_cbranch_execz .LBB6_1200
; %bb.1193:                             ;   in Loop: Header=BB6_356 Depth=4
	v_lshrrev_b32_e32 v0, 24, v34
	v_bfrev_b32_e32 v25, 1
	s_mov_b32 s73, exec_lo
	s_delay_alu instid0(VALU_DEP_2)
	v_cmpx_ne_u32_e32 0x80, v0
	s_cbranch_execz .LBB6_1199
; %bb.1194:                             ;   in Loop: Header=BB6_356 Depth=4
	v_bfe_u32 v32, v34, 24, 7
	v_mov_b32_e32 v25, 0x7f800001
	s_mov_b32 s74, exec_lo
	s_delay_alu instid0(VALU_DEP_2)
	v_cmpx_ne_u32_e32 0x7f, v32
	s_cbranch_execz .LBB6_1198
; %bb.1195:                             ;   in Loop: Header=BB6_356 Depth=4
	v_and_b32_e32 v2, 7, v0
	v_lshrrev_b32_e32 v25, 3, v32
	s_mov_b32 s75, exec_lo
	v_cmpx_gt_u32_e32 8, v32
; %bb.1196:                             ;   in Loop: Header=BB6_356 Depth=4
	s_delay_alu instid0(VALU_DEP_3) | instskip(NEXT) | instid1(VALU_DEP_1)
	v_clz_i32_u32_e32 v25, v2
	v_min_u32_e32 v25, 32, v25
	s_delay_alu instid0(VALU_DEP_1) | instskip(NEXT) | instid1(VALU_DEP_1)
	v_subrev_nc_u32_e32 v32, 28, v25
	v_lshlrev_b64_e32 v[32:33], v32, v[2:3]
	s_delay_alu instid0(VALU_DEP_1)
	v_dual_sub_nc_u32 v25, 29, v25 :: v_dual_bitop2_b32 v2, 7, v32 bitop3:0x40
; %bb.1197:                             ;   in Loop: Header=BB6_356 Depth=4
	s_or_b32 exec_lo, exec_lo, s75
	s_delay_alu instid0(VALU_DEP_1) | instskip(NEXT) | instid1(VALU_DEP_2)
	v_dual_lshlrev_b32 v0, 24, v0 :: v_dual_lshlrev_b32 v2, 20, v2
	v_lshl_add_u32 v25, v25, 23, 0x3c000000
	s_delay_alu instid0(VALU_DEP_2) | instskip(NEXT) | instid1(VALU_DEP_1)
	v_and_b32_e32 v0, 0x80000000, v0
	v_or3_b32 v25, v2, v0, v25
.LBB6_1198:                             ;   in Loop: Header=BB6_356 Depth=4
	s_or_b32 exec_lo, exec_lo, s74
.LBB6_1199:                             ;   in Loop: Header=BB6_356 Depth=4
	s_delay_alu instid0(SALU_CYCLE_1)
	s_or_b32 exec_lo, exec_lo, s73
.LBB6_1200:                             ;   in Loop: Header=BB6_356 Depth=4
	s_delay_alu instid0(SALU_CYCLE_1) | instskip(NEXT) | instid1(SALU_CYCLE_1)
	s_or_b32 exec_lo, exec_lo, s13
	s_mov_b32 s13, exec_lo
	v_cmpx_lt_u32_e32 0xffffff, v26
	s_cbranch_execz .LBB6_1208
; %bb.1201:                             ;   in Loop: Header=BB6_356 Depth=4
	v_lshrrev_b32_e32 v0, 24, v26
	v_bfrev_b32_e32 v24, 1
	s_mov_b32 s73, exec_lo
	s_delay_alu instid0(VALU_DEP_2)
	v_cmpx_ne_u32_e32 0x80, v0
	s_cbranch_execz .LBB6_1207
; %bb.1202:                             ;   in Loop: Header=BB6_356 Depth=4
	v_bfe_u32 v32, v26, 24, 7
	v_mov_b32_e32 v24, 0x7f800001
	s_mov_b32 s74, exec_lo
	s_delay_alu instid0(VALU_DEP_2)
	v_cmpx_ne_u32_e32 0x7f, v32
	s_cbranch_execz .LBB6_1206
; %bb.1203:                             ;   in Loop: Header=BB6_356 Depth=4
	v_and_b32_e32 v2, 7, v0
	v_lshrrev_b32_e32 v24, 3, v32
	s_mov_b32 s75, exec_lo
	v_cmpx_gt_u32_e32 8, v32
; %bb.1204:                             ;   in Loop: Header=BB6_356 Depth=4
	s_delay_alu instid0(VALU_DEP_3) | instskip(NEXT) | instid1(VALU_DEP_1)
	v_clz_i32_u32_e32 v24, v2
	v_min_u32_e32 v24, 32, v24
	s_delay_alu instid0(VALU_DEP_1) | instskip(SKIP_1) | instid1(VALU_DEP_2)
	v_subrev_nc_u32_e32 v32, 28, v24
	v_sub_nc_u32_e32 v24, 29, v24
	v_lshlrev_b64_e32 v[32:33], v32, v[2:3]
	s_delay_alu instid0(VALU_DEP_1)
	v_and_b32_e32 v2, 7, v32
; %bb.1205:                             ;   in Loop: Header=BB6_356 Depth=4
	s_or_b32 exec_lo, exec_lo, s75
	s_delay_alu instid0(VALU_DEP_1) | instskip(SKIP_1) | instid1(VALU_DEP_2)
	v_dual_lshlrev_b32 v0, 24, v0 :: v_dual_lshlrev_b32 v2, 20, v2
	v_lshl_add_u32 v24, v24, 23, 0x3c000000
	v_and_b32_e32 v0, 0x80000000, v0
	s_delay_alu instid0(VALU_DEP_1)
	v_or3_b32 v24, v2, v0, v24
.LBB6_1206:                             ;   in Loop: Header=BB6_356 Depth=4
	s_or_b32 exec_lo, exec_lo, s74
.LBB6_1207:                             ;   in Loop: Header=BB6_356 Depth=4
	s_delay_alu instid0(SALU_CYCLE_1)
	s_or_b32 exec_lo, exec_lo, s73
.LBB6_1208:                             ;   in Loop: Header=BB6_356 Depth=4
	s_delay_alu instid0(SALU_CYCLE_1) | instskip(NEXT) | instid1(VALU_DEP_1)
	s_or_b32 exec_lo, exec_lo, s13
	v_add_f32_e32 v0, v25, v24
                                        ; implicit-def: $vgpr121
	s_mov_b32 s13, exec_lo
	s_delay_alu instid0(VALU_DEP_1) | instskip(SKIP_1) | instid1(VALU_DEP_2)
	v_and_b32_e32 v2, 0x7f800000, v0
	v_lshrrev_b32_e32 v24, 24, v0
	v_cmpx_ne_u64_e32 0x7f800000, v[2:3]
	s_xor_b32 s73, exec_lo, s13
	s_cbranch_execz .LBB6_1222
; %bb.1209:                             ;   in Loop: Header=BB6_356 Depth=4
	v_and_b32_e32 v2, 0x7fffffff, v0
	v_and_b32_e32 v53, 0x80, v24
                                        ; implicit-def: $vgpr121
	s_mov_b32 s13, exec_lo
	s_delay_alu instid0(VALU_DEP_2)
	v_cmpx_gt_u64_e32 0x43e00001, v[2:3]
	s_xor_b32 s74, exec_lo, s13
	s_cbranch_execz .LBB6_1219
; %bb.1210:                             ;   in Loop: Header=BB6_356 Depth=4
	v_mov_b32_e32 v121, 0
	s_mov_b32 s75, exec_lo
	v_cmpx_ne_u32_e32 0, v0
	s_cbranch_execz .LBB6_1218
; %bb.1211:                             ;   in Loop: Header=BB6_356 Depth=4
	v_bfe_u32 v66, v0, 23, 8
	v_and_b32_e32 v2, 0x7fffff, v0
	s_delay_alu instid0(VALU_DEP_2) | instskip(SKIP_2) | instid1(VALU_DEP_4)
	v_cmp_gt_u32_e64 s13, 0x7a, v66
	v_sub_nc_u32_e32 v0, 0x79, v66
	v_cmp_eq_u32_e32 vcc_lo, 0, v66
	v_or_b32_e32 v24, 0x800000, v2
	s_delay_alu instid0(VALU_DEP_1) | instskip(NEXT) | instid1(VALU_DEP_1)
	v_dual_cndmask_b32 v0, 0, v0, s13 :: v_dual_cndmask_b32 v2, v24, v2, vcc_lo
	v_cndmask_b32_e64 v0, v0, 0x78, vcc_lo
	s_delay_alu instid0(VALU_DEP_1) | instskip(NEXT) | instid1(VALU_DEP_1)
	v_dual_add_nc_u32 v24, 20, v0 :: v_dual_add_nc_u32 v32, 19, v0
	v_lshlrev_b64_e64 v[24:25], v24, -1
	s_delay_alu instid0(VALU_DEP_2) | instskip(NEXT) | instid1(VALU_DEP_2)
	v_lshlrev_b64_e64 v[32:33], v32, 1
	v_bfi_b32 v25, v25, 0, 0
	s_delay_alu instid0(VALU_DEP_3) | instskip(NEXT) | instid1(VALU_DEP_1)
	v_bfi_b32 v24, v24, 0, v2
	v_cmp_eq_u64_e64 s13, v[24:25], v[32:33]
	v_lshrrev_b64 v[24:25], v0, v[2:3]
	s_delay_alu instid0(VALU_DEP_1)
	v_mov_b64_e32 v[32:33], v[24:25]
	s_and_saveexec_b32 s76, s13
; %bb.1212:                             ;   in Loop: Header=BB6_356 Depth=4
	v_bfe_u32 v2, v24, 20, 1
	s_delay_alu instid0(VALU_DEP_1) | instskip(NEXT) | instid1(VALU_DEP_1)
	v_add_nc_u64_e32 v[32:33], v[24:25], v[2:3]
	v_add_nc_u64_e32 v[32:33], -1, v[32:33]
; %bb.1213:                             ;   in Loop: Header=BB6_356 Depth=4
	s_or_b32 exec_lo, exec_lo, s76
	v_add_nc_u32_e32 v2, 0xffffff81, v66
	v_lshrrev_b32_e32 v25, 23, v24
	s_mov_b32 s13, exec_lo
	s_delay_alu instid0(VALU_DEP_2) | instskip(NEXT) | instid1(VALU_DEP_1)
	v_cndmask_b32_e64 v2, v2, 0xffffff82, vcc_lo
	v_add3_u32 v33, v0, v2, v25
	v_and_b32_e32 v0, 0xfffff, v32
	s_delay_alu instid0(VALU_DEP_1) | instskip(NEXT) | instid1(VALU_DEP_1)
	v_dual_add_nc_u32 v32, 6, v33 :: v_dual_add_nc_u32 v2, v0, v24
                                        ; implicit-def: $vgpr24_vgpr25
                                        ; implicit-def: $vgpr0
	v_cmpx_ne_u32_e32 0, v32
	s_xor_b32 s13, exec_lo, s13
; %bb.1214:                             ;   in Loop: Header=BB6_356 Depth=4
	s_delay_alu instid0(VALU_DEP_2) | instskip(SKIP_2) | instid1(VALU_DEP_2)
	v_cmp_lt_u64_e32 vcc_lo, 0xffffff, v[2:3]
	v_add_nc_u32_e32 v0, 7, v33
	v_cndmask_b32_e64 v24, 0, 1, vcc_lo
	v_cndmask_b32_e32 v0, v32, v0, vcc_lo
	s_delay_alu instid0(VALU_DEP_2)
	v_lshrrev_b64 v[24:25], v24, v[2:3]
; %bb.1215:                             ;   in Loop: Header=BB6_356 Depth=4
	s_and_not1_saveexec_b32 s13, s13
; %bb.1216:                             ;   in Loop: Header=BB6_356 Depth=4
	v_mov_b64_e32 v[24:25], v[2:3]
	v_bfe_u32 v0, v2, 23, 1
; %bb.1217:                             ;   in Loop: Header=BB6_356 Depth=4
	s_or_b32 exec_lo, exec_lo, s13
	s_delay_alu instid0(VALU_DEP_2) | instskip(NEXT) | instid1(VALU_DEP_2)
	v_lshrrev_b64 v[24:25], 20, v[24:25]
	v_cmp_gt_i32_e32 vcc_lo, 16, v0
	v_min_i32_e32 v2, 15, v0
	v_cmp_eq_u32_e64 s13, 0, v0
	s_delay_alu instid0(VALU_DEP_2) | instskip(SKIP_1) | instid1(VALU_DEP_2)
	v_dual_cndmask_b32 v25, 0, v25 :: v_dual_lshlrev_b32 v2, 3, v2
	v_cndmask_b32_e32 v24, 7, v24, vcc_lo
	v_and_b32_e32 v2, 0xf8, v2
	s_delay_alu instid0(VALU_DEP_2) | instskip(NEXT) | instid1(VALU_DEP_2)
	v_cmp_eq_u64_e32 vcc_lo, 0, v[24:25]
	v_and_or_b32 v0, v24, 7, v2
	s_and_b32 s13, s13, vcc_lo
	s_delay_alu instid0(VALU_DEP_1) | instid1(SALU_CYCLE_1)
	v_cndmask_b32_e64 v0, v0, 0, s13
	s_delay_alu instid0(VALU_DEP_1)
	v_or_b32_e32 v121, v0, v53
.LBB6_1218:                             ;   in Loop: Header=BB6_356 Depth=4
	s_or_b32 exec_lo, exec_lo, s75
                                        ; implicit-def: $vgpr53
.LBB6_1219:                             ;   in Loop: Header=BB6_356 Depth=4
	s_and_not1_saveexec_b32 s13, s74
; %bb.1220:                             ;   in Loop: Header=BB6_356 Depth=4
	v_or_b32_e32 v121, 0x7e, v53
; %bb.1221:                             ;   in Loop: Header=BB6_356 Depth=4
	s_or_b32 exec_lo, exec_lo, s13
                                        ; implicit-def: $vgpr24
.LBB6_1222:                             ;   in Loop: Header=BB6_356 Depth=4
	s_and_not1_saveexec_b32 s13, s73
; %bb.1223:                             ;   in Loop: Header=BB6_356 Depth=4
	v_or_b32_e32 v121, 0x7f, v24
; %bb.1224:                             ;   in Loop: Header=BB6_356 Depth=4
	s_or_b32 exec_lo, exec_lo, s13
	v_and_b32_e32 v0, 0xff, v35
	v_dual_mov_b32 v2, v35 :: v_dual_mov_b32 v24, 0
	v_mov_b32_e32 v25, 0
	s_mov_b32 s13, exec_lo
	s_delay_alu instid0(VALU_DEP_3)
	v_cmpx_ne_u16_e32 0, v0
	s_cbranch_execz .LBB6_1230
; %bb.1225:                             ;   in Loop: Header=BB6_356 Depth=4
	v_bfrev_b32_e32 v25, 1
	s_mov_b32 s73, exec_lo
	v_cmpx_ne_u16_e32 0x80, v0
	s_cbranch_execz .LBB6_1229
; %bb.1226:                             ;   in Loop: Header=BB6_356 Depth=4
	v_and_b32_e32 v0, 0x7f, v35
	v_mov_b32_e32 v25, 0x7f800001
	s_mov_b32 s74, exec_lo
	s_delay_alu instid0(VALU_DEP_2)
	v_cmpx_ne_u32_e32 0x7f, v0
	s_cbranch_execz .LBB6_1228
; %bb.1227:                             ;   in Loop: Header=BB6_356 Depth=4
	v_dual_lshrrev_b32 v32, 3, v0 :: v_dual_bitop2_b32 v25, 7, v35 bitop3:0x40
	v_cmp_gt_u32_e32 vcc_lo, 8, v0
	s_delay_alu instid0(VALU_DEP_2) | instskip(NEXT) | instid1(VALU_DEP_1)
	v_clz_i32_u32_e32 v0, v25
	v_min_u32_e32 v0, 32, v0
	s_delay_alu instid0(VALU_DEP_1) | instskip(NEXT) | instid1(VALU_DEP_1)
	v_subrev_nc_u32_e32 v25, 28, v0
	v_dual_cndmask_b32 v25, 0, v25 :: v_dual_sub_nc_u32 v0, 29, v0
	s_delay_alu instid0(VALU_DEP_1) | instskip(NEXT) | instid1(VALU_DEP_2)
	v_cndmask_b32_e32 v0, v32, v0, vcc_lo
	v_lshlrev_b64_e32 v[32:33], v25, v[2:3]
	s_delay_alu instid0(VALU_DEP_1) | instskip(NEXT) | instid1(VALU_DEP_3)
	v_dual_lshlrev_b32 v25, 20, v32 :: v_dual_lshlrev_b32 v32, 24, v2
	v_lshl_add_u32 v0, v0, 23, 0x3c000000
	s_delay_alu instid0(VALU_DEP_2) | instskip(NEXT) | instid1(VALU_DEP_3)
	v_and_b32_e32 v25, 0x700000, v25
	v_and_b32_e32 v32, 0x80000000, v32
	s_delay_alu instid0(VALU_DEP_1)
	v_or3_b32 v25, v25, v32, v0
.LBB6_1228:                             ;   in Loop: Header=BB6_356 Depth=4
	s_or_b32 exec_lo, exec_lo, s74
.LBB6_1229:                             ;   in Loop: Header=BB6_356 Depth=4
	s_delay_alu instid0(SALU_CYCLE_1)
	s_or_b32 exec_lo, exec_lo, s73
.LBB6_1230:                             ;   in Loop: Header=BB6_356 Depth=4
	s_delay_alu instid0(SALU_CYCLE_1) | instskip(SKIP_2) | instid1(VALU_DEP_1)
	s_or_b32 exec_lo, exec_lo, s13
	v_and_b32_e32 v0, 0xff, v27
	s_mov_b32 s13, exec_lo
	v_cmpx_ne_u16_e32 0, v0
	s_cbranch_execz .LBB6_1236
; %bb.1231:                             ;   in Loop: Header=BB6_356 Depth=4
	v_bfrev_b32_e32 v24, 1
	s_mov_b32 s73, exec_lo
	v_cmpx_ne_u16_e32 0x80, v0
	s_cbranch_execz .LBB6_1235
; %bb.1232:                             ;   in Loop: Header=BB6_356 Depth=4
	v_and_b32_e32 v0, 0x7f, v27
	v_mov_b32_e32 v24, 0x7f800001
	s_mov_b32 s74, exec_lo
	s_delay_alu instid0(VALU_DEP_2)
	v_cmpx_ne_u32_e32 0x7f, v0
	s_cbranch_execz .LBB6_1234
; %bb.1233:                             ;   in Loop: Header=BB6_356 Depth=4
	v_dual_lshrrev_b32 v52, 3, v0 :: v_dual_bitop2_b32 v24, 7, v27 bitop3:0x40
	v_cmp_gt_u32_e32 vcc_lo, 8, v0
	v_mov_b32_e32 v32, v27
	s_delay_alu instid0(VALU_DEP_3) | instskip(NEXT) | instid1(VALU_DEP_1)
	v_clz_i32_u32_e32 v24, v24
	v_min_u32_e32 v24, 32, v24
	s_delay_alu instid0(VALU_DEP_1) | instskip(SKIP_1) | instid1(VALU_DEP_1)
	v_subrev_nc_u32_e32 v0, 28, v24
	v_dual_sub_nc_u32 v53, 29, v24 :: v_dual_mov_b32 v33, v3
	v_dual_cndmask_b32 v0, 0, v0, vcc_lo :: v_dual_cndmask_b32 v24, v52, v53, vcc_lo
	s_delay_alu instid0(VALU_DEP_1) | instskip(SKIP_1) | instid1(VALU_DEP_3)
	v_lshlrev_b64_e32 v[52:53], v0, v[32:33]
	v_lshlrev_b32_e32 v0, 24, v32
	v_lshl_add_u32 v24, v24, 23, 0x3c000000
	s_delay_alu instid0(VALU_DEP_2) | instskip(NEXT) | instid1(VALU_DEP_4)
	v_and_b32_e32 v0, 0x80000000, v0
	v_lshlrev_b32_e32 v32, 20, v52
	s_delay_alu instid0(VALU_DEP_1) | instskip(NEXT) | instid1(VALU_DEP_1)
	v_and_b32_e32 v32, 0x700000, v32
	v_or3_b32 v24, v32, v0, v24
.LBB6_1234:                             ;   in Loop: Header=BB6_356 Depth=4
	s_or_b32 exec_lo, exec_lo, s74
.LBB6_1235:                             ;   in Loop: Header=BB6_356 Depth=4
	s_delay_alu instid0(SALU_CYCLE_1)
	s_or_b32 exec_lo, exec_lo, s73
.LBB6_1236:                             ;   in Loop: Header=BB6_356 Depth=4
	s_delay_alu instid0(SALU_CYCLE_1) | instskip(NEXT) | instid1(VALU_DEP_1)
	s_or_b32 exec_lo, exec_lo, s13
	v_dual_add_f32 v0, v25, v24 :: v_dual_mov_b32 v25, v3
                                        ; implicit-def: $vgpr53
	s_delay_alu instid0(VALU_DEP_1) | instskip(NEXT) | instid1(VALU_DEP_1)
	v_and_b32_e32 v24, 0x7f800000, v0
	v_cmp_ne_u64_e32 vcc_lo, 0x7f800000, v[24:25]
	v_lshrrev_b32_e32 v24, 24, v0
	s_and_saveexec_b32 s13, vcc_lo
	s_delay_alu instid0(SALU_CYCLE_1)
	s_xor_b32 s73, exec_lo, s13
	s_cbranch_execz .LBB6_1250
; %bb.1237:                             ;   in Loop: Header=BB6_356 Depth=4
	v_and_b32_e32 v32, 0x7fffffff, v0
	v_mov_b32_e32 v33, v3
	v_and_b32_e32 v66, 0x80, v24
                                        ; implicit-def: $vgpr53
	s_mov_b32 s13, exec_lo
	s_delay_alu instid0(VALU_DEP_2)
	v_cmpx_gt_u64_e32 0x43e00001, v[32:33]
	s_xor_b32 s74, exec_lo, s13
	s_cbranch_execz .LBB6_1247
; %bb.1238:                             ;   in Loop: Header=BB6_356 Depth=4
	v_mov_b32_e32 v53, 0
	s_mov_b32 s75, exec_lo
	v_cmpx_ne_u32_e32 0, v0
	s_cbranch_execz .LBB6_1246
; %bb.1239:                             ;   in Loop: Header=BB6_356 Depth=4
	v_and_b32_e32 v24, 0x7fffff, v0
	v_bfe_u32 v53, v0, 23, 8
	s_delay_alu instid0(VALU_DEP_2) | instskip(NEXT) | instid1(VALU_DEP_2)
	v_or_b32_e32 v25, 0x800000, v24
	v_cmp_eq_u32_e32 vcc_lo, 0, v53
	v_cmp_gt_u32_e64 s13, 0x7a, v53
	v_sub_nc_u32_e32 v0, 0x79, v53
	s_delay_alu instid0(VALU_DEP_4) | instskip(NEXT) | instid1(VALU_DEP_2)
	v_dual_cndmask_b32 v24, v25, v24 :: v_dual_mov_b32 v25, v3
	v_cndmask_b32_e64 v0, 0, v0, s13
	s_delay_alu instid0(VALU_DEP_1) | instskip(NEXT) | instid1(VALU_DEP_1)
	v_cndmask_b32_e64 v0, v0, 0x78, vcc_lo
	v_dual_add_nc_u32 v32, 20, v0 :: v_dual_add_nc_u32 v52, 19, v0
	s_delay_alu instid0(VALU_DEP_1) | instskip(NEXT) | instid1(VALU_DEP_2)
	v_lshlrev_b64_e64 v[32:33], v32, -1
	v_lshlrev_b64_e64 v[96:97], v52, 1
	s_delay_alu instid0(VALU_DEP_2) | instskip(SKIP_1) | instid1(VALU_DEP_4)
	v_bfi_b32 v32, v32, 0, v24
	v_lshrrev_b64 v[24:25], v0, v[24:25]
	v_bfi_b32 v33, v33, 0, 0
	s_delay_alu instid0(VALU_DEP_1) | instskip(NEXT) | instid1(VALU_DEP_3)
	v_cmp_eq_u64_e64 s13, v[32:33], v[96:97]
	v_mov_b64_e32 v[32:33], v[24:25]
	s_and_saveexec_b32 s76, s13
; %bb.1240:                             ;   in Loop: Header=BB6_356 Depth=4
	v_bfe_u32 v32, v24, 20, 1
	v_mov_b32_e32 v33, v3
	s_delay_alu instid0(VALU_DEP_1) | instskip(NEXT) | instid1(VALU_DEP_1)
	v_add_nc_u64_e32 v[32:33], v[24:25], v[32:33]
	v_add_nc_u64_e32 v[32:33], -1, v[32:33]
; %bb.1241:                             ;   in Loop: Header=BB6_356 Depth=4
	s_or_b32 exec_lo, exec_lo, s76
	v_add_nc_u32_e32 v25, 0xffffff81, v53
	v_lshrrev_b32_e32 v33, 23, v24
	s_mov_b32 s13, exec_lo
	s_delay_alu instid0(VALU_DEP_2) | instskip(NEXT) | instid1(VALU_DEP_1)
	v_cndmask_b32_e64 v25, v25, 0xffffff82, vcc_lo
	v_add3_u32 v33, v0, v25, v33
	v_and_b32_e32 v0, 0xfffff, v32
	s_delay_alu instid0(VALU_DEP_2) | instskip(NEXT) | instid1(VALU_DEP_2)
	v_dual_mov_b32 v25, v3 :: v_dual_add_nc_u32 v32, 6, v33
	v_add_nc_u32_e32 v24, v0, v24
                                        ; implicit-def: $vgpr0
	s_delay_alu instid0(VALU_DEP_2)
	v_cmpx_ne_u32_e32 0, v32
	s_xor_b32 s13, exec_lo, s13
; %bb.1242:                             ;   in Loop: Header=BB6_356 Depth=4
	s_delay_alu instid0(VALU_DEP_2) | instskip(SKIP_1) | instid1(VALU_DEP_1)
	v_cmp_lt_u64_e32 vcc_lo, 0xffffff, v[24:25]
	v_add_nc_u32_e32 v0, 7, v33
	v_cndmask_b32_e32 v0, v32, v0, vcc_lo
	v_cndmask_b32_e64 v32, 0, 1, vcc_lo
	s_delay_alu instid0(VALU_DEP_1)
	v_lshrrev_b64 v[24:25], v32, v[24:25]
; %bb.1243:                             ;   in Loop: Header=BB6_356 Depth=4
	s_and_not1_saveexec_b32 s13, s13
; %bb.1244:                             ;   in Loop: Header=BB6_356 Depth=4
	s_delay_alu instid0(VALU_DEP_1)
	v_bfe_u32 v0, v24, 23, 1
; %bb.1245:                             ;   in Loop: Header=BB6_356 Depth=4
	s_or_b32 exec_lo, exec_lo, s13
	s_delay_alu instid0(VALU_DEP_2) | instskip(NEXT) | instid1(VALU_DEP_2)
	v_lshrrev_b64 v[24:25], 20, v[24:25]
	v_cmp_gt_i32_e32 vcc_lo, 16, v0
	v_min_i32_e32 v32, 15, v0
	v_cmp_eq_u32_e64 s13, 0, v0
	s_delay_alu instid0(VALU_DEP_2) | instskip(SKIP_1) | instid1(VALU_DEP_2)
	v_dual_cndmask_b32 v25, 0, v25 :: v_dual_lshlrev_b32 v32, 3, v32
	v_cndmask_b32_e32 v24, 7, v24, vcc_lo
	v_and_b32_e32 v32, 0xf8, v32
	s_delay_alu instid0(VALU_DEP_2) | instskip(NEXT) | instid1(VALU_DEP_2)
	v_cmp_eq_u64_e32 vcc_lo, 0, v[24:25]
	v_and_or_b32 v0, v24, 7, v32
	s_and_b32 s13, s13, vcc_lo
	s_delay_alu instid0(VALU_DEP_1) | instid1(SALU_CYCLE_1)
	v_cndmask_b32_e64 v0, v0, 0, s13
	s_delay_alu instid0(VALU_DEP_1)
	v_or_b32_e32 v53, v0, v66
.LBB6_1246:                             ;   in Loop: Header=BB6_356 Depth=4
	s_or_b32 exec_lo, exec_lo, s75
                                        ; implicit-def: $vgpr66
.LBB6_1247:                             ;   in Loop: Header=BB6_356 Depth=4
	s_and_not1_saveexec_b32 s13, s74
; %bb.1248:                             ;   in Loop: Header=BB6_356 Depth=4
	v_or_b32_e32 v53, 0x7e, v66
; %bb.1249:                             ;   in Loop: Header=BB6_356 Depth=4
	s_or_b32 exec_lo, exec_lo, s13
                                        ; implicit-def: $vgpr24
.LBB6_1250:                             ;   in Loop: Header=BB6_356 Depth=4
	s_and_not1_saveexec_b32 s13, s73
; %bb.1251:                             ;   in Loop: Header=BB6_356 Depth=4
	v_or_b32_e32 v53, 0x7f, v24
; %bb.1252:                             ;   in Loop: Header=BB6_356 Depth=4
	s_or_b32 exec_lo, exec_lo, s13
	v_lshrrev_b16 v0, 8, v2
	v_dual_mov_b32 v32, 0 :: v_dual_mov_b32 v24, 0
	s_mov_b32 s13, exec_lo
	s_delay_alu instid0(VALU_DEP_2)
	v_cmpx_ne_u16_e32 0, v0
	s_cbranch_execz .LBB6_1260
; %bb.1253:                             ;   in Loop: Header=BB6_356 Depth=4
	v_bfrev_b32_e32 v24, 1
	s_mov_b32 s73, exec_lo
	v_cmpx_ne_u16_e32 0x80, v0
	s_cbranch_execz .LBB6_1259
; %bb.1254:                             ;   in Loop: Header=BB6_356 Depth=4
	v_and_b32_e32 v0, 0xffff, v0
	v_mov_b32_e32 v24, 0x7f800001
	s_mov_b32 s74, exec_lo
	s_delay_alu instid0(VALU_DEP_2) | instskip(NEXT) | instid1(VALU_DEP_1)
	v_and_b32_e32 v33, 0x7f, v0
	v_cmpx_ne_u32_e32 0x7f, v33
	s_cbranch_execz .LBB6_1258
; %bb.1255:                             ;   in Loop: Header=BB6_356 Depth=4
	v_dual_mov_b32 v25, v3 :: v_dual_bitop2_b32 v24, 7, v0 bitop3:0x40
	v_lshrrev_b32_e32 v0, 3, v33
	s_mov_b32 s75, exec_lo
	v_cmpx_gt_u32_e32 8, v33
; %bb.1256:                             ;   in Loop: Header=BB6_356 Depth=4
	s_delay_alu instid0(VALU_DEP_3) | instskip(NEXT) | instid1(VALU_DEP_1)
	v_clz_i32_u32_e32 v0, v24
	v_min_u32_e32 v0, 32, v0
	s_delay_alu instid0(VALU_DEP_1) | instskip(SKIP_1) | instid1(VALU_DEP_2)
	v_subrev_nc_u32_e32 v33, 28, v0
	v_sub_nc_u32_e32 v0, 29, v0
	v_lshlrev_b64_e32 v[24:25], v33, v[24:25]
	s_delay_alu instid0(VALU_DEP_1)
	v_and_b32_e32 v24, 7, v24
; %bb.1257:                             ;   in Loop: Header=BB6_356 Depth=4
	s_or_b32 exec_lo, exec_lo, s75
	s_delay_alu instid0(VALU_DEP_1) | instskip(SKIP_1) | instid1(VALU_DEP_2)
	v_dual_lshlrev_b32 v2, 16, v2 :: v_dual_lshlrev_b32 v24, 20, v24
	v_lshl_add_u32 v0, v0, 23, 0x3c000000
	v_and_b32_e32 v2, 0x80000000, v2
	s_delay_alu instid0(VALU_DEP_1)
	v_or3_b32 v24, v24, v2, v0
.LBB6_1258:                             ;   in Loop: Header=BB6_356 Depth=4
	s_or_b32 exec_lo, exec_lo, s74
.LBB6_1259:                             ;   in Loop: Header=BB6_356 Depth=4
	s_delay_alu instid0(SALU_CYCLE_1)
	s_or_b32 exec_lo, exec_lo, s73
.LBB6_1260:                             ;   in Loop: Header=BB6_356 Depth=4
	s_delay_alu instid0(SALU_CYCLE_1) | instskip(SKIP_2) | instid1(VALU_DEP_1)
	s_or_b32 exec_lo, exec_lo, s13
	v_lshrrev_b16 v0, 8, v27
	s_mov_b32 s13, exec_lo
	v_cmpx_ne_u16_e32 0, v0
	s_cbranch_execz .LBB6_1268
; %bb.1261:                             ;   in Loop: Header=BB6_356 Depth=4
	v_bfrev_b32_e32 v32, 1
	s_mov_b32 s73, exec_lo
	v_cmpx_ne_u16_e32 0x80, v0
	s_cbranch_execz .LBB6_1267
; %bb.1262:                             ;   in Loop: Header=BB6_356 Depth=4
	v_and_b32_e32 v0, 0xffff, v0
	v_mov_b32_e32 v32, 0x7f800001
	s_mov_b32 s74, exec_lo
	s_delay_alu instid0(VALU_DEP_2) | instskip(NEXT) | instid1(VALU_DEP_1)
	v_and_b32_e32 v25, 0x7f, v0
	v_cmpx_ne_u32_e32 0x7f, v25
	s_cbranch_execz .LBB6_1266
; %bb.1263:                             ;   in Loop: Header=BB6_356 Depth=4
	v_dual_lshrrev_b32 v0, 3, v25 :: v_dual_bitop2_b32 v2, 7, v0 bitop3:0x40
	s_mov_b32 s75, exec_lo
	v_cmpx_gt_u32_e32 8, v25
; %bb.1264:                             ;   in Loop: Header=BB6_356 Depth=4
	s_delay_alu instid0(VALU_DEP_2) | instskip(NEXT) | instid1(VALU_DEP_1)
	v_clz_i32_u32_e32 v0, v2
	v_min_u32_e32 v0, 32, v0
	s_delay_alu instid0(VALU_DEP_1) | instskip(SKIP_1) | instid1(VALU_DEP_2)
	v_subrev_nc_u32_e32 v25, 28, v0
	v_sub_nc_u32_e32 v0, 29, v0
	v_lshlrev_b64_e32 v[32:33], v25, v[2:3]
	s_delay_alu instid0(VALU_DEP_1)
	v_and_b32_e32 v2, 7, v32
; %bb.1265:                             ;   in Loop: Header=BB6_356 Depth=4
	s_or_b32 exec_lo, exec_lo, s75
	s_delay_alu instid0(VALU_DEP_1) | instskip(SKIP_1) | instid1(VALU_DEP_2)
	v_dual_lshlrev_b32 v25, 16, v27 :: v_dual_lshlrev_b32 v2, 20, v2
	v_lshl_add_u32 v0, v0, 23, 0x3c000000
	v_and_b32_e32 v25, 0x80000000, v25
	s_delay_alu instid0(VALU_DEP_1)
	v_or3_b32 v32, v2, v25, v0
.LBB6_1266:                             ;   in Loop: Header=BB6_356 Depth=4
	s_or_b32 exec_lo, exec_lo, s74
.LBB6_1267:                             ;   in Loop: Header=BB6_356 Depth=4
	s_delay_alu instid0(SALU_CYCLE_1)
	s_or_b32 exec_lo, exec_lo, s73
.LBB6_1268:                             ;   in Loop: Header=BB6_356 Depth=4
	s_delay_alu instid0(SALU_CYCLE_1) | instskip(NEXT) | instid1(VALU_DEP_1)
	s_or_b32 exec_lo, exec_lo, s13
	v_add_f32_e32 v0, v24, v32
                                        ; implicit-def: $vgpr122
	s_mov_b32 s13, exec_lo
	s_delay_alu instid0(VALU_DEP_1) | instskip(SKIP_1) | instid1(VALU_DEP_2)
	v_and_b32_e32 v2, 0x7f800000, v0
	v_lshrrev_b32_e32 v24, 24, v0
	v_cmpx_ne_u64_e32 0x7f800000, v[2:3]
	s_xor_b32 s73, exec_lo, s13
	s_cbranch_execz .LBB6_1282
; %bb.1269:                             ;   in Loop: Header=BB6_356 Depth=4
	v_and_b32_e32 v2, 0x7fffffff, v0
	v_and_b32_e32 v66, 0x80, v24
                                        ; implicit-def: $vgpr122
	s_mov_b32 s13, exec_lo
	s_delay_alu instid0(VALU_DEP_2)
	v_cmpx_gt_u64_e32 0x43e00001, v[2:3]
	s_xor_b32 s74, exec_lo, s13
	s_cbranch_execz .LBB6_1279
; %bb.1270:                             ;   in Loop: Header=BB6_356 Depth=4
	v_mov_b32_e32 v122, 0
	s_mov_b32 s75, exec_lo
	v_cmpx_ne_u32_e32 0, v0
	s_cbranch_execz .LBB6_1278
; %bb.1271:                             ;   in Loop: Header=BB6_356 Depth=4
	v_bfe_u32 v67, v0, 23, 8
	v_and_b32_e32 v2, 0x7fffff, v0
	s_delay_alu instid0(VALU_DEP_2) | instskip(SKIP_2) | instid1(VALU_DEP_4)
	v_cmp_gt_u32_e64 s13, 0x7a, v67
	v_sub_nc_u32_e32 v0, 0x79, v67
	v_cmp_eq_u32_e32 vcc_lo, 0, v67
	v_or_b32_e32 v24, 0x800000, v2
	s_delay_alu instid0(VALU_DEP_1) | instskip(NEXT) | instid1(VALU_DEP_1)
	v_dual_cndmask_b32 v0, 0, v0, s13 :: v_dual_cndmask_b32 v2, v24, v2, vcc_lo
	v_cndmask_b32_e64 v0, v0, 0x78, vcc_lo
	s_delay_alu instid0(VALU_DEP_1) | instskip(NEXT) | instid1(VALU_DEP_1)
	v_dual_add_nc_u32 v24, 20, v0 :: v_dual_add_nc_u32 v32, 19, v0
	v_lshlrev_b64_e64 v[24:25], v24, -1
	s_delay_alu instid0(VALU_DEP_2) | instskip(NEXT) | instid1(VALU_DEP_2)
	v_lshlrev_b64_e64 v[32:33], v32, 1
	v_bfi_b32 v25, v25, 0, 0
	s_delay_alu instid0(VALU_DEP_3) | instskip(NEXT) | instid1(VALU_DEP_1)
	v_bfi_b32 v24, v24, 0, v2
	v_cmp_eq_u64_e64 s13, v[24:25], v[32:33]
	v_lshrrev_b64 v[24:25], v0, v[2:3]
	s_delay_alu instid0(VALU_DEP_1)
	v_mov_b64_e32 v[32:33], v[24:25]
	s_and_saveexec_b32 s76, s13
; %bb.1272:                             ;   in Loop: Header=BB6_356 Depth=4
	v_bfe_u32 v2, v24, 20, 1
	s_delay_alu instid0(VALU_DEP_1) | instskip(NEXT) | instid1(VALU_DEP_1)
	v_add_nc_u64_e32 v[32:33], v[24:25], v[2:3]
	v_add_nc_u64_e32 v[32:33], -1, v[32:33]
; %bb.1273:                             ;   in Loop: Header=BB6_356 Depth=4
	s_or_b32 exec_lo, exec_lo, s76
	v_add_nc_u32_e32 v2, 0xffffff81, v67
	v_lshrrev_b32_e32 v25, 23, v24
	s_mov_b32 s13, exec_lo
	s_delay_alu instid0(VALU_DEP_2) | instskip(NEXT) | instid1(VALU_DEP_1)
	v_cndmask_b32_e64 v2, v2, 0xffffff82, vcc_lo
	v_add3_u32 v33, v0, v2, v25
	v_and_b32_e32 v0, 0xfffff, v32
	s_delay_alu instid0(VALU_DEP_1) | instskip(NEXT) | instid1(VALU_DEP_1)
	v_dual_add_nc_u32 v32, 6, v33 :: v_dual_add_nc_u32 v2, v0, v24
                                        ; implicit-def: $vgpr24_vgpr25
                                        ; implicit-def: $vgpr0
	v_cmpx_ne_u32_e32 0, v32
	s_xor_b32 s13, exec_lo, s13
; %bb.1274:                             ;   in Loop: Header=BB6_356 Depth=4
	s_delay_alu instid0(VALU_DEP_2) | instskip(SKIP_2) | instid1(VALU_DEP_2)
	v_cmp_lt_u64_e32 vcc_lo, 0xffffff, v[2:3]
	v_add_nc_u32_e32 v0, 7, v33
	v_cndmask_b32_e64 v24, 0, 1, vcc_lo
	v_cndmask_b32_e32 v0, v32, v0, vcc_lo
	s_delay_alu instid0(VALU_DEP_2)
	v_lshrrev_b64 v[24:25], v24, v[2:3]
; %bb.1275:                             ;   in Loop: Header=BB6_356 Depth=4
	s_and_not1_saveexec_b32 s13, s13
; %bb.1276:                             ;   in Loop: Header=BB6_356 Depth=4
	v_mov_b64_e32 v[24:25], v[2:3]
	v_bfe_u32 v0, v2, 23, 1
; %bb.1277:                             ;   in Loop: Header=BB6_356 Depth=4
	s_or_b32 exec_lo, exec_lo, s13
	s_delay_alu instid0(VALU_DEP_2) | instskip(NEXT) | instid1(VALU_DEP_2)
	v_lshrrev_b64 v[24:25], 20, v[24:25]
	v_cmp_gt_i32_e32 vcc_lo, 16, v0
	v_min_i32_e32 v2, 15, v0
	v_cmp_eq_u32_e64 s13, 0, v0
	s_delay_alu instid0(VALU_DEP_2) | instskip(SKIP_1) | instid1(VALU_DEP_2)
	v_dual_cndmask_b32 v25, 0, v25 :: v_dual_lshlrev_b32 v2, 3, v2
	v_cndmask_b32_e32 v24, 7, v24, vcc_lo
	v_and_b32_e32 v2, 0xf8, v2
	s_delay_alu instid0(VALU_DEP_2) | instskip(NEXT) | instid1(VALU_DEP_2)
	v_cmp_eq_u64_e32 vcc_lo, 0, v[24:25]
	v_and_or_b32 v0, v24, 7, v2
	s_and_b32 s13, s13, vcc_lo
	s_delay_alu instid0(VALU_DEP_1) | instid1(SALU_CYCLE_1)
	v_cndmask_b32_e64 v0, v0, 0, s13
	s_delay_alu instid0(VALU_DEP_1)
	v_or_b32_e32 v122, v0, v66
.LBB6_1278:                             ;   in Loop: Header=BB6_356 Depth=4
	s_or_b32 exec_lo, exec_lo, s75
                                        ; implicit-def: $vgpr66
.LBB6_1279:                             ;   in Loop: Header=BB6_356 Depth=4
	s_and_not1_saveexec_b32 s13, s74
; %bb.1280:                             ;   in Loop: Header=BB6_356 Depth=4
	v_or_b32_e32 v122, 0x7e, v66
; %bb.1281:                             ;   in Loop: Header=BB6_356 Depth=4
	s_or_b32 exec_lo, exec_lo, s13
                                        ; implicit-def: $vgpr24
.LBB6_1282:                             ;   in Loop: Header=BB6_356 Depth=4
	s_and_not1_saveexec_b32 s13, s73
; %bb.1283:                             ;   in Loop: Header=BB6_356 Depth=4
	v_or_b32_e32 v122, 0x7f, v24
; %bb.1284:                             ;   in Loop: Header=BB6_356 Depth=4
	s_or_b32 exec_lo, exec_lo, s13
	v_dual_lshrrev_b32 v0, 16, v35 :: v_dual_mov_b32 v24, 0
	v_mov_b32_e32 v25, 0
	s_mov_b32 s13, exec_lo
	s_delay_alu instid0(VALU_DEP_2) | instskip(NEXT) | instid1(VALU_DEP_1)
	v_and_b32_e32 v2, 0xff, v0
	v_cmpx_ne_u16_e32 0, v2
	s_cbranch_execz .LBB6_1292
; %bb.1285:                             ;   in Loop: Header=BB6_356 Depth=4
	v_bfrev_b32_e32 v25, 1
	s_mov_b32 s73, exec_lo
	v_cmpx_ne_u16_e32 0x80, v2
	s_cbranch_execz .LBB6_1291
; %bb.1286:                             ;   in Loop: Header=BB6_356 Depth=4
	v_bfe_u32 v32, v35, 16, 7
	v_mov_b32_e32 v25, 0x7f800001
	s_mov_b32 s74, exec_lo
	s_delay_alu instid0(VALU_DEP_2)
	v_cmpx_ne_u32_e32 0x7f, v32
	s_cbranch_execz .LBB6_1290
; %bb.1287:                             ;   in Loop: Header=BB6_356 Depth=4
	v_and_b32_e32 v2, 7, v0
	v_lshrrev_b32_e32 v25, 3, v32
	s_mov_b32 s75, exec_lo
	v_cmpx_gt_u32_e32 8, v32
; %bb.1288:                             ;   in Loop: Header=BB6_356 Depth=4
	s_delay_alu instid0(VALU_DEP_3) | instskip(NEXT) | instid1(VALU_DEP_1)
	v_clz_i32_u32_e32 v25, v2
	v_min_u32_e32 v25, 32, v25
	s_delay_alu instid0(VALU_DEP_1) | instskip(NEXT) | instid1(VALU_DEP_1)
	v_subrev_nc_u32_e32 v32, 28, v25
	v_lshlrev_b64_e32 v[32:33], v32, v[2:3]
	s_delay_alu instid0(VALU_DEP_1)
	v_dual_sub_nc_u32 v25, 29, v25 :: v_dual_bitop2_b32 v2, 7, v32 bitop3:0x40
; %bb.1289:                             ;   in Loop: Header=BB6_356 Depth=4
	s_or_b32 exec_lo, exec_lo, s75
	s_delay_alu instid0(VALU_DEP_1) | instskip(NEXT) | instid1(VALU_DEP_2)
	v_dual_lshlrev_b32 v0, 24, v0 :: v_dual_lshlrev_b32 v2, 20, v2
	v_lshl_add_u32 v25, v25, 23, 0x3c000000
	s_delay_alu instid0(VALU_DEP_2) | instskip(NEXT) | instid1(VALU_DEP_1)
	v_and_b32_e32 v0, 0x80000000, v0
	v_or3_b32 v25, v2, v0, v25
.LBB6_1290:                             ;   in Loop: Header=BB6_356 Depth=4
	s_or_b32 exec_lo, exec_lo, s74
.LBB6_1291:                             ;   in Loop: Header=BB6_356 Depth=4
	s_delay_alu instid0(SALU_CYCLE_1)
	s_or_b32 exec_lo, exec_lo, s73
.LBB6_1292:                             ;   in Loop: Header=BB6_356 Depth=4
	s_delay_alu instid0(SALU_CYCLE_1) | instskip(SKIP_2) | instid1(VALU_DEP_1)
	s_or_b32 exec_lo, exec_lo, s13
	v_lshrrev_b32_e32 v0, 16, v27
	s_mov_b32 s13, exec_lo
	v_and_b32_e32 v2, 0xff, v0
	s_delay_alu instid0(VALU_DEP_1)
	v_cmpx_ne_u16_e32 0, v2
	s_cbranch_execz .LBB6_1300
; %bb.1293:                             ;   in Loop: Header=BB6_356 Depth=4
	v_bfrev_b32_e32 v24, 1
	s_mov_b32 s73, exec_lo
	v_cmpx_ne_u16_e32 0x80, v2
	s_cbranch_execz .LBB6_1299
; %bb.1294:                             ;   in Loop: Header=BB6_356 Depth=4
	v_bfe_u32 v32, v27, 16, 7
	v_mov_b32_e32 v24, 0x7f800001
	s_mov_b32 s74, exec_lo
	s_delay_alu instid0(VALU_DEP_2)
	v_cmpx_ne_u32_e32 0x7f, v32
	s_cbranch_execz .LBB6_1298
; %bb.1295:                             ;   in Loop: Header=BB6_356 Depth=4
	v_and_b32_e32 v2, 7, v0
	v_lshrrev_b32_e32 v0, 3, v32
	s_mov_b32 s75, exec_lo
	v_cmpx_gt_u32_e32 8, v32
; %bb.1296:                             ;   in Loop: Header=BB6_356 Depth=4
	s_delay_alu instid0(VALU_DEP_3) | instskip(NEXT) | instid1(VALU_DEP_1)
	v_clz_i32_u32_e32 v0, v2
	v_min_u32_e32 v0, 32, v0
	s_delay_alu instid0(VALU_DEP_1) | instskip(SKIP_1) | instid1(VALU_DEP_2)
	v_subrev_nc_u32_e32 v24, 28, v0
	v_sub_nc_u32_e32 v0, 29, v0
	v_lshlrev_b64_e32 v[32:33], v24, v[2:3]
	s_delay_alu instid0(VALU_DEP_1)
	v_and_b32_e32 v2, 7, v32
; %bb.1297:                             ;   in Loop: Header=BB6_356 Depth=4
	s_or_b32 exec_lo, exec_lo, s75
	s_delay_alu instid0(VALU_DEP_1) | instskip(SKIP_1) | instid1(VALU_DEP_2)
	v_dual_lshlrev_b32 v24, 8, v27 :: v_dual_lshlrev_b32 v2, 20, v2
	v_lshl_add_u32 v0, v0, 23, 0x3c000000
	v_and_b32_e32 v24, 0x80000000, v24
	s_delay_alu instid0(VALU_DEP_1)
	v_or3_b32 v24, v2, v24, v0
.LBB6_1298:                             ;   in Loop: Header=BB6_356 Depth=4
	s_or_b32 exec_lo, exec_lo, s74
.LBB6_1299:                             ;   in Loop: Header=BB6_356 Depth=4
	s_delay_alu instid0(SALU_CYCLE_1)
	s_or_b32 exec_lo, exec_lo, s73
.LBB6_1300:                             ;   in Loop: Header=BB6_356 Depth=4
	s_delay_alu instid0(SALU_CYCLE_1) | instskip(NEXT) | instid1(VALU_DEP_1)
	s_or_b32 exec_lo, exec_lo, s13
	v_add_f32_e32 v0, v25, v24
                                        ; implicit-def: $vgpr32
	s_mov_b32 s13, exec_lo
	s_delay_alu instid0(VALU_DEP_1) | instskip(SKIP_1) | instid1(VALU_DEP_2)
	v_and_b32_e32 v2, 0x7f800000, v0
	v_lshrrev_b32_e32 v24, 24, v0
	v_cmpx_ne_u64_e32 0x7f800000, v[2:3]
	s_xor_b32 s73, exec_lo, s13
	s_cbranch_execz .LBB6_1314
; %bb.1301:                             ;   in Loop: Header=BB6_356 Depth=4
	v_and_b32_e32 v2, 0x7fffffff, v0
	v_and_b32_e32 v66, 0x80, v24
                                        ; implicit-def: $vgpr32
	s_mov_b32 s13, exec_lo
	s_delay_alu instid0(VALU_DEP_2)
	v_cmpx_gt_u64_e32 0x43e00001, v[2:3]
	s_xor_b32 s74, exec_lo, s13
	s_cbranch_execz .LBB6_1311
; %bb.1302:                             ;   in Loop: Header=BB6_356 Depth=4
	v_mov_b32_e32 v32, 0
	s_mov_b32 s75, exec_lo
	v_cmpx_ne_u32_e32 0, v0
	s_cbranch_execz .LBB6_1310
; %bb.1303:                             ;   in Loop: Header=BB6_356 Depth=4
	v_bfe_u32 v67, v0, 23, 8
	v_and_b32_e32 v2, 0x7fffff, v0
	s_delay_alu instid0(VALU_DEP_2) | instskip(SKIP_2) | instid1(VALU_DEP_4)
	v_cmp_gt_u32_e64 s13, 0x7a, v67
	v_sub_nc_u32_e32 v0, 0x79, v67
	v_cmp_eq_u32_e32 vcc_lo, 0, v67
	v_or_b32_e32 v24, 0x800000, v2
	s_delay_alu instid0(VALU_DEP_1) | instskip(NEXT) | instid1(VALU_DEP_1)
	v_dual_cndmask_b32 v0, 0, v0, s13 :: v_dual_cndmask_b32 v2, v24, v2, vcc_lo
	v_cndmask_b32_e64 v0, v0, 0x78, vcc_lo
	s_delay_alu instid0(VALU_DEP_1) | instskip(NEXT) | instid1(VALU_DEP_1)
	v_dual_add_nc_u32 v24, 20, v0 :: v_dual_add_nc_u32 v32, 19, v0
	v_lshlrev_b64_e64 v[24:25], v24, -1
	s_delay_alu instid0(VALU_DEP_2) | instskip(NEXT) | instid1(VALU_DEP_2)
	v_lshlrev_b64_e64 v[32:33], v32, 1
	v_bfi_b32 v25, v25, 0, 0
	s_delay_alu instid0(VALU_DEP_3) | instskip(NEXT) | instid1(VALU_DEP_1)
	v_bfi_b32 v24, v24, 0, v2
	v_cmp_eq_u64_e64 s13, v[24:25], v[32:33]
	v_lshrrev_b64 v[24:25], v0, v[2:3]
	s_delay_alu instid0(VALU_DEP_1)
	v_mov_b64_e32 v[32:33], v[24:25]
	s_and_saveexec_b32 s76, s13
; %bb.1304:                             ;   in Loop: Header=BB6_356 Depth=4
	v_bfe_u32 v2, v24, 20, 1
	s_delay_alu instid0(VALU_DEP_1) | instskip(NEXT) | instid1(VALU_DEP_1)
	v_add_nc_u64_e32 v[32:33], v[24:25], v[2:3]
	v_add_nc_u64_e32 v[32:33], -1, v[32:33]
; %bb.1305:                             ;   in Loop: Header=BB6_356 Depth=4
	s_or_b32 exec_lo, exec_lo, s76
	v_add_nc_u32_e32 v2, 0xffffff81, v67
	v_lshrrev_b32_e32 v25, 23, v24
	s_mov_b32 s13, exec_lo
	s_delay_alu instid0(VALU_DEP_2) | instskip(NEXT) | instid1(VALU_DEP_1)
	v_cndmask_b32_e64 v2, v2, 0xffffff82, vcc_lo
	v_add3_u32 v33, v0, v2, v25
	v_and_b32_e32 v0, 0xfffff, v32
	s_delay_alu instid0(VALU_DEP_1) | instskip(NEXT) | instid1(VALU_DEP_1)
	v_dual_add_nc_u32 v32, 6, v33 :: v_dual_add_nc_u32 v2, v0, v24
                                        ; implicit-def: $vgpr24_vgpr25
                                        ; implicit-def: $vgpr0
	v_cmpx_ne_u32_e32 0, v32
	s_xor_b32 s13, exec_lo, s13
; %bb.1306:                             ;   in Loop: Header=BB6_356 Depth=4
	s_delay_alu instid0(VALU_DEP_2) | instskip(SKIP_2) | instid1(VALU_DEP_2)
	v_cmp_lt_u64_e32 vcc_lo, 0xffffff, v[2:3]
	v_add_nc_u32_e32 v0, 7, v33
	v_cndmask_b32_e64 v24, 0, 1, vcc_lo
	v_cndmask_b32_e32 v0, v32, v0, vcc_lo
	s_delay_alu instid0(VALU_DEP_2)
	v_lshrrev_b64 v[24:25], v24, v[2:3]
; %bb.1307:                             ;   in Loop: Header=BB6_356 Depth=4
	s_and_not1_saveexec_b32 s13, s13
; %bb.1308:                             ;   in Loop: Header=BB6_356 Depth=4
	v_mov_b64_e32 v[24:25], v[2:3]
	v_bfe_u32 v0, v2, 23, 1
; %bb.1309:                             ;   in Loop: Header=BB6_356 Depth=4
	s_or_b32 exec_lo, exec_lo, s13
	s_delay_alu instid0(VALU_DEP_2) | instskip(NEXT) | instid1(VALU_DEP_2)
	v_lshrrev_b64 v[24:25], 20, v[24:25]
	v_cmp_gt_i32_e32 vcc_lo, 16, v0
	v_min_i32_e32 v2, 15, v0
	v_cmp_eq_u32_e64 s13, 0, v0
	s_delay_alu instid0(VALU_DEP_2) | instskip(SKIP_1) | instid1(VALU_DEP_2)
	v_dual_cndmask_b32 v25, 0, v25 :: v_dual_lshlrev_b32 v2, 3, v2
	v_cndmask_b32_e32 v24, 7, v24, vcc_lo
	v_and_b32_e32 v2, 0xf8, v2
	s_delay_alu instid0(VALU_DEP_2) | instskip(NEXT) | instid1(VALU_DEP_2)
	v_cmp_eq_u64_e32 vcc_lo, 0, v[24:25]
	v_and_or_b32 v0, v24, 7, v2
	s_and_b32 s13, s13, vcc_lo
	s_delay_alu instid0(VALU_DEP_1) | instid1(SALU_CYCLE_1)
	v_cndmask_b32_e64 v0, v0, 0, s13
	s_delay_alu instid0(VALU_DEP_1)
	v_or_b32_e32 v32, v0, v66
.LBB6_1310:                             ;   in Loop: Header=BB6_356 Depth=4
	s_or_b32 exec_lo, exec_lo, s75
                                        ; implicit-def: $vgpr66
.LBB6_1311:                             ;   in Loop: Header=BB6_356 Depth=4
	s_and_not1_saveexec_b32 s13, s74
; %bb.1312:                             ;   in Loop: Header=BB6_356 Depth=4
	v_or_b32_e32 v32, 0x7e, v66
; %bb.1313:                             ;   in Loop: Header=BB6_356 Depth=4
	s_or_b32 exec_lo, exec_lo, s13
                                        ; implicit-def: $vgpr24
.LBB6_1314:                             ;   in Loop: Header=BB6_356 Depth=4
	s_and_not1_saveexec_b32 s13, s73
; %bb.1315:                             ;   in Loop: Header=BB6_356 Depth=4
	v_or_b32_e32 v32, 0x7f, v24
; %bb.1316:                             ;   in Loop: Header=BB6_356 Depth=4
	s_or_b32 exec_lo, exec_lo, s13
	v_dual_mov_b32 v24, 0 :: v_dual_mov_b32 v25, 0
	s_mov_b32 s13, exec_lo
	v_cmpx_lt_u64_e64 s[22:23], v[34:35]
	s_cbranch_execz .LBB6_1324
; %bb.1317:                             ;   in Loop: Header=BB6_356 Depth=4
	v_lshrrev_b32_e32 v0, 24, v35
	v_bfrev_b32_e32 v25, 1
	s_mov_b32 s73, exec_lo
	s_delay_alu instid0(VALU_DEP_2)
	v_cmpx_ne_u32_e32 0x80, v0
	s_cbranch_execz .LBB6_1323
; %bb.1318:                             ;   in Loop: Header=BB6_356 Depth=4
	v_bfe_u32 v33, v35, 24, 7
	v_mov_b32_e32 v25, 0x7f800001
	s_mov_b32 s74, exec_lo
	s_delay_alu instid0(VALU_DEP_2)
	v_cmpx_ne_u32_e32 0x7f, v33
	s_cbranch_execz .LBB6_1322
; %bb.1319:                             ;   in Loop: Header=BB6_356 Depth=4
	v_dual_lshrrev_b32 v25, 3, v33 :: v_dual_bitop2_b32 v2, 7, v0 bitop3:0x40
	s_mov_b32 s75, exec_lo
	v_cmpx_gt_u32_e32 8, v33
; %bb.1320:                             ;   in Loop: Header=BB6_356 Depth=4
	s_delay_alu instid0(VALU_DEP_2) | instskip(NEXT) | instid1(VALU_DEP_1)
	v_clz_i32_u32_e32 v25, v2
	v_min_u32_e32 v25, 32, v25
	s_delay_alu instid0(VALU_DEP_1) | instskip(NEXT) | instid1(VALU_DEP_1)
	v_subrev_nc_u32_e32 v33, 28, v25
	v_lshlrev_b64_e32 v[34:35], v33, v[2:3]
	s_delay_alu instid0(VALU_DEP_1)
	v_dual_sub_nc_u32 v25, 29, v25 :: v_dual_bitop2_b32 v2, 7, v34 bitop3:0x40
; %bb.1321:                             ;   in Loop: Header=BB6_356 Depth=4
	s_or_b32 exec_lo, exec_lo, s75
	s_delay_alu instid0(VALU_DEP_1) | instskip(NEXT) | instid1(VALU_DEP_2)
	v_dual_lshlrev_b32 v0, 24, v0 :: v_dual_lshlrev_b32 v2, 20, v2
	v_lshl_add_u32 v25, v25, 23, 0x3c000000
	s_delay_alu instid0(VALU_DEP_2) | instskip(NEXT) | instid1(VALU_DEP_1)
	v_and_b32_e32 v0, 0x80000000, v0
	v_or3_b32 v25, v2, v0, v25
.LBB6_1322:                             ;   in Loop: Header=BB6_356 Depth=4
	s_or_b32 exec_lo, exec_lo, s74
.LBB6_1323:                             ;   in Loop: Header=BB6_356 Depth=4
	s_delay_alu instid0(SALU_CYCLE_1)
	s_or_b32 exec_lo, exec_lo, s73
.LBB6_1324:                             ;   in Loop: Header=BB6_356 Depth=4
	s_delay_alu instid0(SALU_CYCLE_1) | instskip(NEXT) | instid1(SALU_CYCLE_1)
	s_or_b32 exec_lo, exec_lo, s13
	s_mov_b32 s13, exec_lo
	v_cmpx_lt_u64_e64 s[22:23], v[26:27]
	s_cbranch_execz .LBB6_1332
; %bb.1325:                             ;   in Loop: Header=BB6_356 Depth=4
	v_lshrrev_b32_e32 v0, 24, v27
	v_bfrev_b32_e32 v24, 1
	s_mov_b32 s73, exec_lo
	s_delay_alu instid0(VALU_DEP_2)
	v_cmpx_ne_u32_e32 0x80, v0
	s_cbranch_execz .LBB6_1331
; %bb.1326:                             ;   in Loop: Header=BB6_356 Depth=4
	v_bfe_u32 v26, v27, 24, 7
	v_mov_b32_e32 v24, 0x7f800001
	s_mov_b32 s74, exec_lo
	s_delay_alu instid0(VALU_DEP_2)
	v_cmpx_ne_u32_e32 0x7f, v26
	s_cbranch_execz .LBB6_1330
; %bb.1327:                             ;   in Loop: Header=BB6_356 Depth=4
	v_dual_lshrrev_b32 v24, 3, v26 :: v_dual_bitop2_b32 v2, 7, v0 bitop3:0x40
	s_mov_b32 s75, exec_lo
	v_cmpx_gt_u32_e32 8, v26
; %bb.1328:                             ;   in Loop: Header=BB6_356 Depth=4
	s_delay_alu instid0(VALU_DEP_2) | instskip(NEXT) | instid1(VALU_DEP_1)
	v_clz_i32_u32_e32 v24, v2
	v_min_u32_e32 v24, 32, v24
	s_delay_alu instid0(VALU_DEP_1) | instskip(NEXT) | instid1(VALU_DEP_1)
	v_subrev_nc_u32_e32 v26, 28, v24
	v_lshlrev_b64_e32 v[26:27], v26, v[2:3]
	s_delay_alu instid0(VALU_DEP_1)
	v_dual_sub_nc_u32 v24, 29, v24 :: v_dual_bitop2_b32 v2, 7, v26 bitop3:0x40
; %bb.1329:                             ;   in Loop: Header=BB6_356 Depth=4
	s_or_b32 exec_lo, exec_lo, s75
	s_delay_alu instid0(VALU_DEP_1) | instskip(NEXT) | instid1(VALU_DEP_2)
	v_dual_lshlrev_b32 v0, 24, v0 :: v_dual_lshlrev_b32 v2, 20, v2
	v_lshl_add_u32 v24, v24, 23, 0x3c000000
	s_delay_alu instid0(VALU_DEP_2) | instskip(NEXT) | instid1(VALU_DEP_1)
	v_and_b32_e32 v0, 0x80000000, v0
	v_or3_b32 v24, v2, v0, v24
.LBB6_1330:                             ;   in Loop: Header=BB6_356 Depth=4
	s_or_b32 exec_lo, exec_lo, s74
.LBB6_1331:                             ;   in Loop: Header=BB6_356 Depth=4
	s_delay_alu instid0(SALU_CYCLE_1)
	s_or_b32 exec_lo, exec_lo, s73
.LBB6_1332:                             ;   in Loop: Header=BB6_356 Depth=4
	s_delay_alu instid0(SALU_CYCLE_1) | instskip(NEXT) | instid1(VALU_DEP_1)
	s_or_b32 exec_lo, exec_lo, s13
	v_add_f32_e32 v0, v25, v24
                                        ; implicit-def: $vgpr33
	s_mov_b32 s13, exec_lo
	s_delay_alu instid0(VALU_DEP_1) | instskip(SKIP_1) | instid1(VALU_DEP_2)
	v_and_b32_e32 v2, 0x7f800000, v0
	v_lshrrev_b32_e32 v24, 24, v0
	v_cmpx_ne_u64_e32 0x7f800000, v[2:3]
	s_xor_b32 s73, exec_lo, s13
	s_cbranch_execz .LBB6_1346
; %bb.1333:                             ;   in Loop: Header=BB6_356 Depth=4
	v_and_b32_e32 v2, 0x7fffffff, v0
	v_and_b32_e32 v34, 0x80, v24
                                        ; implicit-def: $vgpr33
	s_mov_b32 s13, exec_lo
	s_delay_alu instid0(VALU_DEP_2)
	v_cmpx_gt_u64_e32 0x43e00001, v[2:3]
	s_xor_b32 s74, exec_lo, s13
	s_cbranch_execz .LBB6_1343
; %bb.1334:                             ;   in Loop: Header=BB6_356 Depth=4
	v_mov_b32_e32 v33, 0
	s_mov_b32 s75, exec_lo
	v_cmpx_ne_u32_e32 0, v0
	s_cbranch_execz .LBB6_1342
; %bb.1335:                             ;   in Loop: Header=BB6_356 Depth=4
	v_bfe_u32 v33, v0, 23, 8
	v_and_b32_e32 v2, 0x7fffff, v0
	s_delay_alu instid0(VALU_DEP_2) | instskip(SKIP_2) | instid1(VALU_DEP_4)
	v_cmp_gt_u32_e64 s13, 0x7a, v33
	v_sub_nc_u32_e32 v0, 0x79, v33
	v_cmp_eq_u32_e32 vcc_lo, 0, v33
	v_or_b32_e32 v24, 0x800000, v2
	s_delay_alu instid0(VALU_DEP_1) | instskip(NEXT) | instid1(VALU_DEP_1)
	v_dual_cndmask_b32 v0, 0, v0, s13 :: v_dual_cndmask_b32 v2, v24, v2, vcc_lo
	v_cndmask_b32_e64 v0, v0, 0x78, vcc_lo
	s_delay_alu instid0(VALU_DEP_1) | instskip(NEXT) | instid1(VALU_DEP_1)
	v_dual_add_nc_u32 v24, 20, v0 :: v_dual_add_nc_u32 v26, 19, v0
	v_lshlrev_b64_e64 v[24:25], v24, -1
	s_delay_alu instid0(VALU_DEP_2) | instskip(NEXT) | instid1(VALU_DEP_2)
	v_lshlrev_b64_e64 v[26:27], v26, 1
	v_bfi_b32 v25, v25, 0, 0
	s_delay_alu instid0(VALU_DEP_3) | instskip(NEXT) | instid1(VALU_DEP_1)
	v_bfi_b32 v24, v24, 0, v2
	v_cmp_eq_u64_e64 s13, v[24:25], v[26:27]
	v_lshrrev_b64 v[24:25], v0, v[2:3]
	s_delay_alu instid0(VALU_DEP_1)
	v_mov_b64_e32 v[26:27], v[24:25]
	s_and_saveexec_b32 s76, s13
; %bb.1336:                             ;   in Loop: Header=BB6_356 Depth=4
	v_bfe_u32 v2, v24, 20, 1
	s_delay_alu instid0(VALU_DEP_1) | instskip(NEXT) | instid1(VALU_DEP_1)
	v_add_nc_u64_e32 v[26:27], v[24:25], v[2:3]
	v_add_nc_u64_e32 v[26:27], -1, v[26:27]
; %bb.1337:                             ;   in Loop: Header=BB6_356 Depth=4
	s_or_b32 exec_lo, exec_lo, s76
	v_add_nc_u32_e32 v2, 0xffffff81, v33
	v_lshrrev_b32_e32 v25, 23, v24
	s_mov_b32 s13, exec_lo
	s_delay_alu instid0(VALU_DEP_2) | instskip(NEXT) | instid1(VALU_DEP_1)
	v_cndmask_b32_e64 v2, v2, 0xffffff82, vcc_lo
	v_add3_u32 v27, v0, v2, v25
	v_and_b32_e32 v0, 0xfffff, v26
	s_delay_alu instid0(VALU_DEP_1) | instskip(NEXT) | instid1(VALU_DEP_1)
	v_dual_add_nc_u32 v26, 6, v27 :: v_dual_add_nc_u32 v2, v0, v24
                                        ; implicit-def: $vgpr24_vgpr25
                                        ; implicit-def: $vgpr0
	v_cmpx_ne_u32_e32 0, v26
	s_xor_b32 s13, exec_lo, s13
; %bb.1338:                             ;   in Loop: Header=BB6_356 Depth=4
	s_delay_alu instid0(VALU_DEP_2) | instskip(SKIP_2) | instid1(VALU_DEP_2)
	v_cmp_lt_u64_e32 vcc_lo, 0xffffff, v[2:3]
	v_add_nc_u32_e32 v0, 7, v27
	v_cndmask_b32_e64 v24, 0, 1, vcc_lo
	v_cndmask_b32_e32 v0, v26, v0, vcc_lo
	s_delay_alu instid0(VALU_DEP_2)
	v_lshrrev_b64 v[24:25], v24, v[2:3]
; %bb.1339:                             ;   in Loop: Header=BB6_356 Depth=4
	s_and_not1_saveexec_b32 s13, s13
; %bb.1340:                             ;   in Loop: Header=BB6_356 Depth=4
	v_mov_b64_e32 v[24:25], v[2:3]
	v_bfe_u32 v0, v2, 23, 1
; %bb.1341:                             ;   in Loop: Header=BB6_356 Depth=4
	s_or_b32 exec_lo, exec_lo, s13
	s_delay_alu instid0(VALU_DEP_2) | instskip(NEXT) | instid1(VALU_DEP_2)
	v_lshrrev_b64 v[24:25], 20, v[24:25]
	v_cmp_gt_i32_e32 vcc_lo, 16, v0
	v_min_i32_e32 v2, 15, v0
	v_cmp_eq_u32_e64 s13, 0, v0
	s_delay_alu instid0(VALU_DEP_2) | instskip(SKIP_1) | instid1(VALU_DEP_2)
	v_dual_cndmask_b32 v25, 0, v25 :: v_dual_lshlrev_b32 v2, 3, v2
	v_cndmask_b32_e32 v24, 7, v24, vcc_lo
	v_and_b32_e32 v2, 0xf8, v2
	s_delay_alu instid0(VALU_DEP_2) | instskip(NEXT) | instid1(VALU_DEP_2)
	v_cmp_eq_u64_e32 vcc_lo, 0, v[24:25]
	v_and_or_b32 v0, v24, 7, v2
	s_and_b32 s13, s13, vcc_lo
	s_delay_alu instid0(VALU_DEP_1) | instid1(SALU_CYCLE_1)
	v_cndmask_b32_e64 v0, v0, 0, s13
	s_delay_alu instid0(VALU_DEP_1)
	v_or_b32_e32 v33, v0, v34
.LBB6_1342:                             ;   in Loop: Header=BB6_356 Depth=4
	s_or_b32 exec_lo, exec_lo, s75
                                        ; implicit-def: $vgpr34
.LBB6_1343:                             ;   in Loop: Header=BB6_356 Depth=4
	s_and_not1_saveexec_b32 s13, s74
; %bb.1344:                             ;   in Loop: Header=BB6_356 Depth=4
	v_or_b32_e32 v33, 0x7e, v34
; %bb.1345:                             ;   in Loop: Header=BB6_356 Depth=4
	s_or_b32 exec_lo, exec_lo, s13
                                        ; implicit-def: $vgpr24
.LBB6_1346:                             ;   in Loop: Header=BB6_356 Depth=4
	s_and_not1_saveexec_b32 s13, s73
; %bb.1347:                             ;   in Loop: Header=BB6_356 Depth=4
	v_or_b32_e32 v33, 0x7f, v24
; %bb.1348:                             ;   in Loop: Header=BB6_356 Depth=4
	s_or_b32 exec_lo, exec_lo, s13
	v_and_b32_e32 v0, 0xff, v20
	v_dual_mov_b32 v2, 0 :: v_dual_mov_b32 v24, 0
	s_mov_b32 s13, exec_lo
	s_delay_alu instid0(VALU_DEP_2)
	v_cmpx_ne_u16_e32 0, v0
	s_cbranch_execz .LBB6_1354
; %bb.1349:                             ;   in Loop: Header=BB6_356 Depth=4
	v_bfrev_b32_e32 v24, 1
	s_mov_b32 s73, exec_lo
	v_cmpx_ne_u16_e32 0x80, v0
	s_cbranch_execz .LBB6_1353
; %bb.1350:                             ;   in Loop: Header=BB6_356 Depth=4
	v_and_b32_e32 v0, 0x7f, v20
	v_mov_b32_e32 v24, 0x7f800001
	s_mov_b32 s74, exec_lo
	s_delay_alu instid0(VALU_DEP_2)
	v_cmpx_ne_u32_e32 0x7f, v0
	s_cbranch_execz .LBB6_1352
; %bb.1351:                             ;   in Loop: Header=BB6_356 Depth=4
	v_and_b32_e32 v24, 7, v20
	v_lshrrev_b32_e32 v25, 3, v0
	v_cmp_gt_u32_e32 vcc_lo, 8, v0
	s_delay_alu instid0(VALU_DEP_3) | instskip(NEXT) | instid1(VALU_DEP_1)
	v_clz_i32_u32_e32 v0, v24
	v_min_u32_e32 v0, 32, v0
	s_delay_alu instid0(VALU_DEP_1) | instskip(SKIP_1) | instid1(VALU_DEP_2)
	v_subrev_nc_u32_e32 v24, 28, v0
	v_sub_nc_u32_e32 v0, 29, v0
	v_cndmask_b32_e32 v24, 0, v24, vcc_lo
	s_delay_alu instid0(VALU_DEP_2) | instskip(NEXT) | instid1(VALU_DEP_2)
	v_cndmask_b32_e32 v0, v25, v0, vcc_lo
	v_lshlrev_b64_e32 v[24:25], v24, v[20:21]
	v_lshlrev_b32_e32 v25, 24, v20
	s_delay_alu instid0(VALU_DEP_3) | instskip(NEXT) | instid1(VALU_DEP_2)
	v_lshl_add_u32 v0, v0, 23, 0x3c000000
	v_and_b32_e32 v25, 0x80000000, v25
	s_delay_alu instid0(VALU_DEP_4) | instskip(NEXT) | instid1(VALU_DEP_1)
	v_lshlrev_b32_e32 v24, 20, v24
	v_and_b32_e32 v24, 0x700000, v24
	s_delay_alu instid0(VALU_DEP_1)
	v_or3_b32 v24, v24, v25, v0
.LBB6_1352:                             ;   in Loop: Header=BB6_356 Depth=4
	s_or_b32 exec_lo, exec_lo, s74
.LBB6_1353:                             ;   in Loop: Header=BB6_356 Depth=4
	s_delay_alu instid0(SALU_CYCLE_1)
	s_or_b32 exec_lo, exec_lo, s73
.LBB6_1354:                             ;   in Loop: Header=BB6_356 Depth=4
	s_delay_alu instid0(SALU_CYCLE_1) | instskip(SKIP_3) | instid1(VALU_DEP_1)
	s_or_b32 exec_lo, exec_lo, s13
	s_wait_loadcnt 0x1
	v_and_b32_e32 v0, 0xff, v16
	s_mov_b32 s13, exec_lo
	v_cmpx_ne_u16_e32 0, v0
	s_cbranch_execz .LBB6_1360
; %bb.1355:                             ;   in Loop: Header=BB6_356 Depth=4
	v_bfrev_b32_e32 v2, 1
	s_mov_b32 s73, exec_lo
	v_cmpx_ne_u16_e32 0x80, v0
	s_cbranch_execz .LBB6_1359
; %bb.1356:                             ;   in Loop: Header=BB6_356 Depth=4
	v_and_b32_e32 v0, 0x7f, v16
	v_mov_b32_e32 v2, 0x7f800001
	s_mov_b32 s74, exec_lo
	s_delay_alu instid0(VALU_DEP_2)
	v_cmpx_ne_u32_e32 0x7f, v0
	s_cbranch_execz .LBB6_1358
; %bb.1357:                             ;   in Loop: Header=BB6_356 Depth=4
	v_and_b32_e32 v2, 7, v16
	v_lshrrev_b32_e32 v25, 3, v0
	v_cmp_gt_u32_e32 vcc_lo, 8, v0
	s_delay_alu instid0(VALU_DEP_3) | instskip(NEXT) | instid1(VALU_DEP_1)
	v_clz_i32_u32_e32 v0, v2
	v_min_u32_e32 v0, 32, v0
	s_delay_alu instid0(VALU_DEP_1) | instskip(NEXT) | instid1(VALU_DEP_1)
	v_subrev_nc_u32_e32 v2, 28, v0
	v_dual_sub_nc_u32 v0, 29, v0 :: v_dual_cndmask_b32 v2, 0, v2, vcc_lo
	s_delay_alu instid0(VALU_DEP_1) | instskip(SKIP_1) | instid1(VALU_DEP_3)
	v_cndmask_b32_e32 v0, v25, v0, vcc_lo
	v_lshlrev_b32_e32 v25, 24, v16
	v_lshlrev_b64_e32 v[26:27], v2, v[16:17]
	s_delay_alu instid0(VALU_DEP_3) | instskip(NEXT) | instid1(VALU_DEP_3)
	v_lshl_add_u32 v0, v0, 23, 0x3c000000
	v_and_b32_e32 v25, 0x80000000, v25
	s_delay_alu instid0(VALU_DEP_3) | instskip(NEXT) | instid1(VALU_DEP_1)
	v_lshlrev_b32_e32 v2, 20, v26
	v_and_b32_e32 v2, 0x700000, v2
	s_delay_alu instid0(VALU_DEP_1)
	v_or3_b32 v2, v2, v25, v0
.LBB6_1358:                             ;   in Loop: Header=BB6_356 Depth=4
	s_or_b32 exec_lo, exec_lo, s74
.LBB6_1359:                             ;   in Loop: Header=BB6_356 Depth=4
	s_delay_alu instid0(SALU_CYCLE_1)
	s_or_b32 exec_lo, exec_lo, s73
.LBB6_1360:                             ;   in Loop: Header=BB6_356 Depth=4
	s_delay_alu instid0(SALU_CYCLE_1) | instskip(NEXT) | instid1(VALU_DEP_1)
	s_or_b32 exec_lo, exec_lo, s13
	v_add_f32_e32 v0, v24, v2
                                        ; implicit-def: $vgpr34
	s_mov_b32 s13, exec_lo
	s_delay_alu instid0(VALU_DEP_1) | instskip(SKIP_1) | instid1(VALU_DEP_2)
	v_and_b32_e32 v2, 0x7f800000, v0
	v_lshrrev_b32_e32 v24, 24, v0
	v_cmpx_ne_u64_e32 0x7f800000, v[2:3]
	s_xor_b32 s73, exec_lo, s13
	s_cbranch_execz .LBB6_1374
; %bb.1361:                             ;   in Loop: Header=BB6_356 Depth=4
	v_and_b32_e32 v2, 0x7fffffff, v0
	v_and_b32_e32 v35, 0x80, v24
                                        ; implicit-def: $vgpr34
	s_mov_b32 s13, exec_lo
	s_delay_alu instid0(VALU_DEP_2)
	v_cmpx_gt_u64_e32 0x43e00001, v[2:3]
	s_xor_b32 s74, exec_lo, s13
	s_cbranch_execz .LBB6_1371
; %bb.1362:                             ;   in Loop: Header=BB6_356 Depth=4
	v_mov_b32_e32 v34, 0
	s_mov_b32 s75, exec_lo
	v_cmpx_ne_u32_e32 0, v0
	s_cbranch_execz .LBB6_1370
; %bb.1363:                             ;   in Loop: Header=BB6_356 Depth=4
	v_bfe_u32 v34, v0, 23, 8
	v_and_b32_e32 v2, 0x7fffff, v0
	s_delay_alu instid0(VALU_DEP_2) | instskip(SKIP_2) | instid1(VALU_DEP_4)
	v_cmp_gt_u32_e64 s13, 0x7a, v34
	v_sub_nc_u32_e32 v0, 0x79, v34
	v_cmp_eq_u32_e32 vcc_lo, 0, v34
	v_or_b32_e32 v24, 0x800000, v2
	s_delay_alu instid0(VALU_DEP_1) | instskip(NEXT) | instid1(VALU_DEP_1)
	v_dual_cndmask_b32 v0, 0, v0, s13 :: v_dual_cndmask_b32 v2, v24, v2, vcc_lo
	v_cndmask_b32_e64 v0, v0, 0x78, vcc_lo
	s_delay_alu instid0(VALU_DEP_1) | instskip(NEXT) | instid1(VALU_DEP_1)
	v_dual_add_nc_u32 v24, 20, v0 :: v_dual_add_nc_u32 v26, 19, v0
	v_lshlrev_b64_e64 v[24:25], v24, -1
	s_delay_alu instid0(VALU_DEP_2) | instskip(NEXT) | instid1(VALU_DEP_2)
	v_lshlrev_b64_e64 v[26:27], v26, 1
	v_bfi_b32 v25, v25, 0, 0
	s_delay_alu instid0(VALU_DEP_3) | instskip(NEXT) | instid1(VALU_DEP_1)
	v_bfi_b32 v24, v24, 0, v2
	v_cmp_eq_u64_e64 s13, v[24:25], v[26:27]
	v_lshrrev_b64 v[24:25], v0, v[2:3]
	s_delay_alu instid0(VALU_DEP_1)
	v_mov_b64_e32 v[26:27], v[24:25]
	s_and_saveexec_b32 s76, s13
; %bb.1364:                             ;   in Loop: Header=BB6_356 Depth=4
	v_bfe_u32 v2, v24, 20, 1
	s_delay_alu instid0(VALU_DEP_1) | instskip(NEXT) | instid1(VALU_DEP_1)
	v_add_nc_u64_e32 v[26:27], v[24:25], v[2:3]
	v_add_nc_u64_e32 v[26:27], -1, v[26:27]
; %bb.1365:                             ;   in Loop: Header=BB6_356 Depth=4
	s_or_b32 exec_lo, exec_lo, s76
	v_add_nc_u32_e32 v2, 0xffffff81, v34
	v_lshrrev_b32_e32 v25, 23, v24
	s_mov_b32 s13, exec_lo
	s_delay_alu instid0(VALU_DEP_2) | instskip(NEXT) | instid1(VALU_DEP_1)
	v_cndmask_b32_e64 v2, v2, 0xffffff82, vcc_lo
	v_add3_u32 v27, v0, v2, v25
	v_and_b32_e32 v0, 0xfffff, v26
	s_delay_alu instid0(VALU_DEP_1) | instskip(NEXT) | instid1(VALU_DEP_1)
	v_dual_add_nc_u32 v26, 6, v27 :: v_dual_add_nc_u32 v2, v0, v24
                                        ; implicit-def: $vgpr24_vgpr25
                                        ; implicit-def: $vgpr0
	v_cmpx_ne_u32_e32 0, v26
	s_xor_b32 s13, exec_lo, s13
; %bb.1366:                             ;   in Loop: Header=BB6_356 Depth=4
	s_delay_alu instid0(VALU_DEP_2) | instskip(SKIP_2) | instid1(VALU_DEP_2)
	v_cmp_lt_u64_e32 vcc_lo, 0xffffff, v[2:3]
	v_add_nc_u32_e32 v0, 7, v27
	v_cndmask_b32_e64 v24, 0, 1, vcc_lo
	v_cndmask_b32_e32 v0, v26, v0, vcc_lo
	s_delay_alu instid0(VALU_DEP_2)
	v_lshrrev_b64 v[24:25], v24, v[2:3]
; %bb.1367:                             ;   in Loop: Header=BB6_356 Depth=4
	s_and_not1_saveexec_b32 s13, s13
; %bb.1368:                             ;   in Loop: Header=BB6_356 Depth=4
	v_mov_b64_e32 v[24:25], v[2:3]
	v_bfe_u32 v0, v2, 23, 1
; %bb.1369:                             ;   in Loop: Header=BB6_356 Depth=4
	s_or_b32 exec_lo, exec_lo, s13
	s_delay_alu instid0(VALU_DEP_2) | instskip(NEXT) | instid1(VALU_DEP_2)
	v_lshrrev_b64 v[24:25], 20, v[24:25]
	v_cmp_gt_i32_e32 vcc_lo, 16, v0
	v_min_i32_e32 v2, 15, v0
	v_cmp_eq_u32_e64 s13, 0, v0
	s_delay_alu instid0(VALU_DEP_2) | instskip(SKIP_1) | instid1(VALU_DEP_2)
	v_dual_cndmask_b32 v25, 0, v25 :: v_dual_lshlrev_b32 v2, 3, v2
	v_cndmask_b32_e32 v24, 7, v24, vcc_lo
	v_and_b32_e32 v2, 0xf8, v2
	s_delay_alu instid0(VALU_DEP_2) | instskip(NEXT) | instid1(VALU_DEP_2)
	v_cmp_eq_u64_e32 vcc_lo, 0, v[24:25]
	v_and_or_b32 v0, v24, 7, v2
	s_and_b32 s13, s13, vcc_lo
	s_delay_alu instid0(VALU_DEP_1) | instid1(SALU_CYCLE_1)
	v_cndmask_b32_e64 v0, v0, 0, s13
	s_delay_alu instid0(VALU_DEP_1)
	v_or_b32_e32 v34, v0, v35
.LBB6_1370:                             ;   in Loop: Header=BB6_356 Depth=4
	s_or_b32 exec_lo, exec_lo, s75
                                        ; implicit-def: $vgpr35
.LBB6_1371:                             ;   in Loop: Header=BB6_356 Depth=4
	s_and_not1_saveexec_b32 s13, s74
; %bb.1372:                             ;   in Loop: Header=BB6_356 Depth=4
	v_or_b32_e32 v34, 0x7e, v35
; %bb.1373:                             ;   in Loop: Header=BB6_356 Depth=4
	s_or_b32 exec_lo, exec_lo, s13
                                        ; implicit-def: $vgpr24
.LBB6_1374:                             ;   in Loop: Header=BB6_356 Depth=4
	s_and_not1_saveexec_b32 s13, s73
; %bb.1375:                             ;   in Loop: Header=BB6_356 Depth=4
	v_or_b32_e32 v34, 0x7f, v24
; %bb.1376:                             ;   in Loop: Header=BB6_356 Depth=4
	s_or_b32 exec_lo, exec_lo, s13
	v_lshrrev_b16 v0, 8, v20
	v_dual_mov_b32 v24, 0 :: v_dual_mov_b32 v25, 0
	s_mov_b32 s13, exec_lo
	s_delay_alu instid0(VALU_DEP_2)
	v_cmpx_ne_u16_e32 0, v0
	s_cbranch_execz .LBB6_1384
; %bb.1377:                             ;   in Loop: Header=BB6_356 Depth=4
	v_bfrev_b32_e32 v25, 1
	s_mov_b32 s73, exec_lo
	v_cmpx_ne_u16_e32 0x80, v0
	s_cbranch_execz .LBB6_1383
; %bb.1378:                             ;   in Loop: Header=BB6_356 Depth=4
	v_and_b32_e32 v0, 0xffff, v0
	v_mov_b32_e32 v25, 0x7f800001
	s_mov_b32 s74, exec_lo
	s_delay_alu instid0(VALU_DEP_2) | instskip(NEXT) | instid1(VALU_DEP_1)
	v_and_b32_e32 v26, 0x7f, v0
	v_cmpx_ne_u32_e32 0x7f, v26
	s_cbranch_execz .LBB6_1382
; %bb.1379:                             ;   in Loop: Header=BB6_356 Depth=4
	v_dual_lshrrev_b32 v0, 3, v26 :: v_dual_bitop2_b32 v2, 7, v0 bitop3:0x40
	s_mov_b32 s75, exec_lo
	v_cmpx_gt_u32_e32 8, v26
; %bb.1380:                             ;   in Loop: Header=BB6_356 Depth=4
	s_delay_alu instid0(VALU_DEP_2) | instskip(NEXT) | instid1(VALU_DEP_1)
	v_clz_i32_u32_e32 v0, v2
	v_min_u32_e32 v0, 32, v0
	s_delay_alu instid0(VALU_DEP_1) | instskip(NEXT) | instid1(VALU_DEP_1)
	v_subrev_nc_u32_e32 v25, 28, v0
	v_lshlrev_b64_e32 v[26:27], v25, v[2:3]
	s_delay_alu instid0(VALU_DEP_1)
	v_dual_sub_nc_u32 v0, 29, v0 :: v_dual_bitop2_b32 v2, 7, v26 bitop3:0x40
; %bb.1381:                             ;   in Loop: Header=BB6_356 Depth=4
	s_or_b32 exec_lo, exec_lo, s75
	s_delay_alu instid0(VALU_DEP_1) | instskip(NEXT) | instid1(VALU_DEP_2)
	v_dual_lshlrev_b32 v25, 16, v20 :: v_dual_lshlrev_b32 v2, 20, v2
	v_lshl_add_u32 v0, v0, 23, 0x3c000000
	s_delay_alu instid0(VALU_DEP_2) | instskip(NEXT) | instid1(VALU_DEP_1)
	v_and_b32_e32 v25, 0x80000000, v25
	v_or3_b32 v25, v2, v25, v0
.LBB6_1382:                             ;   in Loop: Header=BB6_356 Depth=4
	s_or_b32 exec_lo, exec_lo, s74
.LBB6_1383:                             ;   in Loop: Header=BB6_356 Depth=4
	s_delay_alu instid0(SALU_CYCLE_1)
	s_or_b32 exec_lo, exec_lo, s73
.LBB6_1384:                             ;   in Loop: Header=BB6_356 Depth=4
	s_delay_alu instid0(SALU_CYCLE_1) | instskip(SKIP_2) | instid1(VALU_DEP_1)
	s_or_b32 exec_lo, exec_lo, s13
	v_lshrrev_b16 v0, 8, v16
	s_mov_b32 s13, exec_lo
	v_cmpx_ne_u16_e32 0, v0
	s_cbranch_execz .LBB6_1392
; %bb.1385:                             ;   in Loop: Header=BB6_356 Depth=4
	v_bfrev_b32_e32 v24, 1
	s_mov_b32 s73, exec_lo
	v_cmpx_ne_u16_e32 0x80, v0
	s_cbranch_execz .LBB6_1391
; %bb.1386:                             ;   in Loop: Header=BB6_356 Depth=4
	v_and_b32_e32 v0, 0xffff, v0
	v_mov_b32_e32 v24, 0x7f800001
	s_mov_b32 s74, exec_lo
	s_delay_alu instid0(VALU_DEP_2) | instskip(NEXT) | instid1(VALU_DEP_1)
	v_and_b32_e32 v26, 0x7f, v0
	v_cmpx_ne_u32_e32 0x7f, v26
	s_cbranch_execz .LBB6_1390
; %bb.1387:                             ;   in Loop: Header=BB6_356 Depth=4
	v_dual_lshrrev_b32 v0, 3, v26 :: v_dual_bitop2_b32 v2, 7, v0 bitop3:0x40
	s_mov_b32 s75, exec_lo
	v_cmpx_gt_u32_e32 8, v26
; %bb.1388:                             ;   in Loop: Header=BB6_356 Depth=4
	s_delay_alu instid0(VALU_DEP_2) | instskip(NEXT) | instid1(VALU_DEP_1)
	v_clz_i32_u32_e32 v0, v2
	v_min_u32_e32 v0, 32, v0
	s_delay_alu instid0(VALU_DEP_1) | instskip(NEXT) | instid1(VALU_DEP_1)
	v_subrev_nc_u32_e32 v24, 28, v0
	v_lshlrev_b64_e32 v[26:27], v24, v[2:3]
	s_delay_alu instid0(VALU_DEP_1)
	v_dual_sub_nc_u32 v0, 29, v0 :: v_dual_bitop2_b32 v2, 7, v26 bitop3:0x40
; %bb.1389:                             ;   in Loop: Header=BB6_356 Depth=4
	s_or_b32 exec_lo, exec_lo, s75
	s_delay_alu instid0(VALU_DEP_1) | instskip(NEXT) | instid1(VALU_DEP_2)
	v_dual_lshlrev_b32 v24, 16, v16 :: v_dual_lshlrev_b32 v2, 20, v2
	v_lshl_add_u32 v0, v0, 23, 0x3c000000
	s_delay_alu instid0(VALU_DEP_2) | instskip(NEXT) | instid1(VALU_DEP_1)
	v_and_b32_e32 v24, 0x80000000, v24
	v_or3_b32 v24, v2, v24, v0
.LBB6_1390:                             ;   in Loop: Header=BB6_356 Depth=4
	s_or_b32 exec_lo, exec_lo, s74
.LBB6_1391:                             ;   in Loop: Header=BB6_356 Depth=4
	s_delay_alu instid0(SALU_CYCLE_1)
	s_or_b32 exec_lo, exec_lo, s73
.LBB6_1392:                             ;   in Loop: Header=BB6_356 Depth=4
	s_delay_alu instid0(SALU_CYCLE_1) | instskip(NEXT) | instid1(VALU_DEP_1)
	s_or_b32 exec_lo, exec_lo, s13
	v_add_f32_e32 v0, v25, v24
                                        ; implicit-def: $vgpr35
	s_mov_b32 s13, exec_lo
	s_delay_alu instid0(VALU_DEP_1) | instskip(SKIP_1) | instid1(VALU_DEP_2)
	v_and_b32_e32 v2, 0x7f800000, v0
	v_lshrrev_b32_e32 v24, 24, v0
	v_cmpx_ne_u64_e32 0x7f800000, v[2:3]
	s_xor_b32 s73, exec_lo, s13
	s_cbranch_execz .LBB6_1406
; %bb.1393:                             ;   in Loop: Header=BB6_356 Depth=4
	v_and_b32_e32 v2, 0x7fffffff, v0
	v_and_b32_e32 v66, 0x80, v24
                                        ; implicit-def: $vgpr35
	s_mov_b32 s13, exec_lo
	s_delay_alu instid0(VALU_DEP_2)
	v_cmpx_gt_u64_e32 0x43e00001, v[2:3]
	s_xor_b32 s74, exec_lo, s13
	s_cbranch_execz .LBB6_1403
; %bb.1394:                             ;   in Loop: Header=BB6_356 Depth=4
	v_mov_b32_e32 v35, 0
	s_mov_b32 s75, exec_lo
	v_cmpx_ne_u32_e32 0, v0
	s_cbranch_execz .LBB6_1402
; %bb.1395:                             ;   in Loop: Header=BB6_356 Depth=4
	v_bfe_u32 v35, v0, 23, 8
	v_and_b32_e32 v2, 0x7fffff, v0
	s_delay_alu instid0(VALU_DEP_2) | instskip(SKIP_2) | instid1(VALU_DEP_4)
	v_cmp_gt_u32_e64 s13, 0x7a, v35
	v_sub_nc_u32_e32 v0, 0x79, v35
	v_cmp_eq_u32_e32 vcc_lo, 0, v35
	v_or_b32_e32 v24, 0x800000, v2
	s_delay_alu instid0(VALU_DEP_1) | instskip(NEXT) | instid1(VALU_DEP_1)
	v_dual_cndmask_b32 v0, 0, v0, s13 :: v_dual_cndmask_b32 v2, v24, v2, vcc_lo
	v_cndmask_b32_e64 v0, v0, 0x78, vcc_lo
	s_delay_alu instid0(VALU_DEP_1) | instskip(NEXT) | instid1(VALU_DEP_1)
	v_dual_add_nc_u32 v24, 20, v0 :: v_dual_add_nc_u32 v26, 19, v0
	v_lshlrev_b64_e64 v[24:25], v24, -1
	s_delay_alu instid0(VALU_DEP_2) | instskip(NEXT) | instid1(VALU_DEP_2)
	v_lshlrev_b64_e64 v[26:27], v26, 1
	v_bfi_b32 v25, v25, 0, 0
	s_delay_alu instid0(VALU_DEP_3) | instskip(NEXT) | instid1(VALU_DEP_1)
	v_bfi_b32 v24, v24, 0, v2
	v_cmp_eq_u64_e64 s13, v[24:25], v[26:27]
	v_lshrrev_b64 v[24:25], v0, v[2:3]
	s_delay_alu instid0(VALU_DEP_1)
	v_mov_b64_e32 v[26:27], v[24:25]
	s_and_saveexec_b32 s76, s13
; %bb.1396:                             ;   in Loop: Header=BB6_356 Depth=4
	v_bfe_u32 v2, v24, 20, 1
	s_delay_alu instid0(VALU_DEP_1) | instskip(NEXT) | instid1(VALU_DEP_1)
	v_add_nc_u64_e32 v[26:27], v[24:25], v[2:3]
	v_add_nc_u64_e32 v[26:27], -1, v[26:27]
; %bb.1397:                             ;   in Loop: Header=BB6_356 Depth=4
	s_or_b32 exec_lo, exec_lo, s76
	v_add_nc_u32_e32 v2, 0xffffff81, v35
	v_lshrrev_b32_e32 v25, 23, v24
	s_mov_b32 s13, exec_lo
	s_delay_alu instid0(VALU_DEP_2) | instskip(NEXT) | instid1(VALU_DEP_1)
	v_cndmask_b32_e64 v2, v2, 0xffffff82, vcc_lo
	v_add3_u32 v27, v0, v2, v25
	v_and_b32_e32 v0, 0xfffff, v26
	s_delay_alu instid0(VALU_DEP_1) | instskip(NEXT) | instid1(VALU_DEP_1)
	v_dual_add_nc_u32 v26, 6, v27 :: v_dual_add_nc_u32 v2, v0, v24
                                        ; implicit-def: $vgpr24_vgpr25
                                        ; implicit-def: $vgpr0
	v_cmpx_ne_u32_e32 0, v26
	s_xor_b32 s13, exec_lo, s13
; %bb.1398:                             ;   in Loop: Header=BB6_356 Depth=4
	s_delay_alu instid0(VALU_DEP_2) | instskip(SKIP_2) | instid1(VALU_DEP_2)
	v_cmp_lt_u64_e32 vcc_lo, 0xffffff, v[2:3]
	v_add_nc_u32_e32 v0, 7, v27
	v_cndmask_b32_e64 v24, 0, 1, vcc_lo
	v_cndmask_b32_e32 v0, v26, v0, vcc_lo
	s_delay_alu instid0(VALU_DEP_2)
	v_lshrrev_b64 v[24:25], v24, v[2:3]
; %bb.1399:                             ;   in Loop: Header=BB6_356 Depth=4
	s_and_not1_saveexec_b32 s13, s13
; %bb.1400:                             ;   in Loop: Header=BB6_356 Depth=4
	v_mov_b64_e32 v[24:25], v[2:3]
	v_bfe_u32 v0, v2, 23, 1
; %bb.1401:                             ;   in Loop: Header=BB6_356 Depth=4
	s_or_b32 exec_lo, exec_lo, s13
	s_delay_alu instid0(VALU_DEP_2) | instskip(NEXT) | instid1(VALU_DEP_2)
	v_lshrrev_b64 v[24:25], 20, v[24:25]
	v_cmp_gt_i32_e32 vcc_lo, 16, v0
	v_min_i32_e32 v2, 15, v0
	v_cmp_eq_u32_e64 s13, 0, v0
	s_delay_alu instid0(VALU_DEP_2) | instskip(SKIP_1) | instid1(VALU_DEP_2)
	v_dual_cndmask_b32 v25, 0, v25 :: v_dual_lshlrev_b32 v2, 3, v2
	v_cndmask_b32_e32 v24, 7, v24, vcc_lo
	v_and_b32_e32 v2, 0xf8, v2
	s_delay_alu instid0(VALU_DEP_2) | instskip(NEXT) | instid1(VALU_DEP_2)
	v_cmp_eq_u64_e32 vcc_lo, 0, v[24:25]
	v_and_or_b32 v0, v24, 7, v2
	s_and_b32 s13, s13, vcc_lo
	s_delay_alu instid0(VALU_DEP_1) | instid1(SALU_CYCLE_1)
	v_cndmask_b32_e64 v0, v0, 0, s13
	s_delay_alu instid0(VALU_DEP_1)
	v_or_b32_e32 v35, v0, v66
.LBB6_1402:                             ;   in Loop: Header=BB6_356 Depth=4
	s_or_b32 exec_lo, exec_lo, s75
                                        ; implicit-def: $vgpr66
.LBB6_1403:                             ;   in Loop: Header=BB6_356 Depth=4
	s_and_not1_saveexec_b32 s13, s74
; %bb.1404:                             ;   in Loop: Header=BB6_356 Depth=4
	v_or_b32_e32 v35, 0x7e, v66
; %bb.1405:                             ;   in Loop: Header=BB6_356 Depth=4
	s_or_b32 exec_lo, exec_lo, s13
                                        ; implicit-def: $vgpr24
.LBB6_1406:                             ;   in Loop: Header=BB6_356 Depth=4
	s_and_not1_saveexec_b32 s13, s73
; %bb.1407:                             ;   in Loop: Header=BB6_356 Depth=4
	v_or_b32_e32 v35, 0x7f, v24
; %bb.1408:                             ;   in Loop: Header=BB6_356 Depth=4
	s_or_b32 exec_lo, exec_lo, s13
	v_dual_lshrrev_b32 v0, 16, v20 :: v_dual_mov_b32 v24, 0
	v_mov_b32_e32 v25, 0
	s_mov_b32 s13, exec_lo
	s_delay_alu instid0(VALU_DEP_2) | instskip(NEXT) | instid1(VALU_DEP_1)
	v_and_b32_e32 v2, 0xff, v0
	v_cmpx_ne_u16_e32 0, v2
	s_cbranch_execz .LBB6_1416
; %bb.1409:                             ;   in Loop: Header=BB6_356 Depth=4
	v_bfrev_b32_e32 v25, 1
	s_mov_b32 s73, exec_lo
	v_cmpx_ne_u16_e32 0x80, v2
	s_cbranch_execz .LBB6_1415
; %bb.1410:                             ;   in Loop: Header=BB6_356 Depth=4
	v_bfe_u32 v26, v20, 16, 7
	v_mov_b32_e32 v25, 0x7f800001
	s_mov_b32 s74, exec_lo
	s_delay_alu instid0(VALU_DEP_2)
	v_cmpx_ne_u32_e32 0x7f, v26
	s_cbranch_execz .LBB6_1414
; %bb.1411:                             ;   in Loop: Header=BB6_356 Depth=4
	v_dual_lshrrev_b32 v25, 3, v26 :: v_dual_bitop2_b32 v2, 7, v0 bitop3:0x40
	s_mov_b32 s75, exec_lo
	v_cmpx_gt_u32_e32 8, v26
; %bb.1412:                             ;   in Loop: Header=BB6_356 Depth=4
	s_delay_alu instid0(VALU_DEP_2) | instskip(NEXT) | instid1(VALU_DEP_1)
	v_clz_i32_u32_e32 v25, v2
	v_min_u32_e32 v25, 32, v25
	s_delay_alu instid0(VALU_DEP_1) | instskip(NEXT) | instid1(VALU_DEP_1)
	v_subrev_nc_u32_e32 v26, 28, v25
	v_lshlrev_b64_e32 v[26:27], v26, v[2:3]
	s_delay_alu instid0(VALU_DEP_1)
	v_dual_sub_nc_u32 v25, 29, v25 :: v_dual_bitop2_b32 v2, 7, v26 bitop3:0x40
; %bb.1413:                             ;   in Loop: Header=BB6_356 Depth=4
	s_or_b32 exec_lo, exec_lo, s75
	s_delay_alu instid0(VALU_DEP_1) | instskip(NEXT) | instid1(VALU_DEP_2)
	v_dual_lshlrev_b32 v0, 24, v0 :: v_dual_lshlrev_b32 v2, 20, v2
	v_lshl_add_u32 v25, v25, 23, 0x3c000000
	s_delay_alu instid0(VALU_DEP_2) | instskip(NEXT) | instid1(VALU_DEP_1)
	v_and_b32_e32 v0, 0x80000000, v0
	v_or3_b32 v25, v2, v0, v25
.LBB6_1414:                             ;   in Loop: Header=BB6_356 Depth=4
	s_or_b32 exec_lo, exec_lo, s74
.LBB6_1415:                             ;   in Loop: Header=BB6_356 Depth=4
	s_delay_alu instid0(SALU_CYCLE_1)
	s_or_b32 exec_lo, exec_lo, s73
.LBB6_1416:                             ;   in Loop: Header=BB6_356 Depth=4
	s_delay_alu instid0(SALU_CYCLE_1) | instskip(SKIP_2) | instid1(VALU_DEP_1)
	s_or_b32 exec_lo, exec_lo, s13
	v_lshrrev_b32_e32 v0, 16, v16
	s_mov_b32 s13, exec_lo
	v_and_b32_e32 v2, 0xff, v0
	s_delay_alu instid0(VALU_DEP_1)
	v_cmpx_ne_u16_e32 0, v2
	s_cbranch_execz .LBB6_1424
; %bb.1417:                             ;   in Loop: Header=BB6_356 Depth=4
	v_bfrev_b32_e32 v24, 1
	s_mov_b32 s73, exec_lo
	v_cmpx_ne_u16_e32 0x80, v2
	s_cbranch_execz .LBB6_1423
; %bb.1418:                             ;   in Loop: Header=BB6_356 Depth=4
	v_bfe_u32 v26, v16, 16, 7
	v_mov_b32_e32 v24, 0x7f800001
	s_mov_b32 s74, exec_lo
	s_delay_alu instid0(VALU_DEP_2)
	v_cmpx_ne_u32_e32 0x7f, v26
	s_cbranch_execz .LBB6_1422
; %bb.1419:                             ;   in Loop: Header=BB6_356 Depth=4
	v_dual_lshrrev_b32 v0, 3, v26 :: v_dual_bitop2_b32 v2, 7, v0 bitop3:0x40
	s_mov_b32 s75, exec_lo
	v_cmpx_gt_u32_e32 8, v26
; %bb.1420:                             ;   in Loop: Header=BB6_356 Depth=4
	s_delay_alu instid0(VALU_DEP_2) | instskip(NEXT) | instid1(VALU_DEP_1)
	v_clz_i32_u32_e32 v0, v2
	v_min_u32_e32 v0, 32, v0
	s_delay_alu instid0(VALU_DEP_1) | instskip(NEXT) | instid1(VALU_DEP_1)
	v_subrev_nc_u32_e32 v24, 28, v0
	v_lshlrev_b64_e32 v[26:27], v24, v[2:3]
	s_delay_alu instid0(VALU_DEP_1)
	v_dual_sub_nc_u32 v0, 29, v0 :: v_dual_bitop2_b32 v2, 7, v26 bitop3:0x40
; %bb.1421:                             ;   in Loop: Header=BB6_356 Depth=4
	s_or_b32 exec_lo, exec_lo, s75
	s_delay_alu instid0(VALU_DEP_1) | instskip(NEXT) | instid1(VALU_DEP_2)
	v_dual_lshlrev_b32 v24, 8, v16 :: v_dual_lshlrev_b32 v2, 20, v2
	v_lshl_add_u32 v0, v0, 23, 0x3c000000
	s_delay_alu instid0(VALU_DEP_2) | instskip(NEXT) | instid1(VALU_DEP_1)
	v_and_b32_e32 v24, 0x80000000, v24
	v_or3_b32 v24, v2, v24, v0
.LBB6_1422:                             ;   in Loop: Header=BB6_356 Depth=4
	s_or_b32 exec_lo, exec_lo, s74
.LBB6_1423:                             ;   in Loop: Header=BB6_356 Depth=4
	s_delay_alu instid0(SALU_CYCLE_1)
	s_or_b32 exec_lo, exec_lo, s73
.LBB6_1424:                             ;   in Loop: Header=BB6_356 Depth=4
	s_delay_alu instid0(SALU_CYCLE_1) | instskip(NEXT) | instid1(VALU_DEP_1)
	s_or_b32 exec_lo, exec_lo, s13
	v_add_f32_e32 v0, v25, v24
                                        ; implicit-def: $vgpr96
	s_mov_b32 s13, exec_lo
	s_delay_alu instid0(VALU_DEP_1) | instskip(SKIP_1) | instid1(VALU_DEP_2)
	v_and_b32_e32 v2, 0x7f800000, v0
	v_lshrrev_b32_e32 v24, 24, v0
	v_cmpx_ne_u64_e32 0x7f800000, v[2:3]
	s_xor_b32 s73, exec_lo, s13
	s_cbranch_execz .LBB6_1438
; %bb.1425:                             ;   in Loop: Header=BB6_356 Depth=4
	v_and_b32_e32 v2, 0x7fffffff, v0
	v_and_b32_e32 v66, 0x80, v24
                                        ; implicit-def: $vgpr96
	s_mov_b32 s13, exec_lo
	s_delay_alu instid0(VALU_DEP_2)
	v_cmpx_gt_u64_e32 0x43e00001, v[2:3]
	s_xor_b32 s74, exec_lo, s13
	s_cbranch_execz .LBB6_1435
; %bb.1426:                             ;   in Loop: Header=BB6_356 Depth=4
	v_mov_b32_e32 v96, 0
	s_mov_b32 s75, exec_lo
	v_cmpx_ne_u32_e32 0, v0
	s_cbranch_execz .LBB6_1434
; %bb.1427:                             ;   in Loop: Header=BB6_356 Depth=4
	v_bfe_u32 v67, v0, 23, 8
	v_and_b32_e32 v2, 0x7fffff, v0
	s_delay_alu instid0(VALU_DEP_2) | instskip(SKIP_2) | instid1(VALU_DEP_4)
	v_cmp_gt_u32_e64 s13, 0x7a, v67
	v_sub_nc_u32_e32 v0, 0x79, v67
	v_cmp_eq_u32_e32 vcc_lo, 0, v67
	v_or_b32_e32 v24, 0x800000, v2
	s_delay_alu instid0(VALU_DEP_1) | instskip(NEXT) | instid1(VALU_DEP_1)
	v_dual_cndmask_b32 v0, 0, v0, s13 :: v_dual_cndmask_b32 v2, v24, v2, vcc_lo
	v_cndmask_b32_e64 v0, v0, 0x78, vcc_lo
	s_delay_alu instid0(VALU_DEP_1) | instskip(NEXT) | instid1(VALU_DEP_1)
	v_dual_add_nc_u32 v24, 20, v0 :: v_dual_add_nc_u32 v26, 19, v0
	v_lshlrev_b64_e64 v[24:25], v24, -1
	s_delay_alu instid0(VALU_DEP_2) | instskip(NEXT) | instid1(VALU_DEP_2)
	v_lshlrev_b64_e64 v[26:27], v26, 1
	v_bfi_b32 v25, v25, 0, 0
	s_delay_alu instid0(VALU_DEP_3) | instskip(NEXT) | instid1(VALU_DEP_1)
	v_bfi_b32 v24, v24, 0, v2
	v_cmp_eq_u64_e64 s13, v[24:25], v[26:27]
	v_lshrrev_b64 v[24:25], v0, v[2:3]
	s_delay_alu instid0(VALU_DEP_1)
	v_mov_b64_e32 v[26:27], v[24:25]
	s_and_saveexec_b32 s76, s13
; %bb.1428:                             ;   in Loop: Header=BB6_356 Depth=4
	v_bfe_u32 v2, v24, 20, 1
	s_delay_alu instid0(VALU_DEP_1) | instskip(NEXT) | instid1(VALU_DEP_1)
	v_add_nc_u64_e32 v[26:27], v[24:25], v[2:3]
	v_add_nc_u64_e32 v[26:27], -1, v[26:27]
; %bb.1429:                             ;   in Loop: Header=BB6_356 Depth=4
	s_or_b32 exec_lo, exec_lo, s76
	v_add_nc_u32_e32 v2, 0xffffff81, v67
	v_lshrrev_b32_e32 v25, 23, v24
	s_mov_b32 s13, exec_lo
	s_delay_alu instid0(VALU_DEP_2) | instskip(NEXT) | instid1(VALU_DEP_1)
	v_cndmask_b32_e64 v2, v2, 0xffffff82, vcc_lo
	v_add3_u32 v27, v0, v2, v25
	v_and_b32_e32 v0, 0xfffff, v26
	s_delay_alu instid0(VALU_DEP_1) | instskip(NEXT) | instid1(VALU_DEP_1)
	v_dual_add_nc_u32 v26, 6, v27 :: v_dual_add_nc_u32 v2, v0, v24
                                        ; implicit-def: $vgpr24_vgpr25
                                        ; implicit-def: $vgpr0
	v_cmpx_ne_u32_e32 0, v26
	s_xor_b32 s13, exec_lo, s13
; %bb.1430:                             ;   in Loop: Header=BB6_356 Depth=4
	s_delay_alu instid0(VALU_DEP_2) | instskip(SKIP_2) | instid1(VALU_DEP_2)
	v_cmp_lt_u64_e32 vcc_lo, 0xffffff, v[2:3]
	v_add_nc_u32_e32 v0, 7, v27
	v_cndmask_b32_e64 v24, 0, 1, vcc_lo
	v_cndmask_b32_e32 v0, v26, v0, vcc_lo
	s_delay_alu instid0(VALU_DEP_2)
	v_lshrrev_b64 v[24:25], v24, v[2:3]
; %bb.1431:                             ;   in Loop: Header=BB6_356 Depth=4
	s_and_not1_saveexec_b32 s13, s13
; %bb.1432:                             ;   in Loop: Header=BB6_356 Depth=4
	v_mov_b64_e32 v[24:25], v[2:3]
	v_bfe_u32 v0, v2, 23, 1
; %bb.1433:                             ;   in Loop: Header=BB6_356 Depth=4
	s_or_b32 exec_lo, exec_lo, s13
	s_delay_alu instid0(VALU_DEP_2) | instskip(NEXT) | instid1(VALU_DEP_2)
	v_lshrrev_b64 v[24:25], 20, v[24:25]
	v_cmp_gt_i32_e32 vcc_lo, 16, v0
	v_min_i32_e32 v2, 15, v0
	v_cmp_eq_u32_e64 s13, 0, v0
	s_delay_alu instid0(VALU_DEP_2) | instskip(SKIP_1) | instid1(VALU_DEP_2)
	v_dual_cndmask_b32 v25, 0, v25 :: v_dual_lshlrev_b32 v2, 3, v2
	v_cndmask_b32_e32 v24, 7, v24, vcc_lo
	v_and_b32_e32 v2, 0xf8, v2
	s_delay_alu instid0(VALU_DEP_2) | instskip(NEXT) | instid1(VALU_DEP_2)
	v_cmp_eq_u64_e32 vcc_lo, 0, v[24:25]
	v_and_or_b32 v0, v24, 7, v2
	s_and_b32 s13, s13, vcc_lo
	s_delay_alu instid0(VALU_DEP_1) | instid1(SALU_CYCLE_1)
	v_cndmask_b32_e64 v0, v0, 0, s13
	s_delay_alu instid0(VALU_DEP_1)
	v_or_b32_e32 v96, v0, v66
.LBB6_1434:                             ;   in Loop: Header=BB6_356 Depth=4
	s_or_b32 exec_lo, exec_lo, s75
                                        ; implicit-def: $vgpr66
.LBB6_1435:                             ;   in Loop: Header=BB6_356 Depth=4
	s_and_not1_saveexec_b32 s13, s74
; %bb.1436:                             ;   in Loop: Header=BB6_356 Depth=4
	v_or_b32_e32 v96, 0x7e, v66
; %bb.1437:                             ;   in Loop: Header=BB6_356 Depth=4
	s_or_b32 exec_lo, exec_lo, s13
                                        ; implicit-def: $vgpr24
.LBB6_1438:                             ;   in Loop: Header=BB6_356 Depth=4
	s_and_not1_saveexec_b32 s13, s73
; %bb.1439:                             ;   in Loop: Header=BB6_356 Depth=4
	v_or_b32_e32 v96, 0x7f, v24
; %bb.1440:                             ;   in Loop: Header=BB6_356 Depth=4
	s_or_b32 exec_lo, exec_lo, s13
	v_dual_mov_b32 v24, 0 :: v_dual_mov_b32 v25, 0
	s_mov_b32 s13, exec_lo
	v_cmpx_lt_u32_e32 0xffffff, v20
	s_cbranch_execz .LBB6_1448
; %bb.1441:                             ;   in Loop: Header=BB6_356 Depth=4
	v_lshrrev_b32_e32 v0, 24, v20
	v_bfrev_b32_e32 v25, 1
	s_mov_b32 s73, exec_lo
	s_delay_alu instid0(VALU_DEP_2)
	v_cmpx_ne_u32_e32 0x80, v0
	s_cbranch_execz .LBB6_1447
; %bb.1442:                             ;   in Loop: Header=BB6_356 Depth=4
	v_bfe_u32 v26, v20, 24, 7
	v_mov_b32_e32 v25, 0x7f800001
	s_mov_b32 s74, exec_lo
	s_delay_alu instid0(VALU_DEP_2)
	v_cmpx_ne_u32_e32 0x7f, v26
	s_cbranch_execz .LBB6_1446
; %bb.1443:                             ;   in Loop: Header=BB6_356 Depth=4
	v_dual_lshrrev_b32 v25, 3, v26 :: v_dual_bitop2_b32 v2, 7, v0 bitop3:0x40
	s_mov_b32 s75, exec_lo
	v_cmpx_gt_u32_e32 8, v26
; %bb.1444:                             ;   in Loop: Header=BB6_356 Depth=4
	s_delay_alu instid0(VALU_DEP_2) | instskip(NEXT) | instid1(VALU_DEP_1)
	v_clz_i32_u32_e32 v25, v2
	v_min_u32_e32 v25, 32, v25
	s_delay_alu instid0(VALU_DEP_1) | instskip(NEXT) | instid1(VALU_DEP_1)
	v_subrev_nc_u32_e32 v26, 28, v25
	v_lshlrev_b64_e32 v[26:27], v26, v[2:3]
	s_delay_alu instid0(VALU_DEP_1)
	v_dual_sub_nc_u32 v25, 29, v25 :: v_dual_bitop2_b32 v2, 7, v26 bitop3:0x40
; %bb.1445:                             ;   in Loop: Header=BB6_356 Depth=4
	s_or_b32 exec_lo, exec_lo, s75
	s_delay_alu instid0(VALU_DEP_1) | instskip(NEXT) | instid1(VALU_DEP_2)
	v_dual_lshlrev_b32 v0, 24, v0 :: v_dual_lshlrev_b32 v2, 20, v2
	v_lshl_add_u32 v25, v25, 23, 0x3c000000
	s_delay_alu instid0(VALU_DEP_2) | instskip(NEXT) | instid1(VALU_DEP_1)
	v_and_b32_e32 v0, 0x80000000, v0
	v_or3_b32 v25, v2, v0, v25
.LBB6_1446:                             ;   in Loop: Header=BB6_356 Depth=4
	s_or_b32 exec_lo, exec_lo, s74
.LBB6_1447:                             ;   in Loop: Header=BB6_356 Depth=4
	s_delay_alu instid0(SALU_CYCLE_1)
	s_or_b32 exec_lo, exec_lo, s73
.LBB6_1448:                             ;   in Loop: Header=BB6_356 Depth=4
	s_delay_alu instid0(SALU_CYCLE_1) | instskip(NEXT) | instid1(SALU_CYCLE_1)
	s_or_b32 exec_lo, exec_lo, s13
	s_mov_b32 s13, exec_lo
	v_cmpx_lt_u32_e32 0xffffff, v16
	s_cbranch_execz .LBB6_1456
; %bb.1449:                             ;   in Loop: Header=BB6_356 Depth=4
	v_lshrrev_b32_e32 v0, 24, v16
	v_bfrev_b32_e32 v24, 1
	s_mov_b32 s73, exec_lo
	s_delay_alu instid0(VALU_DEP_2)
	v_cmpx_ne_u32_e32 0x80, v0
	s_cbranch_execz .LBB6_1455
; %bb.1450:                             ;   in Loop: Header=BB6_356 Depth=4
	v_bfe_u32 v26, v16, 24, 7
	v_mov_b32_e32 v24, 0x7f800001
	s_mov_b32 s74, exec_lo
	s_delay_alu instid0(VALU_DEP_2)
	v_cmpx_ne_u32_e32 0x7f, v26
	s_cbranch_execz .LBB6_1454
; %bb.1451:                             ;   in Loop: Header=BB6_356 Depth=4
	v_dual_lshrrev_b32 v24, 3, v26 :: v_dual_bitop2_b32 v2, 7, v0 bitop3:0x40
	s_mov_b32 s75, exec_lo
	v_cmpx_gt_u32_e32 8, v26
; %bb.1452:                             ;   in Loop: Header=BB6_356 Depth=4
	s_delay_alu instid0(VALU_DEP_2) | instskip(NEXT) | instid1(VALU_DEP_1)
	v_clz_i32_u32_e32 v24, v2
	v_min_u32_e32 v24, 32, v24
	s_delay_alu instid0(VALU_DEP_1) | instskip(NEXT) | instid1(VALU_DEP_1)
	v_subrev_nc_u32_e32 v26, 28, v24
	v_lshlrev_b64_e32 v[26:27], v26, v[2:3]
	s_delay_alu instid0(VALU_DEP_1)
	v_dual_sub_nc_u32 v24, 29, v24 :: v_dual_bitop2_b32 v2, 7, v26 bitop3:0x40
; %bb.1453:                             ;   in Loop: Header=BB6_356 Depth=4
	s_or_b32 exec_lo, exec_lo, s75
	s_delay_alu instid0(VALU_DEP_1) | instskip(NEXT) | instid1(VALU_DEP_2)
	v_dual_lshlrev_b32 v0, 24, v0 :: v_dual_lshlrev_b32 v2, 20, v2
	v_lshl_add_u32 v24, v24, 23, 0x3c000000
	s_delay_alu instid0(VALU_DEP_2) | instskip(NEXT) | instid1(VALU_DEP_1)
	v_and_b32_e32 v0, 0x80000000, v0
	v_or3_b32 v24, v2, v0, v24
.LBB6_1454:                             ;   in Loop: Header=BB6_356 Depth=4
	s_or_b32 exec_lo, exec_lo, s74
.LBB6_1455:                             ;   in Loop: Header=BB6_356 Depth=4
	s_delay_alu instid0(SALU_CYCLE_1)
	s_or_b32 exec_lo, exec_lo, s73
.LBB6_1456:                             ;   in Loop: Header=BB6_356 Depth=4
	s_delay_alu instid0(SALU_CYCLE_1) | instskip(NEXT) | instid1(VALU_DEP_1)
	s_or_b32 exec_lo, exec_lo, s13
	v_add_f32_e32 v0, v25, v24
                                        ; implicit-def: $vgpr97
	s_mov_b32 s13, exec_lo
	s_delay_alu instid0(VALU_DEP_1) | instskip(SKIP_1) | instid1(VALU_DEP_2)
	v_and_b32_e32 v2, 0x7f800000, v0
	v_lshrrev_b32_e32 v24, 24, v0
	v_cmpx_ne_u64_e32 0x7f800000, v[2:3]
	s_xor_b32 s73, exec_lo, s13
	s_cbranch_execz .LBB6_1470
; %bb.1457:                             ;   in Loop: Header=BB6_356 Depth=4
	v_and_b32_e32 v2, 0x7fffffff, v0
	v_and_b32_e32 v66, 0x80, v24
                                        ; implicit-def: $vgpr97
	s_mov_b32 s13, exec_lo
	s_delay_alu instid0(VALU_DEP_2)
	v_cmpx_gt_u64_e32 0x43e00001, v[2:3]
	s_xor_b32 s74, exec_lo, s13
	s_cbranch_execz .LBB6_1467
; %bb.1458:                             ;   in Loop: Header=BB6_356 Depth=4
	v_mov_b32_e32 v97, 0
	s_mov_b32 s75, exec_lo
	v_cmpx_ne_u32_e32 0, v0
	s_cbranch_execz .LBB6_1466
; %bb.1459:                             ;   in Loop: Header=BB6_356 Depth=4
	v_bfe_u32 v67, v0, 23, 8
	v_and_b32_e32 v2, 0x7fffff, v0
	s_delay_alu instid0(VALU_DEP_2) | instskip(SKIP_2) | instid1(VALU_DEP_4)
	v_cmp_gt_u32_e64 s13, 0x7a, v67
	v_sub_nc_u32_e32 v0, 0x79, v67
	v_cmp_eq_u32_e32 vcc_lo, 0, v67
	v_or_b32_e32 v24, 0x800000, v2
	s_delay_alu instid0(VALU_DEP_1) | instskip(NEXT) | instid1(VALU_DEP_1)
	v_dual_cndmask_b32 v0, 0, v0, s13 :: v_dual_cndmask_b32 v2, v24, v2, vcc_lo
	v_cndmask_b32_e64 v0, v0, 0x78, vcc_lo
	s_delay_alu instid0(VALU_DEP_1) | instskip(NEXT) | instid1(VALU_DEP_1)
	v_dual_add_nc_u32 v24, 20, v0 :: v_dual_add_nc_u32 v26, 19, v0
	v_lshlrev_b64_e64 v[24:25], v24, -1
	s_delay_alu instid0(VALU_DEP_2) | instskip(NEXT) | instid1(VALU_DEP_2)
	v_lshlrev_b64_e64 v[26:27], v26, 1
	v_bfi_b32 v25, v25, 0, 0
	s_delay_alu instid0(VALU_DEP_3) | instskip(NEXT) | instid1(VALU_DEP_1)
	v_bfi_b32 v24, v24, 0, v2
	v_cmp_eq_u64_e64 s13, v[24:25], v[26:27]
	v_lshrrev_b64 v[24:25], v0, v[2:3]
	s_delay_alu instid0(VALU_DEP_1)
	v_mov_b64_e32 v[26:27], v[24:25]
	s_and_saveexec_b32 s76, s13
; %bb.1460:                             ;   in Loop: Header=BB6_356 Depth=4
	v_bfe_u32 v2, v24, 20, 1
	s_delay_alu instid0(VALU_DEP_1) | instskip(NEXT) | instid1(VALU_DEP_1)
	v_add_nc_u64_e32 v[26:27], v[24:25], v[2:3]
	v_add_nc_u64_e32 v[26:27], -1, v[26:27]
; %bb.1461:                             ;   in Loop: Header=BB6_356 Depth=4
	s_or_b32 exec_lo, exec_lo, s76
	v_add_nc_u32_e32 v2, 0xffffff81, v67
	v_lshrrev_b32_e32 v25, 23, v24
	s_mov_b32 s13, exec_lo
	s_delay_alu instid0(VALU_DEP_2) | instskip(NEXT) | instid1(VALU_DEP_1)
	v_cndmask_b32_e64 v2, v2, 0xffffff82, vcc_lo
	v_add3_u32 v27, v0, v2, v25
	v_and_b32_e32 v0, 0xfffff, v26
	s_delay_alu instid0(VALU_DEP_1) | instskip(NEXT) | instid1(VALU_DEP_1)
	v_dual_add_nc_u32 v26, 6, v27 :: v_dual_add_nc_u32 v2, v0, v24
                                        ; implicit-def: $vgpr24_vgpr25
                                        ; implicit-def: $vgpr0
	v_cmpx_ne_u32_e32 0, v26
	s_xor_b32 s13, exec_lo, s13
; %bb.1462:                             ;   in Loop: Header=BB6_356 Depth=4
	s_delay_alu instid0(VALU_DEP_2) | instskip(SKIP_2) | instid1(VALU_DEP_2)
	v_cmp_lt_u64_e32 vcc_lo, 0xffffff, v[2:3]
	v_add_nc_u32_e32 v0, 7, v27
	v_cndmask_b32_e64 v24, 0, 1, vcc_lo
	v_cndmask_b32_e32 v0, v26, v0, vcc_lo
	s_delay_alu instid0(VALU_DEP_2)
	v_lshrrev_b64 v[24:25], v24, v[2:3]
; %bb.1463:                             ;   in Loop: Header=BB6_356 Depth=4
	s_and_not1_saveexec_b32 s13, s13
; %bb.1464:                             ;   in Loop: Header=BB6_356 Depth=4
	v_mov_b64_e32 v[24:25], v[2:3]
	v_bfe_u32 v0, v2, 23, 1
; %bb.1465:                             ;   in Loop: Header=BB6_356 Depth=4
	s_or_b32 exec_lo, exec_lo, s13
	s_delay_alu instid0(VALU_DEP_2) | instskip(NEXT) | instid1(VALU_DEP_2)
	v_lshrrev_b64 v[24:25], 20, v[24:25]
	v_cmp_gt_i32_e32 vcc_lo, 16, v0
	v_min_i32_e32 v2, 15, v0
	v_cmp_eq_u32_e64 s13, 0, v0
	s_delay_alu instid0(VALU_DEP_2) | instskip(SKIP_1) | instid1(VALU_DEP_2)
	v_dual_cndmask_b32 v25, 0, v25 :: v_dual_lshlrev_b32 v2, 3, v2
	v_cndmask_b32_e32 v24, 7, v24, vcc_lo
	v_and_b32_e32 v2, 0xf8, v2
	s_delay_alu instid0(VALU_DEP_2) | instskip(NEXT) | instid1(VALU_DEP_2)
	v_cmp_eq_u64_e32 vcc_lo, 0, v[24:25]
	v_and_or_b32 v0, v24, 7, v2
	s_and_b32 s13, s13, vcc_lo
	s_delay_alu instid0(VALU_DEP_1) | instid1(SALU_CYCLE_1)
	v_cndmask_b32_e64 v0, v0, 0, s13
	s_delay_alu instid0(VALU_DEP_1)
	v_or_b32_e32 v97, v0, v66
.LBB6_1466:                             ;   in Loop: Header=BB6_356 Depth=4
	s_or_b32 exec_lo, exec_lo, s75
                                        ; implicit-def: $vgpr66
.LBB6_1467:                             ;   in Loop: Header=BB6_356 Depth=4
	s_and_not1_saveexec_b32 s13, s74
; %bb.1468:                             ;   in Loop: Header=BB6_356 Depth=4
	v_or_b32_e32 v97, 0x7e, v66
; %bb.1469:                             ;   in Loop: Header=BB6_356 Depth=4
	s_or_b32 exec_lo, exec_lo, s13
                                        ; implicit-def: $vgpr24
.LBB6_1470:                             ;   in Loop: Header=BB6_356 Depth=4
	s_and_not1_saveexec_b32 s13, s73
; %bb.1471:                             ;   in Loop: Header=BB6_356 Depth=4
	v_or_b32_e32 v97, 0x7f, v24
; %bb.1472:                             ;   in Loop: Header=BB6_356 Depth=4
	s_or_b32 exec_lo, exec_lo, s13
	v_and_b32_e32 v0, 0xff, v21
	v_dual_mov_b32 v2, v21 :: v_dual_mov_b32 v24, 0
	v_mov_b32_e32 v25, 0
	s_mov_b32 s13, exec_lo
	s_delay_alu instid0(VALU_DEP_3)
	v_cmpx_ne_u16_e32 0, v0
	s_cbranch_execz .LBB6_1478
; %bb.1473:                             ;   in Loop: Header=BB6_356 Depth=4
	v_bfrev_b32_e32 v25, 1
	s_mov_b32 s73, exec_lo
	v_cmpx_ne_u16_e32 0x80, v0
	s_cbranch_execz .LBB6_1477
; %bb.1474:                             ;   in Loop: Header=BB6_356 Depth=4
	v_and_b32_e32 v0, 0x7f, v21
	v_mov_b32_e32 v25, 0x7f800001
	s_mov_b32 s74, exec_lo
	s_delay_alu instid0(VALU_DEP_2)
	v_cmpx_ne_u32_e32 0x7f, v0
	s_cbranch_execz .LBB6_1476
; %bb.1475:                             ;   in Loop: Header=BB6_356 Depth=4
	v_dual_lshrrev_b32 v26, 3, v0 :: v_dual_bitop2_b32 v25, 7, v21 bitop3:0x40
	v_cmp_gt_u32_e32 vcc_lo, 8, v0
	s_delay_alu instid0(VALU_DEP_2) | instskip(NEXT) | instid1(VALU_DEP_1)
	v_clz_i32_u32_e32 v0, v25
	v_min_u32_e32 v0, 32, v0
	s_delay_alu instid0(VALU_DEP_1) | instskip(NEXT) | instid1(VALU_DEP_1)
	v_subrev_nc_u32_e32 v25, 28, v0
	v_dual_cndmask_b32 v25, 0, v25 :: v_dual_sub_nc_u32 v0, 29, v0
	s_delay_alu instid0(VALU_DEP_1) | instskip(NEXT) | instid1(VALU_DEP_2)
	v_cndmask_b32_e32 v0, v26, v0, vcc_lo
	v_lshlrev_b64_e32 v[26:27], v25, v[2:3]
	s_delay_alu instid0(VALU_DEP_1) | instskip(SKIP_1) | instid1(VALU_DEP_4)
	v_lshlrev_b32_e32 v25, 20, v26
	v_lshlrev_b32_e32 v26, 24, v2
	v_lshl_add_u32 v0, v0, 23, 0x3c000000
	s_delay_alu instid0(VALU_DEP_3) | instskip(NEXT) | instid1(VALU_DEP_3)
	v_and_b32_e32 v25, 0x700000, v25
	v_and_b32_e32 v26, 0x80000000, v26
	s_delay_alu instid0(VALU_DEP_1)
	v_or3_b32 v25, v25, v26, v0
.LBB6_1476:                             ;   in Loop: Header=BB6_356 Depth=4
	s_or_b32 exec_lo, exec_lo, s74
.LBB6_1477:                             ;   in Loop: Header=BB6_356 Depth=4
	s_delay_alu instid0(SALU_CYCLE_1)
	s_or_b32 exec_lo, exec_lo, s73
.LBB6_1478:                             ;   in Loop: Header=BB6_356 Depth=4
	s_delay_alu instid0(SALU_CYCLE_1) | instskip(SKIP_2) | instid1(VALU_DEP_1)
	s_or_b32 exec_lo, exec_lo, s13
	v_and_b32_e32 v0, 0xff, v17
	s_mov_b32 s13, exec_lo
	v_cmpx_ne_u16_e32 0, v0
	s_cbranch_execz .LBB6_1484
; %bb.1479:                             ;   in Loop: Header=BB6_356 Depth=4
	v_bfrev_b32_e32 v24, 1
	s_mov_b32 s73, exec_lo
	v_cmpx_ne_u16_e32 0x80, v0
	s_cbranch_execz .LBB6_1483
; %bb.1480:                             ;   in Loop: Header=BB6_356 Depth=4
	v_and_b32_e32 v0, 0x7f, v17
	v_mov_b32_e32 v24, 0x7f800001
	s_mov_b32 s74, exec_lo
	s_delay_alu instid0(VALU_DEP_2)
	v_cmpx_ne_u32_e32 0x7f, v0
	s_cbranch_execz .LBB6_1482
; %bb.1481:                             ;   in Loop: Header=BB6_356 Depth=4
	v_dual_lshrrev_b32 v52, 3, v0 :: v_dual_bitop2_b32 v24, 7, v17 bitop3:0x40
	v_cmp_gt_u32_e32 vcc_lo, 8, v0
	v_mov_b32_e32 v26, v17
	s_delay_alu instid0(VALU_DEP_3) | instskip(NEXT) | instid1(VALU_DEP_1)
	v_clz_i32_u32_e32 v24, v24
	v_min_u32_e32 v24, 32, v24
	s_delay_alu instid0(VALU_DEP_1) | instskip(SKIP_1) | instid1(VALU_DEP_1)
	v_subrev_nc_u32_e32 v0, 28, v24
	v_dual_mov_b32 v27, v3 :: v_dual_sub_nc_u32 v66, 29, v24
	v_dual_cndmask_b32 v0, 0, v0, vcc_lo :: v_dual_cndmask_b32 v24, v52, v66, vcc_lo
	s_delay_alu instid0(VALU_DEP_1) | instskip(SKIP_1) | instid1(VALU_DEP_3)
	v_lshlrev_b64_e32 v[66:67], v0, v[26:27]
	v_lshlrev_b32_e32 v0, 24, v26
	v_lshl_add_u32 v24, v24, 23, 0x3c000000
	s_delay_alu instid0(VALU_DEP_2) | instskip(NEXT) | instid1(VALU_DEP_4)
	v_and_b32_e32 v0, 0x80000000, v0
	v_lshlrev_b32_e32 v26, 20, v66
	s_delay_alu instid0(VALU_DEP_1) | instskip(NEXT) | instid1(VALU_DEP_1)
	v_and_b32_e32 v26, 0x700000, v26
	v_or3_b32 v24, v26, v0, v24
.LBB6_1482:                             ;   in Loop: Header=BB6_356 Depth=4
	s_or_b32 exec_lo, exec_lo, s74
.LBB6_1483:                             ;   in Loop: Header=BB6_356 Depth=4
	s_delay_alu instid0(SALU_CYCLE_1)
	s_or_b32 exec_lo, exec_lo, s73
.LBB6_1484:                             ;   in Loop: Header=BB6_356 Depth=4
	s_delay_alu instid0(SALU_CYCLE_1) | instskip(NEXT) | instid1(VALU_DEP_1)
	s_or_b32 exec_lo, exec_lo, s13
	v_dual_add_f32 v0, v25, v24 :: v_dual_mov_b32 v25, v3
                                        ; implicit-def: $vgpr58
	s_delay_alu instid0(VALU_DEP_1) | instskip(NEXT) | instid1(VALU_DEP_1)
	v_and_b32_e32 v24, 0x7f800000, v0
	v_cmp_ne_u64_e32 vcc_lo, 0x7f800000, v[24:25]
	v_lshrrev_b32_e32 v24, 24, v0
	s_and_saveexec_b32 s13, vcc_lo
	s_delay_alu instid0(SALU_CYCLE_1)
	s_xor_b32 s73, exec_lo, s13
	s_cbranch_execz .LBB6_1498
; %bb.1485:                             ;   in Loop: Header=BB6_356 Depth=4
	v_and_b32_e32 v26, 0x7fffffff, v0
	v_mov_b32_e32 v27, v3
	v_and_b32_e32 v66, 0x80, v24
                                        ; implicit-def: $vgpr58
	s_mov_b32 s13, exec_lo
	s_delay_alu instid0(VALU_DEP_2)
	v_cmpx_gt_u64_e32 0x43e00001, v[26:27]
	s_xor_b32 s74, exec_lo, s13
	s_cbranch_execz .LBB6_1495
; %bb.1486:                             ;   in Loop: Header=BB6_356 Depth=4
	v_mov_b32_e32 v58, 0
	s_mov_b32 s75, exec_lo
	v_cmpx_ne_u32_e32 0, v0
	s_cbranch_execz .LBB6_1494
; %bb.1487:                             ;   in Loop: Header=BB6_356 Depth=4
	v_and_b32_e32 v24, 0x7fffff, v0
	v_bfe_u32 v67, v0, 23, 8
	s_delay_alu instid0(VALU_DEP_2) | instskip(NEXT) | instid1(VALU_DEP_2)
	v_or_b32_e32 v25, 0x800000, v24
	v_cmp_eq_u32_e32 vcc_lo, 0, v67
	v_cmp_gt_u32_e64 s13, 0x7a, v67
	v_sub_nc_u32_e32 v0, 0x79, v67
	s_delay_alu instid0(VALU_DEP_4) | instskip(NEXT) | instid1(VALU_DEP_2)
	v_dual_cndmask_b32 v24, v25, v24 :: v_dual_mov_b32 v25, v3
	v_cndmask_b32_e64 v0, 0, v0, s13
	s_delay_alu instid0(VALU_DEP_1) | instskip(NEXT) | instid1(VALU_DEP_1)
	v_cndmask_b32_e64 v0, v0, 0x78, vcc_lo
	v_dual_add_nc_u32 v26, 20, v0 :: v_dual_add_nc_u32 v52, 19, v0
	s_delay_alu instid0(VALU_DEP_1) | instskip(NEXT) | instid1(VALU_DEP_2)
	v_lshlrev_b64_e64 v[26:27], v26, -1
	v_lshlrev_b64_e64 v[42:43], v52, 1
	s_delay_alu instid0(VALU_DEP_2) | instskip(SKIP_1) | instid1(VALU_DEP_4)
	v_bfi_b32 v26, v26, 0, v24
	v_lshrrev_b64 v[24:25], v0, v[24:25]
	v_bfi_b32 v27, v27, 0, 0
	s_delay_alu instid0(VALU_DEP_1) | instskip(NEXT) | instid1(VALU_DEP_3)
	v_cmp_eq_u64_e64 s13, v[26:27], v[42:43]
	v_mov_b64_e32 v[26:27], v[24:25]
	s_and_saveexec_b32 s76, s13
; %bb.1488:                             ;   in Loop: Header=BB6_356 Depth=4
	v_bfe_u32 v26, v24, 20, 1
	v_mov_b32_e32 v27, v3
	s_delay_alu instid0(VALU_DEP_1) | instskip(NEXT) | instid1(VALU_DEP_1)
	v_add_nc_u64_e32 v[26:27], v[24:25], v[26:27]
	v_add_nc_u64_e32 v[26:27], -1, v[26:27]
; %bb.1489:                             ;   in Loop: Header=BB6_356 Depth=4
	s_or_b32 exec_lo, exec_lo, s76
	v_add_nc_u32_e32 v25, 0xffffff81, v67
	v_lshrrev_b32_e32 v27, 23, v24
	s_mov_b32 s13, exec_lo
	s_delay_alu instid0(VALU_DEP_2) | instskip(NEXT) | instid1(VALU_DEP_1)
	v_cndmask_b32_e64 v25, v25, 0xffffff82, vcc_lo
	v_add3_u32 v27, v0, v25, v27
	v_and_b32_e32 v0, 0xfffff, v26
	s_delay_alu instid0(VALU_DEP_2) | instskip(NEXT) | instid1(VALU_DEP_2)
	v_dual_mov_b32 v25, v3 :: v_dual_add_nc_u32 v26, 6, v27
	v_add_nc_u32_e32 v24, v0, v24
                                        ; implicit-def: $vgpr0
	s_delay_alu instid0(VALU_DEP_2)
	v_cmpx_ne_u32_e32 0, v26
	s_xor_b32 s13, exec_lo, s13
; %bb.1490:                             ;   in Loop: Header=BB6_356 Depth=4
	s_delay_alu instid0(VALU_DEP_2) | instskip(SKIP_1) | instid1(VALU_DEP_1)
	v_cmp_lt_u64_e32 vcc_lo, 0xffffff, v[24:25]
	v_add_nc_u32_e32 v0, 7, v27
	v_cndmask_b32_e32 v0, v26, v0, vcc_lo
	v_cndmask_b32_e64 v26, 0, 1, vcc_lo
	s_delay_alu instid0(VALU_DEP_1)
	v_lshrrev_b64 v[24:25], v26, v[24:25]
; %bb.1491:                             ;   in Loop: Header=BB6_356 Depth=4
	s_and_not1_saveexec_b32 s13, s13
; %bb.1492:                             ;   in Loop: Header=BB6_356 Depth=4
	s_delay_alu instid0(VALU_DEP_1)
	v_bfe_u32 v0, v24, 23, 1
; %bb.1493:                             ;   in Loop: Header=BB6_356 Depth=4
	s_or_b32 exec_lo, exec_lo, s13
	s_delay_alu instid0(VALU_DEP_2) | instskip(NEXT) | instid1(VALU_DEP_2)
	v_lshrrev_b64 v[24:25], 20, v[24:25]
	v_cmp_gt_i32_e32 vcc_lo, 16, v0
	v_min_i32_e32 v26, 15, v0
	v_cmp_eq_u32_e64 s13, 0, v0
	s_delay_alu instid0(VALU_DEP_2) | instskip(SKIP_1) | instid1(VALU_DEP_2)
	v_dual_cndmask_b32 v25, 0, v25 :: v_dual_lshlrev_b32 v26, 3, v26
	v_cndmask_b32_e32 v24, 7, v24, vcc_lo
	v_and_b32_e32 v26, 0xf8, v26
	s_delay_alu instid0(VALU_DEP_2) | instskip(NEXT) | instid1(VALU_DEP_2)
	v_cmp_eq_u64_e32 vcc_lo, 0, v[24:25]
	v_and_or_b32 v0, v24, 7, v26
	s_and_b32 s13, s13, vcc_lo
	s_delay_alu instid0(VALU_DEP_1) | instid1(SALU_CYCLE_1)
	v_cndmask_b32_e64 v0, v0, 0, s13
	s_delay_alu instid0(VALU_DEP_1)
	v_or_b32_e32 v58, v0, v66
.LBB6_1494:                             ;   in Loop: Header=BB6_356 Depth=4
	s_or_b32 exec_lo, exec_lo, s75
                                        ; implicit-def: $vgpr66
.LBB6_1495:                             ;   in Loop: Header=BB6_356 Depth=4
	s_and_not1_saveexec_b32 s13, s74
; %bb.1496:                             ;   in Loop: Header=BB6_356 Depth=4
	v_or_b32_e32 v58, 0x7e, v66
; %bb.1497:                             ;   in Loop: Header=BB6_356 Depth=4
	s_or_b32 exec_lo, exec_lo, s13
                                        ; implicit-def: $vgpr24
.LBB6_1498:                             ;   in Loop: Header=BB6_356 Depth=4
	s_and_not1_saveexec_b32 s13, s73
; %bb.1499:                             ;   in Loop: Header=BB6_356 Depth=4
	v_or_b32_e32 v58, 0x7f, v24
; %bb.1500:                             ;   in Loop: Header=BB6_356 Depth=4
	s_or_b32 exec_lo, exec_lo, s13
	v_lshrrev_b16 v0, 8, v2
	v_dual_mov_b32 v26, 0 :: v_dual_mov_b32 v24, 0
	s_mov_b32 s13, exec_lo
	s_delay_alu instid0(VALU_DEP_2)
	v_cmpx_ne_u16_e32 0, v0
	s_cbranch_execz .LBB6_1508
; %bb.1501:                             ;   in Loop: Header=BB6_356 Depth=4
	v_bfrev_b32_e32 v24, 1
	s_mov_b32 s73, exec_lo
	v_cmpx_ne_u16_e32 0x80, v0
	s_cbranch_execz .LBB6_1507
; %bb.1502:                             ;   in Loop: Header=BB6_356 Depth=4
	v_and_b32_e32 v0, 0xffff, v0
	v_mov_b32_e32 v24, 0x7f800001
	s_mov_b32 s74, exec_lo
	s_delay_alu instid0(VALU_DEP_2) | instskip(NEXT) | instid1(VALU_DEP_1)
	v_and_b32_e32 v27, 0x7f, v0
	v_cmpx_ne_u32_e32 0x7f, v27
	s_cbranch_execz .LBB6_1506
; %bb.1503:                             ;   in Loop: Header=BB6_356 Depth=4
	v_dual_mov_b32 v25, v3 :: v_dual_bitop2_b32 v24, 7, v0 bitop3:0x40
	v_lshrrev_b32_e32 v0, 3, v27
	s_mov_b32 s75, exec_lo
	v_cmpx_gt_u32_e32 8, v27
; %bb.1504:                             ;   in Loop: Header=BB6_356 Depth=4
	s_delay_alu instid0(VALU_DEP_3) | instskip(NEXT) | instid1(VALU_DEP_1)
	v_clz_i32_u32_e32 v0, v24
	v_min_u32_e32 v0, 32, v0
	s_delay_alu instid0(VALU_DEP_1) | instskip(SKIP_1) | instid1(VALU_DEP_2)
	v_subrev_nc_u32_e32 v27, 28, v0
	v_sub_nc_u32_e32 v0, 29, v0
	v_lshlrev_b64_e32 v[24:25], v27, v[24:25]
	s_delay_alu instid0(VALU_DEP_1)
	v_and_b32_e32 v24, 7, v24
; %bb.1505:                             ;   in Loop: Header=BB6_356 Depth=4
	s_or_b32 exec_lo, exec_lo, s75
	s_delay_alu instid0(VALU_DEP_1) | instskip(SKIP_1) | instid1(VALU_DEP_2)
	v_dual_lshlrev_b32 v2, 16, v2 :: v_dual_lshlrev_b32 v24, 20, v24
	v_lshl_add_u32 v0, v0, 23, 0x3c000000
	v_and_b32_e32 v2, 0x80000000, v2
	s_delay_alu instid0(VALU_DEP_1)
	v_or3_b32 v24, v24, v2, v0
.LBB6_1506:                             ;   in Loop: Header=BB6_356 Depth=4
	s_or_b32 exec_lo, exec_lo, s74
.LBB6_1507:                             ;   in Loop: Header=BB6_356 Depth=4
	s_delay_alu instid0(SALU_CYCLE_1)
	s_or_b32 exec_lo, exec_lo, s73
.LBB6_1508:                             ;   in Loop: Header=BB6_356 Depth=4
	s_delay_alu instid0(SALU_CYCLE_1) | instskip(SKIP_2) | instid1(VALU_DEP_1)
	s_or_b32 exec_lo, exec_lo, s13
	v_lshrrev_b16 v0, 8, v17
	s_mov_b32 s13, exec_lo
	v_cmpx_ne_u16_e32 0, v0
	s_cbranch_execz .LBB6_1516
; %bb.1509:                             ;   in Loop: Header=BB6_356 Depth=4
	v_bfrev_b32_e32 v26, 1
	s_mov_b32 s73, exec_lo
	v_cmpx_ne_u16_e32 0x80, v0
	s_cbranch_execz .LBB6_1515
; %bb.1510:                             ;   in Loop: Header=BB6_356 Depth=4
	v_and_b32_e32 v0, 0xffff, v0
	v_mov_b32_e32 v26, 0x7f800001
	s_mov_b32 s74, exec_lo
	s_delay_alu instid0(VALU_DEP_2) | instskip(NEXT) | instid1(VALU_DEP_1)
	v_and_b32_e32 v25, 0x7f, v0
	v_cmpx_ne_u32_e32 0x7f, v25
	s_cbranch_execz .LBB6_1514
; %bb.1511:                             ;   in Loop: Header=BB6_356 Depth=4
	v_dual_lshrrev_b32 v0, 3, v25 :: v_dual_bitop2_b32 v2, 7, v0 bitop3:0x40
	s_mov_b32 s75, exec_lo
	v_cmpx_gt_u32_e32 8, v25
; %bb.1512:                             ;   in Loop: Header=BB6_356 Depth=4
	s_delay_alu instid0(VALU_DEP_2) | instskip(NEXT) | instid1(VALU_DEP_1)
	v_clz_i32_u32_e32 v0, v2
	v_min_u32_e32 v0, 32, v0
	s_delay_alu instid0(VALU_DEP_1) | instskip(NEXT) | instid1(VALU_DEP_1)
	v_subrev_nc_u32_e32 v25, 28, v0
	v_lshlrev_b64_e32 v[26:27], v25, v[2:3]
	s_delay_alu instid0(VALU_DEP_1)
	v_dual_sub_nc_u32 v0, 29, v0 :: v_dual_bitop2_b32 v2, 7, v26 bitop3:0x40
; %bb.1513:                             ;   in Loop: Header=BB6_356 Depth=4
	s_or_b32 exec_lo, exec_lo, s75
	s_delay_alu instid0(VALU_DEP_1) | instskip(NEXT) | instid1(VALU_DEP_2)
	v_dual_lshlrev_b32 v25, 16, v17 :: v_dual_lshlrev_b32 v2, 20, v2
	v_lshl_add_u32 v0, v0, 23, 0x3c000000
	s_delay_alu instid0(VALU_DEP_2) | instskip(NEXT) | instid1(VALU_DEP_1)
	v_and_b32_e32 v25, 0x80000000, v25
	v_or3_b32 v26, v2, v25, v0
.LBB6_1514:                             ;   in Loop: Header=BB6_356 Depth=4
	s_or_b32 exec_lo, exec_lo, s74
.LBB6_1515:                             ;   in Loop: Header=BB6_356 Depth=4
	s_delay_alu instid0(SALU_CYCLE_1)
	s_or_b32 exec_lo, exec_lo, s73
.LBB6_1516:                             ;   in Loop: Header=BB6_356 Depth=4
	s_delay_alu instid0(SALU_CYCLE_1) | instskip(NEXT) | instid1(VALU_DEP_1)
	s_or_b32 exec_lo, exec_lo, s13
	v_add_f32_e32 v0, v24, v26
                                        ; implicit-def: $vgpr59
	s_mov_b32 s13, exec_lo
	s_delay_alu instid0(VALU_DEP_1) | instskip(SKIP_1) | instid1(VALU_DEP_2)
	v_and_b32_e32 v2, 0x7f800000, v0
	v_lshrrev_b32_e32 v24, 24, v0
	v_cmpx_ne_u64_e32 0x7f800000, v[2:3]
	s_xor_b32 s73, exec_lo, s13
	s_cbranch_execz .LBB6_1530
; %bb.1517:                             ;   in Loop: Header=BB6_356 Depth=4
	v_and_b32_e32 v2, 0x7fffffff, v0
	v_and_b32_e32 v66, 0x80, v24
                                        ; implicit-def: $vgpr59
	s_mov_b32 s13, exec_lo
	s_delay_alu instid0(VALU_DEP_2)
	v_cmpx_gt_u64_e32 0x43e00001, v[2:3]
	s_xor_b32 s74, exec_lo, s13
	s_cbranch_execz .LBB6_1527
; %bb.1518:                             ;   in Loop: Header=BB6_356 Depth=4
	v_mov_b32_e32 v59, 0
	s_mov_b32 s75, exec_lo
	v_cmpx_ne_u32_e32 0, v0
	s_cbranch_execz .LBB6_1526
; %bb.1519:                             ;   in Loop: Header=BB6_356 Depth=4
	v_bfe_u32 v67, v0, 23, 8
	v_and_b32_e32 v2, 0x7fffff, v0
	s_delay_alu instid0(VALU_DEP_2) | instskip(SKIP_2) | instid1(VALU_DEP_4)
	v_cmp_gt_u32_e64 s13, 0x7a, v67
	v_sub_nc_u32_e32 v0, 0x79, v67
	v_cmp_eq_u32_e32 vcc_lo, 0, v67
	v_or_b32_e32 v24, 0x800000, v2
	s_delay_alu instid0(VALU_DEP_1) | instskip(NEXT) | instid1(VALU_DEP_1)
	v_dual_cndmask_b32 v0, 0, v0, s13 :: v_dual_cndmask_b32 v2, v24, v2, vcc_lo
	v_cndmask_b32_e64 v0, v0, 0x78, vcc_lo
	s_delay_alu instid0(VALU_DEP_1) | instskip(NEXT) | instid1(VALU_DEP_1)
	v_dual_add_nc_u32 v24, 20, v0 :: v_dual_add_nc_u32 v26, 19, v0
	v_lshlrev_b64_e64 v[24:25], v24, -1
	s_delay_alu instid0(VALU_DEP_2) | instskip(NEXT) | instid1(VALU_DEP_2)
	v_lshlrev_b64_e64 v[26:27], v26, 1
	v_bfi_b32 v25, v25, 0, 0
	s_delay_alu instid0(VALU_DEP_3) | instskip(NEXT) | instid1(VALU_DEP_1)
	v_bfi_b32 v24, v24, 0, v2
	v_cmp_eq_u64_e64 s13, v[24:25], v[26:27]
	v_lshrrev_b64 v[24:25], v0, v[2:3]
	s_delay_alu instid0(VALU_DEP_1)
	v_mov_b64_e32 v[26:27], v[24:25]
	s_and_saveexec_b32 s76, s13
; %bb.1520:                             ;   in Loop: Header=BB6_356 Depth=4
	v_bfe_u32 v2, v24, 20, 1
	s_delay_alu instid0(VALU_DEP_1) | instskip(NEXT) | instid1(VALU_DEP_1)
	v_add_nc_u64_e32 v[26:27], v[24:25], v[2:3]
	v_add_nc_u64_e32 v[26:27], -1, v[26:27]
; %bb.1521:                             ;   in Loop: Header=BB6_356 Depth=4
	s_or_b32 exec_lo, exec_lo, s76
	v_add_nc_u32_e32 v2, 0xffffff81, v67
	v_lshrrev_b32_e32 v25, 23, v24
	s_mov_b32 s13, exec_lo
	s_delay_alu instid0(VALU_DEP_2) | instskip(NEXT) | instid1(VALU_DEP_1)
	v_cndmask_b32_e64 v2, v2, 0xffffff82, vcc_lo
	v_add3_u32 v27, v0, v2, v25
	v_and_b32_e32 v0, 0xfffff, v26
	s_delay_alu instid0(VALU_DEP_1) | instskip(NEXT) | instid1(VALU_DEP_1)
	v_dual_add_nc_u32 v26, 6, v27 :: v_dual_add_nc_u32 v2, v0, v24
                                        ; implicit-def: $vgpr24_vgpr25
                                        ; implicit-def: $vgpr0
	v_cmpx_ne_u32_e32 0, v26
	s_xor_b32 s13, exec_lo, s13
; %bb.1522:                             ;   in Loop: Header=BB6_356 Depth=4
	s_delay_alu instid0(VALU_DEP_2) | instskip(SKIP_2) | instid1(VALU_DEP_2)
	v_cmp_lt_u64_e32 vcc_lo, 0xffffff, v[2:3]
	v_add_nc_u32_e32 v0, 7, v27
	v_cndmask_b32_e64 v24, 0, 1, vcc_lo
	v_cndmask_b32_e32 v0, v26, v0, vcc_lo
	s_delay_alu instid0(VALU_DEP_2)
	v_lshrrev_b64 v[24:25], v24, v[2:3]
; %bb.1523:                             ;   in Loop: Header=BB6_356 Depth=4
	s_and_not1_saveexec_b32 s13, s13
; %bb.1524:                             ;   in Loop: Header=BB6_356 Depth=4
	v_mov_b64_e32 v[24:25], v[2:3]
	v_bfe_u32 v0, v2, 23, 1
; %bb.1525:                             ;   in Loop: Header=BB6_356 Depth=4
	s_or_b32 exec_lo, exec_lo, s13
	s_delay_alu instid0(VALU_DEP_2) | instskip(NEXT) | instid1(VALU_DEP_2)
	v_lshrrev_b64 v[24:25], 20, v[24:25]
	v_cmp_gt_i32_e32 vcc_lo, 16, v0
	v_min_i32_e32 v2, 15, v0
	v_cmp_eq_u32_e64 s13, 0, v0
	s_delay_alu instid0(VALU_DEP_2) | instskip(SKIP_1) | instid1(VALU_DEP_2)
	v_dual_cndmask_b32 v25, 0, v25 :: v_dual_lshlrev_b32 v2, 3, v2
	v_cndmask_b32_e32 v24, 7, v24, vcc_lo
	v_and_b32_e32 v2, 0xf8, v2
	s_delay_alu instid0(VALU_DEP_2) | instskip(NEXT) | instid1(VALU_DEP_2)
	v_cmp_eq_u64_e32 vcc_lo, 0, v[24:25]
	v_and_or_b32 v0, v24, 7, v2
	s_and_b32 s13, s13, vcc_lo
	s_delay_alu instid0(VALU_DEP_1) | instid1(SALU_CYCLE_1)
	v_cndmask_b32_e64 v0, v0, 0, s13
	s_delay_alu instid0(VALU_DEP_1)
	v_or_b32_e32 v59, v0, v66
.LBB6_1526:                             ;   in Loop: Header=BB6_356 Depth=4
	s_or_b32 exec_lo, exec_lo, s75
                                        ; implicit-def: $vgpr66
.LBB6_1527:                             ;   in Loop: Header=BB6_356 Depth=4
	s_and_not1_saveexec_b32 s13, s74
; %bb.1528:                             ;   in Loop: Header=BB6_356 Depth=4
	v_or_b32_e32 v59, 0x7e, v66
; %bb.1529:                             ;   in Loop: Header=BB6_356 Depth=4
	s_or_b32 exec_lo, exec_lo, s13
                                        ; implicit-def: $vgpr24
.LBB6_1530:                             ;   in Loop: Header=BB6_356 Depth=4
	s_and_not1_saveexec_b32 s13, s73
; %bb.1531:                             ;   in Loop: Header=BB6_356 Depth=4
	v_or_b32_e32 v59, 0x7f, v24
; %bb.1532:                             ;   in Loop: Header=BB6_356 Depth=4
	s_or_b32 exec_lo, exec_lo, s13
	v_dual_lshrrev_b32 v0, 16, v21 :: v_dual_mov_b32 v24, 0
	v_mov_b32_e32 v25, 0
	s_mov_b32 s13, exec_lo
	s_delay_alu instid0(VALU_DEP_2) | instskip(NEXT) | instid1(VALU_DEP_1)
	v_and_b32_e32 v2, 0xff, v0
	v_cmpx_ne_u16_e32 0, v2
	s_cbranch_execz .LBB6_1540
; %bb.1533:                             ;   in Loop: Header=BB6_356 Depth=4
	v_bfrev_b32_e32 v25, 1
	s_mov_b32 s73, exec_lo
	v_cmpx_ne_u16_e32 0x80, v2
	s_cbranch_execz .LBB6_1539
; %bb.1534:                             ;   in Loop: Header=BB6_356 Depth=4
	v_bfe_u32 v26, v21, 16, 7
	v_mov_b32_e32 v25, 0x7f800001
	s_mov_b32 s74, exec_lo
	s_delay_alu instid0(VALU_DEP_2)
	v_cmpx_ne_u32_e32 0x7f, v26
	s_cbranch_execz .LBB6_1538
; %bb.1535:                             ;   in Loop: Header=BB6_356 Depth=4
	v_dual_lshrrev_b32 v25, 3, v26 :: v_dual_bitop2_b32 v2, 7, v0 bitop3:0x40
	s_mov_b32 s75, exec_lo
	v_cmpx_gt_u32_e32 8, v26
; %bb.1536:                             ;   in Loop: Header=BB6_356 Depth=4
	s_delay_alu instid0(VALU_DEP_2) | instskip(NEXT) | instid1(VALU_DEP_1)
	v_clz_i32_u32_e32 v25, v2
	v_min_u32_e32 v25, 32, v25
	s_delay_alu instid0(VALU_DEP_1) | instskip(NEXT) | instid1(VALU_DEP_1)
	v_subrev_nc_u32_e32 v26, 28, v25
	v_lshlrev_b64_e32 v[26:27], v26, v[2:3]
	s_delay_alu instid0(VALU_DEP_1)
	v_dual_sub_nc_u32 v25, 29, v25 :: v_dual_bitop2_b32 v2, 7, v26 bitop3:0x40
; %bb.1537:                             ;   in Loop: Header=BB6_356 Depth=4
	s_or_b32 exec_lo, exec_lo, s75
	s_delay_alu instid0(VALU_DEP_1) | instskip(NEXT) | instid1(VALU_DEP_2)
	v_dual_lshlrev_b32 v0, 24, v0 :: v_dual_lshlrev_b32 v2, 20, v2
	v_lshl_add_u32 v25, v25, 23, 0x3c000000
	s_delay_alu instid0(VALU_DEP_2) | instskip(NEXT) | instid1(VALU_DEP_1)
	v_and_b32_e32 v0, 0x80000000, v0
	v_or3_b32 v25, v2, v0, v25
.LBB6_1538:                             ;   in Loop: Header=BB6_356 Depth=4
	s_or_b32 exec_lo, exec_lo, s74
.LBB6_1539:                             ;   in Loop: Header=BB6_356 Depth=4
	s_delay_alu instid0(SALU_CYCLE_1)
	s_or_b32 exec_lo, exec_lo, s73
.LBB6_1540:                             ;   in Loop: Header=BB6_356 Depth=4
	s_delay_alu instid0(SALU_CYCLE_1) | instskip(SKIP_2) | instid1(VALU_DEP_1)
	s_or_b32 exec_lo, exec_lo, s13
	v_lshrrev_b32_e32 v0, 16, v17
	s_mov_b32 s13, exec_lo
	v_and_b32_e32 v2, 0xff, v0
	s_delay_alu instid0(VALU_DEP_1)
	v_cmpx_ne_u16_e32 0, v2
	s_cbranch_execz .LBB6_1548
; %bb.1541:                             ;   in Loop: Header=BB6_356 Depth=4
	v_bfrev_b32_e32 v24, 1
	s_mov_b32 s73, exec_lo
	v_cmpx_ne_u16_e32 0x80, v2
	s_cbranch_execz .LBB6_1547
; %bb.1542:                             ;   in Loop: Header=BB6_356 Depth=4
	v_bfe_u32 v26, v17, 16, 7
	v_mov_b32_e32 v24, 0x7f800001
	s_mov_b32 s74, exec_lo
	s_delay_alu instid0(VALU_DEP_2)
	v_cmpx_ne_u32_e32 0x7f, v26
	s_cbranch_execz .LBB6_1546
; %bb.1543:                             ;   in Loop: Header=BB6_356 Depth=4
	v_dual_lshrrev_b32 v0, 3, v26 :: v_dual_bitop2_b32 v2, 7, v0 bitop3:0x40
	s_mov_b32 s75, exec_lo
	v_cmpx_gt_u32_e32 8, v26
; %bb.1544:                             ;   in Loop: Header=BB6_356 Depth=4
	s_delay_alu instid0(VALU_DEP_2) | instskip(NEXT) | instid1(VALU_DEP_1)
	v_clz_i32_u32_e32 v0, v2
	v_min_u32_e32 v0, 32, v0
	s_delay_alu instid0(VALU_DEP_1) | instskip(NEXT) | instid1(VALU_DEP_1)
	v_subrev_nc_u32_e32 v24, 28, v0
	v_lshlrev_b64_e32 v[26:27], v24, v[2:3]
	s_delay_alu instid0(VALU_DEP_1)
	v_dual_sub_nc_u32 v0, 29, v0 :: v_dual_bitop2_b32 v2, 7, v26 bitop3:0x40
; %bb.1545:                             ;   in Loop: Header=BB6_356 Depth=4
	s_or_b32 exec_lo, exec_lo, s75
	s_delay_alu instid0(VALU_DEP_1) | instskip(NEXT) | instid1(VALU_DEP_2)
	v_dual_lshlrev_b32 v24, 8, v17 :: v_dual_lshlrev_b32 v2, 20, v2
	v_lshl_add_u32 v0, v0, 23, 0x3c000000
	s_delay_alu instid0(VALU_DEP_2) | instskip(NEXT) | instid1(VALU_DEP_1)
	v_and_b32_e32 v24, 0x80000000, v24
	v_or3_b32 v24, v2, v24, v0
.LBB6_1546:                             ;   in Loop: Header=BB6_356 Depth=4
	s_or_b32 exec_lo, exec_lo, s74
.LBB6_1547:                             ;   in Loop: Header=BB6_356 Depth=4
	s_delay_alu instid0(SALU_CYCLE_1)
	s_or_b32 exec_lo, exec_lo, s73
.LBB6_1548:                             ;   in Loop: Header=BB6_356 Depth=4
	s_delay_alu instid0(SALU_CYCLE_1) | instskip(NEXT) | instid1(VALU_DEP_1)
	s_or_b32 exec_lo, exec_lo, s13
	v_add_f32_e32 v0, v25, v24
                                        ; implicit-def: $vgpr24
	s_mov_b32 s13, exec_lo
	s_delay_alu instid0(VALU_DEP_1) | instskip(SKIP_1) | instid1(VALU_DEP_2)
	v_and_b32_e32 v2, 0x7f800000, v0
	v_lshrrev_b32_e32 v25, 24, v0
	v_cmpx_ne_u64_e32 0x7f800000, v[2:3]
	s_xor_b32 s73, exec_lo, s13
	s_cbranch_execz .LBB6_1562
; %bb.1549:                             ;   in Loop: Header=BB6_356 Depth=4
	v_and_b32_e32 v2, 0x7fffffff, v0
	v_and_b32_e32 v66, 0x80, v25
                                        ; implicit-def: $vgpr24
	s_mov_b32 s13, exec_lo
	s_delay_alu instid0(VALU_DEP_2)
	v_cmpx_gt_u64_e32 0x43e00001, v[2:3]
	s_xor_b32 s74, exec_lo, s13
	s_cbranch_execz .LBB6_1559
; %bb.1550:                             ;   in Loop: Header=BB6_356 Depth=4
	v_mov_b32_e32 v24, 0
	s_mov_b32 s75, exec_lo
	v_cmpx_ne_u32_e32 0, v0
	s_cbranch_execz .LBB6_1558
; %bb.1551:                             ;   in Loop: Header=BB6_356 Depth=4
	v_bfe_u32 v67, v0, 23, 8
	v_and_b32_e32 v2, 0x7fffff, v0
	s_delay_alu instid0(VALU_DEP_2) | instskip(SKIP_2) | instid1(VALU_DEP_4)
	v_cmp_gt_u32_e64 s13, 0x7a, v67
	v_sub_nc_u32_e32 v0, 0x79, v67
	v_cmp_eq_u32_e32 vcc_lo, 0, v67
	v_or_b32_e32 v24, 0x800000, v2
	s_delay_alu instid0(VALU_DEP_1) | instskip(NEXT) | instid1(VALU_DEP_1)
	v_dual_cndmask_b32 v0, 0, v0, s13 :: v_dual_cndmask_b32 v2, v24, v2, vcc_lo
	v_cndmask_b32_e64 v0, v0, 0x78, vcc_lo
	s_delay_alu instid0(VALU_DEP_1) | instskip(NEXT) | instid1(VALU_DEP_1)
	v_dual_add_nc_u32 v24, 20, v0 :: v_dual_add_nc_u32 v26, 19, v0
	v_lshlrev_b64_e64 v[24:25], v24, -1
	s_delay_alu instid0(VALU_DEP_2) | instskip(NEXT) | instid1(VALU_DEP_2)
	v_lshlrev_b64_e64 v[26:27], v26, 1
	v_bfi_b32 v25, v25, 0, 0
	s_delay_alu instid0(VALU_DEP_3) | instskip(NEXT) | instid1(VALU_DEP_1)
	v_bfi_b32 v24, v24, 0, v2
	v_cmp_eq_u64_e64 s13, v[24:25], v[26:27]
	v_lshrrev_b64 v[24:25], v0, v[2:3]
	s_delay_alu instid0(VALU_DEP_1)
	v_mov_b64_e32 v[26:27], v[24:25]
	s_and_saveexec_b32 s76, s13
; %bb.1552:                             ;   in Loop: Header=BB6_356 Depth=4
	v_bfe_u32 v2, v24, 20, 1
	s_delay_alu instid0(VALU_DEP_1) | instskip(NEXT) | instid1(VALU_DEP_1)
	v_add_nc_u64_e32 v[26:27], v[24:25], v[2:3]
	v_add_nc_u64_e32 v[26:27], -1, v[26:27]
; %bb.1553:                             ;   in Loop: Header=BB6_356 Depth=4
	s_or_b32 exec_lo, exec_lo, s76
	v_add_nc_u32_e32 v2, 0xffffff81, v67
	v_lshrrev_b32_e32 v25, 23, v24
	s_mov_b32 s13, exec_lo
	s_delay_alu instid0(VALU_DEP_2) | instskip(NEXT) | instid1(VALU_DEP_1)
	v_cndmask_b32_e64 v2, v2, 0xffffff82, vcc_lo
	v_add3_u32 v27, v0, v2, v25
	v_and_b32_e32 v0, 0xfffff, v26
	s_delay_alu instid0(VALU_DEP_1) | instskip(NEXT) | instid1(VALU_DEP_1)
	v_dual_add_nc_u32 v26, 6, v27 :: v_dual_add_nc_u32 v2, v0, v24
                                        ; implicit-def: $vgpr24_vgpr25
                                        ; implicit-def: $vgpr0
	v_cmpx_ne_u32_e32 0, v26
	s_xor_b32 s13, exec_lo, s13
; %bb.1554:                             ;   in Loop: Header=BB6_356 Depth=4
	s_delay_alu instid0(VALU_DEP_2) | instskip(SKIP_2) | instid1(VALU_DEP_2)
	v_cmp_lt_u64_e32 vcc_lo, 0xffffff, v[2:3]
	v_add_nc_u32_e32 v0, 7, v27
	v_cndmask_b32_e64 v24, 0, 1, vcc_lo
	v_cndmask_b32_e32 v0, v26, v0, vcc_lo
	s_delay_alu instid0(VALU_DEP_2)
	v_lshrrev_b64 v[24:25], v24, v[2:3]
; %bb.1555:                             ;   in Loop: Header=BB6_356 Depth=4
	s_and_not1_saveexec_b32 s13, s13
; %bb.1556:                             ;   in Loop: Header=BB6_356 Depth=4
	v_mov_b64_e32 v[24:25], v[2:3]
	v_bfe_u32 v0, v2, 23, 1
; %bb.1557:                             ;   in Loop: Header=BB6_356 Depth=4
	s_or_b32 exec_lo, exec_lo, s13
	s_delay_alu instid0(VALU_DEP_2) | instskip(NEXT) | instid1(VALU_DEP_2)
	v_lshrrev_b64 v[24:25], 20, v[24:25]
	v_cmp_gt_i32_e32 vcc_lo, 16, v0
	v_min_i32_e32 v2, 15, v0
	v_cmp_eq_u32_e64 s13, 0, v0
	s_delay_alu instid0(VALU_DEP_2) | instskip(SKIP_1) | instid1(VALU_DEP_2)
	v_dual_cndmask_b32 v25, 0, v25 :: v_dual_lshlrev_b32 v2, 3, v2
	v_cndmask_b32_e32 v24, 7, v24, vcc_lo
	v_and_b32_e32 v2, 0xf8, v2
	s_delay_alu instid0(VALU_DEP_2) | instskip(NEXT) | instid1(VALU_DEP_2)
	v_cmp_eq_u64_e32 vcc_lo, 0, v[24:25]
	v_and_or_b32 v0, v24, 7, v2
	s_and_b32 s13, s13, vcc_lo
	s_delay_alu instid0(VALU_DEP_1) | instid1(SALU_CYCLE_1)
	v_cndmask_b32_e64 v0, v0, 0, s13
	s_delay_alu instid0(VALU_DEP_1)
	v_or_b32_e32 v24, v0, v66
.LBB6_1558:                             ;   in Loop: Header=BB6_356 Depth=4
	s_or_b32 exec_lo, exec_lo, s75
                                        ; implicit-def: $vgpr66
.LBB6_1559:                             ;   in Loop: Header=BB6_356 Depth=4
	s_and_not1_saveexec_b32 s13, s74
; %bb.1560:                             ;   in Loop: Header=BB6_356 Depth=4
	v_or_b32_e32 v24, 0x7e, v66
; %bb.1561:                             ;   in Loop: Header=BB6_356 Depth=4
	s_or_b32 exec_lo, exec_lo, s13
                                        ; implicit-def: $vgpr25
.LBB6_1562:                             ;   in Loop: Header=BB6_356 Depth=4
	s_and_not1_saveexec_b32 s13, s73
; %bb.1563:                             ;   in Loop: Header=BB6_356 Depth=4
	v_or_b32_e32 v24, 0x7f, v25
; %bb.1564:                             ;   in Loop: Header=BB6_356 Depth=4
	s_or_b32 exec_lo, exec_lo, s13
	v_cmp_lt_u64_e32 vcc_lo, s[22:23], v[20:21]
	v_dual_mov_b32 v20, 0 :: v_dual_mov_b32 v25, 0
	s_and_saveexec_b32 s13, vcc_lo
	s_cbranch_execz .LBB6_1572
; %bb.1565:                             ;   in Loop: Header=BB6_356 Depth=4
	v_lshrrev_b32_e32 v0, 24, v21
	v_bfrev_b32_e32 v25, 1
	s_mov_b32 s73, exec_lo
	s_delay_alu instid0(VALU_DEP_2)
	v_cmpx_ne_u32_e32 0x80, v0
	s_cbranch_execz .LBB6_1571
; %bb.1566:                             ;   in Loop: Header=BB6_356 Depth=4
	v_bfe_u32 v26, v21, 24, 7
	v_mov_b32_e32 v25, 0x7f800001
	s_mov_b32 s74, exec_lo
	s_delay_alu instid0(VALU_DEP_2)
	v_cmpx_ne_u32_e32 0x7f, v26
	s_cbranch_execz .LBB6_1570
; %bb.1567:                             ;   in Loop: Header=BB6_356 Depth=4
	v_dual_lshrrev_b32 v21, 3, v26 :: v_dual_bitop2_b32 v2, 7, v0 bitop3:0x40
	s_mov_b32 s75, exec_lo
	v_cmpx_gt_u32_e32 8, v26
; %bb.1568:                             ;   in Loop: Header=BB6_356 Depth=4
	s_delay_alu instid0(VALU_DEP_2) | instskip(NEXT) | instid1(VALU_DEP_1)
	v_clz_i32_u32_e32 v21, v2
	v_min_u32_e32 v21, 32, v21
	s_delay_alu instid0(VALU_DEP_1) | instskip(NEXT) | instid1(VALU_DEP_1)
	v_subrev_nc_u32_e32 v25, 28, v21
	v_lshlrev_b64_e32 v[26:27], v25, v[2:3]
	s_delay_alu instid0(VALU_DEP_1)
	v_dual_sub_nc_u32 v21, 29, v21 :: v_dual_bitop2_b32 v2, 7, v26 bitop3:0x40
; %bb.1569:                             ;   in Loop: Header=BB6_356 Depth=4
	s_or_b32 exec_lo, exec_lo, s75
	s_delay_alu instid0(VALU_DEP_1) | instskip(NEXT) | instid1(VALU_DEP_2)
	v_dual_lshlrev_b32 v0, 24, v0 :: v_dual_lshlrev_b32 v2, 20, v2
	v_lshl_add_u32 v21, v21, 23, 0x3c000000
	s_delay_alu instid0(VALU_DEP_2) | instskip(NEXT) | instid1(VALU_DEP_1)
	v_and_b32_e32 v0, 0x80000000, v0
	v_or3_b32 v25, v2, v0, v21
.LBB6_1570:                             ;   in Loop: Header=BB6_356 Depth=4
	s_or_b32 exec_lo, exec_lo, s74
.LBB6_1571:                             ;   in Loop: Header=BB6_356 Depth=4
	s_delay_alu instid0(SALU_CYCLE_1)
	s_or_b32 exec_lo, exec_lo, s73
.LBB6_1572:                             ;   in Loop: Header=BB6_356 Depth=4
	s_delay_alu instid0(SALU_CYCLE_1) | instskip(NEXT) | instid1(SALU_CYCLE_1)
	s_or_b32 exec_lo, exec_lo, s13
	s_mov_b32 s13, exec_lo
	v_cmpx_lt_u64_e64 s[22:23], v[16:17]
	s_cbranch_execz .LBB6_1580
; %bb.1573:                             ;   in Loop: Header=BB6_356 Depth=4
	v_lshrrev_b32_e32 v0, 24, v17
	v_bfrev_b32_e32 v20, 1
	s_mov_b32 s73, exec_lo
	s_delay_alu instid0(VALU_DEP_2)
	v_cmpx_ne_u32_e32 0x80, v0
	s_cbranch_execz .LBB6_1579
; %bb.1574:                             ;   in Loop: Header=BB6_356 Depth=4
	v_bfe_u32 v17, v17, 24, 7
	v_mov_b32_e32 v20, 0x7f800001
	s_mov_b32 s74, exec_lo
	s_delay_alu instid0(VALU_DEP_2)
	v_cmpx_ne_u32_e32 0x7f, v17
	s_cbranch_execz .LBB6_1578
; %bb.1575:                             ;   in Loop: Header=BB6_356 Depth=4
	v_dual_lshrrev_b32 v16, 3, v17 :: v_dual_bitop2_b32 v2, 7, v0 bitop3:0x40
	s_mov_b32 s75, exec_lo
	v_cmpx_gt_u32_e32 8, v17
; %bb.1576:                             ;   in Loop: Header=BB6_356 Depth=4
	s_delay_alu instid0(VALU_DEP_2) | instskip(NEXT) | instid1(VALU_DEP_1)
	v_clz_i32_u32_e32 v16, v2
	v_min_u32_e32 v16, 32, v16
	s_delay_alu instid0(VALU_DEP_1) | instskip(SKIP_1) | instid1(VALU_DEP_2)
	v_subrev_nc_u32_e32 v17, 28, v16
	v_sub_nc_u32_e32 v16, 29, v16
	v_lshlrev_b64_e32 v[20:21], v17, v[2:3]
	s_delay_alu instid0(VALU_DEP_1)
	v_and_b32_e32 v2, 7, v20
; %bb.1577:                             ;   in Loop: Header=BB6_356 Depth=4
	s_or_b32 exec_lo, exec_lo, s75
	s_delay_alu instid0(VALU_DEP_1) | instskip(SKIP_1) | instid1(VALU_DEP_2)
	v_dual_lshlrev_b32 v0, 24, v0 :: v_dual_lshlrev_b32 v2, 20, v2
	v_lshl_add_u32 v16, v16, 23, 0x3c000000
	v_and_b32_e32 v0, 0x80000000, v0
	s_delay_alu instid0(VALU_DEP_1)
	v_or3_b32 v20, v2, v0, v16
.LBB6_1578:                             ;   in Loop: Header=BB6_356 Depth=4
	s_or_b32 exec_lo, exec_lo, s74
.LBB6_1579:                             ;   in Loop: Header=BB6_356 Depth=4
	s_delay_alu instid0(SALU_CYCLE_1)
	s_or_b32 exec_lo, exec_lo, s73
.LBB6_1580:                             ;   in Loop: Header=BB6_356 Depth=4
	s_delay_alu instid0(SALU_CYCLE_1) | instskip(NEXT) | instid1(VALU_DEP_1)
	s_or_b32 exec_lo, exec_lo, s13
	v_add_f32_e32 v0, v25, v20
                                        ; implicit-def: $vgpr25
	s_mov_b32 s13, exec_lo
	s_delay_alu instid0(VALU_DEP_1) | instskip(SKIP_1) | instid1(VALU_DEP_2)
	v_and_b32_e32 v2, 0x7f800000, v0
	v_lshrrev_b32_e32 v16, 24, v0
	v_cmpx_ne_u64_e32 0x7f800000, v[2:3]
	s_xor_b32 s73, exec_lo, s13
	s_cbranch_execz .LBB6_1594
; %bb.1581:                             ;   in Loop: Header=BB6_356 Depth=4
	v_and_b32_e32 v2, 0x7fffffff, v0
	v_and_b32_e32 v26, 0x80, v16
                                        ; implicit-def: $vgpr25
	s_mov_b32 s13, exec_lo
	s_delay_alu instid0(VALU_DEP_2)
	v_cmpx_gt_u64_e32 0x43e00001, v[2:3]
	s_xor_b32 s74, exec_lo, s13
	s_cbranch_execz .LBB6_1591
; %bb.1582:                             ;   in Loop: Header=BB6_356 Depth=4
	v_mov_b32_e32 v25, 0
	s_mov_b32 s75, exec_lo
	v_cmpx_ne_u32_e32 0, v0
	s_cbranch_execz .LBB6_1590
; %bb.1583:                             ;   in Loop: Header=BB6_356 Depth=4
	v_bfe_u32 v25, v0, 23, 8
	v_and_b32_e32 v2, 0x7fffff, v0
	s_delay_alu instid0(VALU_DEP_2) | instskip(SKIP_2) | instid1(VALU_DEP_4)
	v_cmp_gt_u32_e64 s13, 0x7a, v25
	v_sub_nc_u32_e32 v0, 0x79, v25
	v_cmp_eq_u32_e32 vcc_lo, 0, v25
	v_or_b32_e32 v16, 0x800000, v2
	s_delay_alu instid0(VALU_DEP_1) | instskip(NEXT) | instid1(VALU_DEP_1)
	v_dual_cndmask_b32 v0, 0, v0, s13 :: v_dual_cndmask_b32 v2, v16, v2, vcc_lo
	v_cndmask_b32_e64 v0, v0, 0x78, vcc_lo
	s_delay_alu instid0(VALU_DEP_1) | instskip(NEXT) | instid1(VALU_DEP_1)
	v_dual_add_nc_u32 v16, 20, v0 :: v_dual_add_nc_u32 v20, 19, v0
	v_lshlrev_b64_e64 v[16:17], v16, -1
	s_delay_alu instid0(VALU_DEP_2) | instskip(NEXT) | instid1(VALU_DEP_2)
	v_lshlrev_b64_e64 v[20:21], v20, 1
	v_bfi_b32 v17, v17, 0, 0
	s_delay_alu instid0(VALU_DEP_3) | instskip(NEXT) | instid1(VALU_DEP_1)
	v_bfi_b32 v16, v16, 0, v2
	v_cmp_eq_u64_e64 s13, v[16:17], v[20:21]
	v_lshrrev_b64 v[16:17], v0, v[2:3]
	s_delay_alu instid0(VALU_DEP_1)
	v_mov_b64_e32 v[20:21], v[16:17]
	s_and_saveexec_b32 s76, s13
; %bb.1584:                             ;   in Loop: Header=BB6_356 Depth=4
	v_bfe_u32 v2, v16, 20, 1
	s_delay_alu instid0(VALU_DEP_1) | instskip(NEXT) | instid1(VALU_DEP_1)
	v_add_nc_u64_e32 v[20:21], v[16:17], v[2:3]
	v_add_nc_u64_e32 v[20:21], -1, v[20:21]
; %bb.1585:                             ;   in Loop: Header=BB6_356 Depth=4
	s_or_b32 exec_lo, exec_lo, s76
	v_add_nc_u32_e32 v2, 0xffffff81, v25
	v_lshrrev_b32_e32 v17, 23, v16
	s_mov_b32 s13, exec_lo
	s_delay_alu instid0(VALU_DEP_2) | instskip(NEXT) | instid1(VALU_DEP_1)
	v_cndmask_b32_e64 v2, v2, 0xffffff82, vcc_lo
	v_add3_u32 v21, v0, v2, v17
	v_and_b32_e32 v0, 0xfffff, v20
	s_delay_alu instid0(VALU_DEP_1) | instskip(NEXT) | instid1(VALU_DEP_1)
	v_dual_add_nc_u32 v20, 6, v21 :: v_dual_add_nc_u32 v2, v0, v16
                                        ; implicit-def: $vgpr16_vgpr17
                                        ; implicit-def: $vgpr0
	v_cmpx_ne_u32_e32 0, v20
	s_xor_b32 s13, exec_lo, s13
; %bb.1586:                             ;   in Loop: Header=BB6_356 Depth=4
	s_delay_alu instid0(VALU_DEP_2) | instskip(SKIP_2) | instid1(VALU_DEP_2)
	v_cmp_lt_u64_e32 vcc_lo, 0xffffff, v[2:3]
	v_add_nc_u32_e32 v0, 7, v21
	v_cndmask_b32_e64 v16, 0, 1, vcc_lo
	v_cndmask_b32_e32 v0, v20, v0, vcc_lo
	s_delay_alu instid0(VALU_DEP_2)
	v_lshrrev_b64 v[16:17], v16, v[2:3]
; %bb.1587:                             ;   in Loop: Header=BB6_356 Depth=4
	s_and_not1_saveexec_b32 s13, s13
; %bb.1588:                             ;   in Loop: Header=BB6_356 Depth=4
	v_mov_b64_e32 v[16:17], v[2:3]
	v_bfe_u32 v0, v2, 23, 1
; %bb.1589:                             ;   in Loop: Header=BB6_356 Depth=4
	s_or_b32 exec_lo, exec_lo, s13
	s_delay_alu instid0(VALU_DEP_2) | instskip(NEXT) | instid1(VALU_DEP_2)
	v_lshrrev_b64 v[16:17], 20, v[16:17]
	v_cmp_gt_i32_e32 vcc_lo, 16, v0
	v_min_i32_e32 v2, 15, v0
	v_cmp_eq_u32_e64 s13, 0, v0
	s_delay_alu instid0(VALU_DEP_2) | instskip(SKIP_1) | instid1(VALU_DEP_2)
	v_dual_cndmask_b32 v17, 0, v17 :: v_dual_lshlrev_b32 v2, 3, v2
	v_cndmask_b32_e32 v16, 7, v16, vcc_lo
	v_and_b32_e32 v2, 0xf8, v2
	s_delay_alu instid0(VALU_DEP_2) | instskip(NEXT) | instid1(VALU_DEP_2)
	v_cmp_eq_u64_e32 vcc_lo, 0, v[16:17]
	v_and_or_b32 v0, v16, 7, v2
	s_and_b32 s13, s13, vcc_lo
	s_delay_alu instid0(VALU_DEP_1) | instid1(SALU_CYCLE_1)
	v_cndmask_b32_e64 v0, v0, 0, s13
	s_delay_alu instid0(VALU_DEP_1)
	v_or_b32_e32 v25, v0, v26
.LBB6_1590:                             ;   in Loop: Header=BB6_356 Depth=4
	s_or_b32 exec_lo, exec_lo, s75
                                        ; implicit-def: $vgpr26
.LBB6_1591:                             ;   in Loop: Header=BB6_356 Depth=4
	s_and_not1_saveexec_b32 s13, s74
; %bb.1592:                             ;   in Loop: Header=BB6_356 Depth=4
	v_or_b32_e32 v25, 0x7e, v26
; %bb.1593:                             ;   in Loop: Header=BB6_356 Depth=4
	s_or_b32 exec_lo, exec_lo, s13
                                        ; implicit-def: $vgpr16
.LBB6_1594:                             ;   in Loop: Header=BB6_356 Depth=4
	s_and_not1_saveexec_b32 s13, s73
; %bb.1595:                             ;   in Loop: Header=BB6_356 Depth=4
	v_or_b32_e32 v25, 0x7f, v16
; %bb.1596:                             ;   in Loop: Header=BB6_356 Depth=4
	s_or_b32 exec_lo, exec_lo, s13
	v_and_b32_e32 v0, 0xff, v22
	v_dual_mov_b32 v2, 0 :: v_dual_mov_b32 v16, 0
	s_mov_b32 s13, exec_lo
	s_delay_alu instid0(VALU_DEP_2)
	v_cmpx_ne_u16_e32 0, v0
	s_cbranch_execz .LBB6_1602
; %bb.1597:                             ;   in Loop: Header=BB6_356 Depth=4
	v_bfrev_b32_e32 v16, 1
	s_mov_b32 s73, exec_lo
	v_cmpx_ne_u16_e32 0x80, v0
	s_cbranch_execz .LBB6_1601
; %bb.1598:                             ;   in Loop: Header=BB6_356 Depth=4
	v_and_b32_e32 v0, 0x7f, v22
	v_mov_b32_e32 v16, 0x7f800001
	s_mov_b32 s74, exec_lo
	s_delay_alu instid0(VALU_DEP_2)
	v_cmpx_ne_u32_e32 0x7f, v0
	s_cbranch_execz .LBB6_1600
; %bb.1599:                             ;   in Loop: Header=BB6_356 Depth=4
	v_dual_lshrrev_b32 v17, 3, v0 :: v_dual_bitop2_b32 v16, 7, v22 bitop3:0x40
	v_cmp_gt_u32_e32 vcc_lo, 8, v0
	s_delay_alu instid0(VALU_DEP_2) | instskip(NEXT) | instid1(VALU_DEP_1)
	v_clz_i32_u32_e32 v0, v16
	v_min_u32_e32 v0, 32, v0
	s_delay_alu instid0(VALU_DEP_1) | instskip(SKIP_1) | instid1(VALU_DEP_2)
	v_subrev_nc_u32_e32 v16, 28, v0
	v_sub_nc_u32_e32 v0, 29, v0
	v_cndmask_b32_e32 v16, 0, v16, vcc_lo
	s_delay_alu instid0(VALU_DEP_2) | instskip(NEXT) | instid1(VALU_DEP_2)
	v_cndmask_b32_e32 v0, v17, v0, vcc_lo
	v_lshlrev_b64_e32 v[16:17], v16, v[22:23]
	v_lshlrev_b32_e32 v17, 24, v22
	s_delay_alu instid0(VALU_DEP_3) | instskip(NEXT) | instid1(VALU_DEP_2)
	v_lshl_add_u32 v0, v0, 23, 0x3c000000
	v_and_b32_e32 v17, 0x80000000, v17
	s_delay_alu instid0(VALU_DEP_4) | instskip(NEXT) | instid1(VALU_DEP_1)
	v_lshlrev_b32_e32 v16, 20, v16
	v_and_b32_e32 v16, 0x700000, v16
	s_delay_alu instid0(VALU_DEP_1)
	v_or3_b32 v16, v16, v17, v0
.LBB6_1600:                             ;   in Loop: Header=BB6_356 Depth=4
	s_or_b32 exec_lo, exec_lo, s74
.LBB6_1601:                             ;   in Loop: Header=BB6_356 Depth=4
	s_delay_alu instid0(SALU_CYCLE_1)
	s_or_b32 exec_lo, exec_lo, s73
.LBB6_1602:                             ;   in Loop: Header=BB6_356 Depth=4
	s_delay_alu instid0(SALU_CYCLE_1) | instskip(SKIP_2) | instid1(VALU_DEP_1)
	s_or_b32 exec_lo, exec_lo, s13
	v_and_b32_e32 v0, 0xff, v18
	s_mov_b32 s13, exec_lo
	v_cmpx_ne_u16_e32 0, v0
	s_cbranch_execz .LBB6_1608
; %bb.1603:                             ;   in Loop: Header=BB6_356 Depth=4
	v_bfrev_b32_e32 v2, 1
	s_mov_b32 s73, exec_lo
	v_cmpx_ne_u16_e32 0x80, v0
	s_cbranch_execz .LBB6_1607
; %bb.1604:                             ;   in Loop: Header=BB6_356 Depth=4
	v_and_b32_e32 v0, 0x7f, v18
	v_mov_b32_e32 v2, 0x7f800001
	s_mov_b32 s74, exec_lo
	s_delay_alu instid0(VALU_DEP_2)
	v_cmpx_ne_u32_e32 0x7f, v0
	s_cbranch_execz .LBB6_1606
; %bb.1605:                             ;   in Loop: Header=BB6_356 Depth=4
	v_dual_lshrrev_b32 v17, 3, v0 :: v_dual_bitop2_b32 v2, 7, v18 bitop3:0x40
	v_cmp_gt_u32_e32 vcc_lo, 8, v0
	s_delay_alu instid0(VALU_DEP_2) | instskip(NEXT) | instid1(VALU_DEP_1)
	v_clz_i32_u32_e32 v0, v2
	v_min_u32_e32 v0, 32, v0
	s_delay_alu instid0(VALU_DEP_1) | instskip(NEXT) | instid1(VALU_DEP_1)
	v_subrev_nc_u32_e32 v2, 28, v0
	v_dual_sub_nc_u32 v0, 29, v0 :: v_dual_cndmask_b32 v2, 0, v2, vcc_lo
	s_delay_alu instid0(VALU_DEP_1) | instskip(NEXT) | instid1(VALU_DEP_2)
	v_dual_cndmask_b32 v0, v17, v0 :: v_dual_lshlrev_b32 v17, 24, v18
	v_lshlrev_b64_e32 v[20:21], v2, v[18:19]
	s_delay_alu instid0(VALU_DEP_2) | instskip(NEXT) | instid1(VALU_DEP_3)
	v_lshl_add_u32 v0, v0, 23, 0x3c000000
	v_and_b32_e32 v17, 0x80000000, v17
	s_delay_alu instid0(VALU_DEP_3) | instskip(NEXT) | instid1(VALU_DEP_1)
	v_lshlrev_b32_e32 v2, 20, v20
	v_and_b32_e32 v2, 0x700000, v2
	s_delay_alu instid0(VALU_DEP_1)
	v_or3_b32 v2, v2, v17, v0
.LBB6_1606:                             ;   in Loop: Header=BB6_356 Depth=4
	s_or_b32 exec_lo, exec_lo, s74
.LBB6_1607:                             ;   in Loop: Header=BB6_356 Depth=4
	s_delay_alu instid0(SALU_CYCLE_1)
	s_or_b32 exec_lo, exec_lo, s73
.LBB6_1608:                             ;   in Loop: Header=BB6_356 Depth=4
	s_delay_alu instid0(SALU_CYCLE_1) | instskip(NEXT) | instid1(VALU_DEP_1)
	s_or_b32 exec_lo, exec_lo, s13
	v_add_f32_e32 v0, v16, v2
                                        ; implicit-def: $vgpr26
	s_mov_b32 s13, exec_lo
	s_delay_alu instid0(VALU_DEP_1) | instskip(SKIP_1) | instid1(VALU_DEP_2)
	v_and_b32_e32 v2, 0x7f800000, v0
	v_lshrrev_b32_e32 v16, 24, v0
	v_cmpx_ne_u64_e32 0x7f800000, v[2:3]
	s_xor_b32 s73, exec_lo, s13
	s_cbranch_execz .LBB6_1622
; %bb.1609:                             ;   in Loop: Header=BB6_356 Depth=4
	v_and_b32_e32 v2, 0x7fffffff, v0
	v_and_b32_e32 v27, 0x80, v16
                                        ; implicit-def: $vgpr26
	s_mov_b32 s13, exec_lo
	s_delay_alu instid0(VALU_DEP_2)
	v_cmpx_gt_u64_e32 0x43e00001, v[2:3]
	s_xor_b32 s74, exec_lo, s13
	s_cbranch_execz .LBB6_1619
; %bb.1610:                             ;   in Loop: Header=BB6_356 Depth=4
	v_mov_b32_e32 v26, 0
	s_mov_b32 s75, exec_lo
	v_cmpx_ne_u32_e32 0, v0
	s_cbranch_execz .LBB6_1618
; %bb.1611:                             ;   in Loop: Header=BB6_356 Depth=4
	v_bfe_u32 v26, v0, 23, 8
	v_and_b32_e32 v2, 0x7fffff, v0
	s_delay_alu instid0(VALU_DEP_2) | instskip(SKIP_2) | instid1(VALU_DEP_4)
	v_cmp_gt_u32_e64 s13, 0x7a, v26
	v_sub_nc_u32_e32 v0, 0x79, v26
	v_cmp_eq_u32_e32 vcc_lo, 0, v26
	v_or_b32_e32 v16, 0x800000, v2
	s_delay_alu instid0(VALU_DEP_1) | instskip(NEXT) | instid1(VALU_DEP_1)
	v_dual_cndmask_b32 v0, 0, v0, s13 :: v_dual_cndmask_b32 v2, v16, v2, vcc_lo
	v_cndmask_b32_e64 v0, v0, 0x78, vcc_lo
	s_delay_alu instid0(VALU_DEP_1) | instskip(NEXT) | instid1(VALU_DEP_1)
	v_dual_add_nc_u32 v16, 20, v0 :: v_dual_add_nc_u32 v20, 19, v0
	v_lshlrev_b64_e64 v[16:17], v16, -1
	s_delay_alu instid0(VALU_DEP_2) | instskip(NEXT) | instid1(VALU_DEP_2)
	v_lshlrev_b64_e64 v[20:21], v20, 1
	v_bfi_b32 v17, v17, 0, 0
	s_delay_alu instid0(VALU_DEP_3) | instskip(NEXT) | instid1(VALU_DEP_1)
	v_bfi_b32 v16, v16, 0, v2
	v_cmp_eq_u64_e64 s13, v[16:17], v[20:21]
	v_lshrrev_b64 v[16:17], v0, v[2:3]
	s_delay_alu instid0(VALU_DEP_1)
	v_mov_b64_e32 v[20:21], v[16:17]
	s_and_saveexec_b32 s76, s13
; %bb.1612:                             ;   in Loop: Header=BB6_356 Depth=4
	v_bfe_u32 v2, v16, 20, 1
	s_delay_alu instid0(VALU_DEP_1) | instskip(NEXT) | instid1(VALU_DEP_1)
	v_add_nc_u64_e32 v[20:21], v[16:17], v[2:3]
	v_add_nc_u64_e32 v[20:21], -1, v[20:21]
; %bb.1613:                             ;   in Loop: Header=BB6_356 Depth=4
	s_or_b32 exec_lo, exec_lo, s76
	v_add_nc_u32_e32 v2, 0xffffff81, v26
	v_lshrrev_b32_e32 v17, 23, v16
	s_mov_b32 s13, exec_lo
	s_delay_alu instid0(VALU_DEP_2) | instskip(NEXT) | instid1(VALU_DEP_1)
	v_cndmask_b32_e64 v2, v2, 0xffffff82, vcc_lo
	v_add3_u32 v21, v0, v2, v17
	v_and_b32_e32 v0, 0xfffff, v20
	s_delay_alu instid0(VALU_DEP_1) | instskip(NEXT) | instid1(VALU_DEP_1)
	v_dual_add_nc_u32 v20, 6, v21 :: v_dual_add_nc_u32 v2, v0, v16
                                        ; implicit-def: $vgpr16_vgpr17
                                        ; implicit-def: $vgpr0
	v_cmpx_ne_u32_e32 0, v20
	s_xor_b32 s13, exec_lo, s13
; %bb.1614:                             ;   in Loop: Header=BB6_356 Depth=4
	s_delay_alu instid0(VALU_DEP_2) | instskip(SKIP_2) | instid1(VALU_DEP_2)
	v_cmp_lt_u64_e32 vcc_lo, 0xffffff, v[2:3]
	v_add_nc_u32_e32 v0, 7, v21
	v_cndmask_b32_e64 v16, 0, 1, vcc_lo
	v_cndmask_b32_e32 v0, v20, v0, vcc_lo
	s_delay_alu instid0(VALU_DEP_2)
	v_lshrrev_b64 v[16:17], v16, v[2:3]
; %bb.1615:                             ;   in Loop: Header=BB6_356 Depth=4
	s_and_not1_saveexec_b32 s13, s13
; %bb.1616:                             ;   in Loop: Header=BB6_356 Depth=4
	v_mov_b64_e32 v[16:17], v[2:3]
	v_bfe_u32 v0, v2, 23, 1
; %bb.1617:                             ;   in Loop: Header=BB6_356 Depth=4
	s_or_b32 exec_lo, exec_lo, s13
	s_delay_alu instid0(VALU_DEP_2) | instskip(NEXT) | instid1(VALU_DEP_2)
	v_lshrrev_b64 v[16:17], 20, v[16:17]
	v_cmp_gt_i32_e32 vcc_lo, 16, v0
	v_min_i32_e32 v2, 15, v0
	v_cmp_eq_u32_e64 s13, 0, v0
	s_delay_alu instid0(VALU_DEP_2) | instskip(SKIP_1) | instid1(VALU_DEP_2)
	v_dual_cndmask_b32 v17, 0, v17 :: v_dual_lshlrev_b32 v2, 3, v2
	v_cndmask_b32_e32 v16, 7, v16, vcc_lo
	v_and_b32_e32 v2, 0xf8, v2
	s_delay_alu instid0(VALU_DEP_2) | instskip(NEXT) | instid1(VALU_DEP_2)
	v_cmp_eq_u64_e32 vcc_lo, 0, v[16:17]
	v_and_or_b32 v0, v16, 7, v2
	s_and_b32 s13, s13, vcc_lo
	s_delay_alu instid0(VALU_DEP_1) | instid1(SALU_CYCLE_1)
	v_cndmask_b32_e64 v0, v0, 0, s13
	s_delay_alu instid0(VALU_DEP_1)
	v_or_b32_e32 v26, v0, v27
.LBB6_1618:                             ;   in Loop: Header=BB6_356 Depth=4
	s_or_b32 exec_lo, exec_lo, s75
                                        ; implicit-def: $vgpr27
.LBB6_1619:                             ;   in Loop: Header=BB6_356 Depth=4
	s_and_not1_saveexec_b32 s13, s74
; %bb.1620:                             ;   in Loop: Header=BB6_356 Depth=4
	v_or_b32_e32 v26, 0x7e, v27
; %bb.1621:                             ;   in Loop: Header=BB6_356 Depth=4
	s_or_b32 exec_lo, exec_lo, s13
                                        ; implicit-def: $vgpr16
.LBB6_1622:                             ;   in Loop: Header=BB6_356 Depth=4
	s_and_not1_saveexec_b32 s13, s73
; %bb.1623:                             ;   in Loop: Header=BB6_356 Depth=4
	v_or_b32_e32 v26, 0x7f, v16
; %bb.1624:                             ;   in Loop: Header=BB6_356 Depth=4
	s_or_b32 exec_lo, exec_lo, s13
	v_lshrrev_b16 v0, 8, v22
	v_dual_mov_b32 v16, 0 :: v_dual_mov_b32 v17, 0
	s_mov_b32 s13, exec_lo
	s_delay_alu instid0(VALU_DEP_2)
	v_cmpx_ne_u16_e32 0, v0
	s_cbranch_execz .LBB6_1632
; %bb.1625:                             ;   in Loop: Header=BB6_356 Depth=4
	v_bfrev_b32_e32 v17, 1
	s_mov_b32 s73, exec_lo
	v_cmpx_ne_u16_e32 0x80, v0
	s_cbranch_execz .LBB6_1631
; %bb.1626:                             ;   in Loop: Header=BB6_356 Depth=4
	v_and_b32_e32 v0, 0xffff, v0
	v_mov_b32_e32 v17, 0x7f800001
	s_mov_b32 s74, exec_lo
	s_delay_alu instid0(VALU_DEP_2) | instskip(NEXT) | instid1(VALU_DEP_1)
	v_and_b32_e32 v20, 0x7f, v0
	v_cmpx_ne_u32_e32 0x7f, v20
	s_cbranch_execz .LBB6_1630
; %bb.1627:                             ;   in Loop: Header=BB6_356 Depth=4
	v_and_b32_e32 v2, 7, v0
	v_lshrrev_b32_e32 v0, 3, v20
	s_mov_b32 s75, exec_lo
	v_cmpx_gt_u32_e32 8, v20
; %bb.1628:                             ;   in Loop: Header=BB6_356 Depth=4
	s_delay_alu instid0(VALU_DEP_3) | instskip(NEXT) | instid1(VALU_DEP_1)
	v_clz_i32_u32_e32 v0, v2
	v_min_u32_e32 v0, 32, v0
	s_delay_alu instid0(VALU_DEP_1) | instskip(SKIP_1) | instid1(VALU_DEP_2)
	v_subrev_nc_u32_e32 v17, 28, v0
	v_sub_nc_u32_e32 v0, 29, v0
	v_lshlrev_b64_e32 v[20:21], v17, v[2:3]
	s_delay_alu instid0(VALU_DEP_1)
	v_and_b32_e32 v2, 7, v20
; %bb.1629:                             ;   in Loop: Header=BB6_356 Depth=4
	s_or_b32 exec_lo, exec_lo, s75
	v_lshlrev_b32_e32 v17, 16, v22
	s_delay_alu instid0(VALU_DEP_2) | instskip(SKIP_1) | instid1(VALU_DEP_3)
	v_lshlrev_b32_e32 v2, 20, v2
	v_lshl_add_u32 v0, v0, 23, 0x3c000000
	v_and_b32_e32 v17, 0x80000000, v17
	s_delay_alu instid0(VALU_DEP_1)
	v_or3_b32 v17, v2, v17, v0
.LBB6_1630:                             ;   in Loop: Header=BB6_356 Depth=4
	s_or_b32 exec_lo, exec_lo, s74
.LBB6_1631:                             ;   in Loop: Header=BB6_356 Depth=4
	s_delay_alu instid0(SALU_CYCLE_1)
	s_or_b32 exec_lo, exec_lo, s73
.LBB6_1632:                             ;   in Loop: Header=BB6_356 Depth=4
	s_delay_alu instid0(SALU_CYCLE_1) | instskip(SKIP_2) | instid1(VALU_DEP_1)
	s_or_b32 exec_lo, exec_lo, s13
	v_lshrrev_b16 v0, 8, v18
	s_mov_b32 s13, exec_lo
	v_cmpx_ne_u16_e32 0, v0
	s_cbranch_execz .LBB6_1640
; %bb.1633:                             ;   in Loop: Header=BB6_356 Depth=4
	v_bfrev_b32_e32 v16, 1
	s_mov_b32 s73, exec_lo
	v_cmpx_ne_u16_e32 0x80, v0
	s_cbranch_execz .LBB6_1639
; %bb.1634:                             ;   in Loop: Header=BB6_356 Depth=4
	v_and_b32_e32 v0, 0xffff, v0
	v_mov_b32_e32 v16, 0x7f800001
	s_mov_b32 s74, exec_lo
	s_delay_alu instid0(VALU_DEP_2) | instskip(NEXT) | instid1(VALU_DEP_1)
	v_and_b32_e32 v20, 0x7f, v0
	v_cmpx_ne_u32_e32 0x7f, v20
	s_cbranch_execz .LBB6_1638
; %bb.1635:                             ;   in Loop: Header=BB6_356 Depth=4
	v_and_b32_e32 v2, 7, v0
	v_lshrrev_b32_e32 v0, 3, v20
	s_mov_b32 s75, exec_lo
	v_cmpx_gt_u32_e32 8, v20
; %bb.1636:                             ;   in Loop: Header=BB6_356 Depth=4
	s_delay_alu instid0(VALU_DEP_3) | instskip(NEXT) | instid1(VALU_DEP_1)
	v_clz_i32_u32_e32 v0, v2
	v_min_u32_e32 v0, 32, v0
	s_delay_alu instid0(VALU_DEP_1) | instskip(SKIP_1) | instid1(VALU_DEP_2)
	v_subrev_nc_u32_e32 v16, 28, v0
	v_sub_nc_u32_e32 v0, 29, v0
	v_lshlrev_b64_e32 v[20:21], v16, v[2:3]
	s_delay_alu instid0(VALU_DEP_1)
	v_and_b32_e32 v2, 7, v20
; %bb.1637:                             ;   in Loop: Header=BB6_356 Depth=4
	s_or_b32 exec_lo, exec_lo, s75
	v_lshlrev_b32_e32 v16, 16, v18
	s_delay_alu instid0(VALU_DEP_2) | instskip(SKIP_1) | instid1(VALU_DEP_3)
	v_lshlrev_b32_e32 v2, 20, v2
	v_lshl_add_u32 v0, v0, 23, 0x3c000000
	v_and_b32_e32 v16, 0x80000000, v16
	s_delay_alu instid0(VALU_DEP_1)
	v_or3_b32 v16, v2, v16, v0
.LBB6_1638:                             ;   in Loop: Header=BB6_356 Depth=4
	s_or_b32 exec_lo, exec_lo, s74
.LBB6_1639:                             ;   in Loop: Header=BB6_356 Depth=4
	s_delay_alu instid0(SALU_CYCLE_1)
	s_or_b32 exec_lo, exec_lo, s73
.LBB6_1640:                             ;   in Loop: Header=BB6_356 Depth=4
	s_delay_alu instid0(SALU_CYCLE_1) | instskip(NEXT) | instid1(VALU_DEP_1)
	s_or_b32 exec_lo, exec_lo, s13
	v_add_f32_e32 v0, v17, v16
                                        ; implicit-def: $vgpr27
	s_mov_b32 s13, exec_lo
	s_delay_alu instid0(VALU_DEP_1) | instskip(SKIP_1) | instid1(VALU_DEP_2)
	v_and_b32_e32 v2, 0x7f800000, v0
	v_lshrrev_b32_e32 v16, 24, v0
	v_cmpx_ne_u64_e32 0x7f800000, v[2:3]
	s_xor_b32 s73, exec_lo, s13
	s_cbranch_execz .LBB6_1654
; %bb.1641:                             ;   in Loop: Header=BB6_356 Depth=4
	v_and_b32_e32 v2, 0x7fffffff, v0
	v_and_b32_e32 v66, 0x80, v16
                                        ; implicit-def: $vgpr27
	s_mov_b32 s13, exec_lo
	s_delay_alu instid0(VALU_DEP_2)
	v_cmpx_gt_u64_e32 0x43e00001, v[2:3]
	s_xor_b32 s74, exec_lo, s13
	s_cbranch_execz .LBB6_1651
; %bb.1642:                             ;   in Loop: Header=BB6_356 Depth=4
	v_mov_b32_e32 v27, 0
	s_mov_b32 s75, exec_lo
	v_cmpx_ne_u32_e32 0, v0
	s_cbranch_execz .LBB6_1650
; %bb.1643:                             ;   in Loop: Header=BB6_356 Depth=4
	v_bfe_u32 v27, v0, 23, 8
	v_and_b32_e32 v2, 0x7fffff, v0
	s_delay_alu instid0(VALU_DEP_2) | instskip(SKIP_2) | instid1(VALU_DEP_4)
	v_cmp_gt_u32_e64 s13, 0x7a, v27
	v_sub_nc_u32_e32 v0, 0x79, v27
	v_cmp_eq_u32_e32 vcc_lo, 0, v27
	v_or_b32_e32 v16, 0x800000, v2
	s_delay_alu instid0(VALU_DEP_1) | instskip(NEXT) | instid1(VALU_DEP_1)
	v_dual_cndmask_b32 v0, 0, v0, s13 :: v_dual_cndmask_b32 v2, v16, v2, vcc_lo
	v_cndmask_b32_e64 v0, v0, 0x78, vcc_lo
	s_delay_alu instid0(VALU_DEP_1) | instskip(NEXT) | instid1(VALU_DEP_1)
	v_dual_add_nc_u32 v16, 20, v0 :: v_dual_add_nc_u32 v20, 19, v0
	v_lshlrev_b64_e64 v[16:17], v16, -1
	s_delay_alu instid0(VALU_DEP_2) | instskip(NEXT) | instid1(VALU_DEP_2)
	v_lshlrev_b64_e64 v[20:21], v20, 1
	v_bfi_b32 v17, v17, 0, 0
	s_delay_alu instid0(VALU_DEP_3) | instskip(NEXT) | instid1(VALU_DEP_1)
	v_bfi_b32 v16, v16, 0, v2
	v_cmp_eq_u64_e64 s13, v[16:17], v[20:21]
	v_lshrrev_b64 v[16:17], v0, v[2:3]
	s_delay_alu instid0(VALU_DEP_1)
	v_mov_b64_e32 v[20:21], v[16:17]
	s_and_saveexec_b32 s76, s13
; %bb.1644:                             ;   in Loop: Header=BB6_356 Depth=4
	v_bfe_u32 v2, v16, 20, 1
	s_delay_alu instid0(VALU_DEP_1) | instskip(NEXT) | instid1(VALU_DEP_1)
	v_add_nc_u64_e32 v[20:21], v[16:17], v[2:3]
	v_add_nc_u64_e32 v[20:21], -1, v[20:21]
; %bb.1645:                             ;   in Loop: Header=BB6_356 Depth=4
	s_or_b32 exec_lo, exec_lo, s76
	v_add_nc_u32_e32 v2, 0xffffff81, v27
	v_lshrrev_b32_e32 v17, 23, v16
	s_mov_b32 s13, exec_lo
	s_delay_alu instid0(VALU_DEP_2) | instskip(NEXT) | instid1(VALU_DEP_1)
	v_cndmask_b32_e64 v2, v2, 0xffffff82, vcc_lo
	v_add3_u32 v21, v0, v2, v17
	v_and_b32_e32 v0, 0xfffff, v20
	s_delay_alu instid0(VALU_DEP_1) | instskip(NEXT) | instid1(VALU_DEP_1)
	v_dual_add_nc_u32 v20, 6, v21 :: v_dual_add_nc_u32 v2, v0, v16
                                        ; implicit-def: $vgpr16_vgpr17
                                        ; implicit-def: $vgpr0
	v_cmpx_ne_u32_e32 0, v20
	s_xor_b32 s13, exec_lo, s13
; %bb.1646:                             ;   in Loop: Header=BB6_356 Depth=4
	s_delay_alu instid0(VALU_DEP_2) | instskip(SKIP_2) | instid1(VALU_DEP_2)
	v_cmp_lt_u64_e32 vcc_lo, 0xffffff, v[2:3]
	v_add_nc_u32_e32 v0, 7, v21
	v_cndmask_b32_e64 v16, 0, 1, vcc_lo
	v_cndmask_b32_e32 v0, v20, v0, vcc_lo
	s_delay_alu instid0(VALU_DEP_2)
	v_lshrrev_b64 v[16:17], v16, v[2:3]
; %bb.1647:                             ;   in Loop: Header=BB6_356 Depth=4
	s_and_not1_saveexec_b32 s13, s13
; %bb.1648:                             ;   in Loop: Header=BB6_356 Depth=4
	v_mov_b64_e32 v[16:17], v[2:3]
	v_bfe_u32 v0, v2, 23, 1
; %bb.1649:                             ;   in Loop: Header=BB6_356 Depth=4
	s_or_b32 exec_lo, exec_lo, s13
	s_delay_alu instid0(VALU_DEP_2) | instskip(NEXT) | instid1(VALU_DEP_2)
	v_lshrrev_b64 v[16:17], 20, v[16:17]
	v_cmp_gt_i32_e32 vcc_lo, 16, v0
	v_min_i32_e32 v2, 15, v0
	v_cmp_eq_u32_e64 s13, 0, v0
	s_delay_alu instid0(VALU_DEP_2) | instskip(SKIP_1) | instid1(VALU_DEP_2)
	v_dual_cndmask_b32 v17, 0, v17 :: v_dual_lshlrev_b32 v2, 3, v2
	v_cndmask_b32_e32 v16, 7, v16, vcc_lo
	v_and_b32_e32 v2, 0xf8, v2
	s_delay_alu instid0(VALU_DEP_2) | instskip(NEXT) | instid1(VALU_DEP_2)
	v_cmp_eq_u64_e32 vcc_lo, 0, v[16:17]
	v_and_or_b32 v0, v16, 7, v2
	s_and_b32 s13, s13, vcc_lo
	s_delay_alu instid0(VALU_DEP_1) | instid1(SALU_CYCLE_1)
	v_cndmask_b32_e64 v0, v0, 0, s13
	s_delay_alu instid0(VALU_DEP_1)
	v_or_b32_e32 v27, v0, v66
.LBB6_1650:                             ;   in Loop: Header=BB6_356 Depth=4
	s_or_b32 exec_lo, exec_lo, s75
                                        ; implicit-def: $vgpr66
.LBB6_1651:                             ;   in Loop: Header=BB6_356 Depth=4
	s_and_not1_saveexec_b32 s13, s74
; %bb.1652:                             ;   in Loop: Header=BB6_356 Depth=4
	v_or_b32_e32 v27, 0x7e, v66
; %bb.1653:                             ;   in Loop: Header=BB6_356 Depth=4
	s_or_b32 exec_lo, exec_lo, s13
                                        ; implicit-def: $vgpr16
.LBB6_1654:                             ;   in Loop: Header=BB6_356 Depth=4
	s_and_not1_saveexec_b32 s13, s73
; %bb.1655:                             ;   in Loop: Header=BB6_356 Depth=4
	v_or_b32_e32 v27, 0x7f, v16
; %bb.1656:                             ;   in Loop: Header=BB6_356 Depth=4
	s_or_b32 exec_lo, exec_lo, s13
	v_dual_lshrrev_b32 v0, 16, v22 :: v_dual_mov_b32 v16, 0
	v_mov_b32_e32 v17, 0
	s_mov_b32 s13, exec_lo
	s_delay_alu instid0(VALU_DEP_2) | instskip(NEXT) | instid1(VALU_DEP_1)
	v_and_b32_e32 v2, 0xff, v0
	v_cmpx_ne_u16_e32 0, v2
	s_cbranch_execz .LBB6_1664
; %bb.1657:                             ;   in Loop: Header=BB6_356 Depth=4
	v_bfrev_b32_e32 v17, 1
	s_mov_b32 s73, exec_lo
	v_cmpx_ne_u16_e32 0x80, v2
	s_cbranch_execz .LBB6_1663
; %bb.1658:                             ;   in Loop: Header=BB6_356 Depth=4
	v_bfe_u32 v20, v22, 16, 7
	v_mov_b32_e32 v17, 0x7f800001
	s_mov_b32 s74, exec_lo
	s_delay_alu instid0(VALU_DEP_2)
	v_cmpx_ne_u32_e32 0x7f, v20
	s_cbranch_execz .LBB6_1662
; %bb.1659:                             ;   in Loop: Header=BB6_356 Depth=4
	v_and_b32_e32 v2, 7, v0
	v_lshrrev_b32_e32 v17, 3, v20
	s_mov_b32 s75, exec_lo
	v_cmpx_gt_u32_e32 8, v20
; %bb.1660:                             ;   in Loop: Header=BB6_356 Depth=4
	s_delay_alu instid0(VALU_DEP_3) | instskip(NEXT) | instid1(VALU_DEP_1)
	v_clz_i32_u32_e32 v17, v2
	v_min_u32_e32 v17, 32, v17
	s_delay_alu instid0(VALU_DEP_1) | instskip(NEXT) | instid1(VALU_DEP_1)
	v_subrev_nc_u32_e32 v20, 28, v17
	v_lshlrev_b64_e32 v[20:21], v20, v[2:3]
	s_delay_alu instid0(VALU_DEP_1)
	v_dual_sub_nc_u32 v17, 29, v17 :: v_dual_bitop2_b32 v2, 7, v20 bitop3:0x40
; %bb.1661:                             ;   in Loop: Header=BB6_356 Depth=4
	s_or_b32 exec_lo, exec_lo, s75
	s_delay_alu instid0(VALU_DEP_1) | instskip(NEXT) | instid1(VALU_DEP_2)
	v_dual_lshlrev_b32 v0, 24, v0 :: v_dual_lshlrev_b32 v2, 20, v2
	v_lshl_add_u32 v17, v17, 23, 0x3c000000
	s_delay_alu instid0(VALU_DEP_2) | instskip(NEXT) | instid1(VALU_DEP_1)
	v_and_b32_e32 v0, 0x80000000, v0
	v_or3_b32 v17, v2, v0, v17
.LBB6_1662:                             ;   in Loop: Header=BB6_356 Depth=4
	s_or_b32 exec_lo, exec_lo, s74
.LBB6_1663:                             ;   in Loop: Header=BB6_356 Depth=4
	s_delay_alu instid0(SALU_CYCLE_1)
	s_or_b32 exec_lo, exec_lo, s73
.LBB6_1664:                             ;   in Loop: Header=BB6_356 Depth=4
	s_delay_alu instid0(SALU_CYCLE_1) | instskip(SKIP_2) | instid1(VALU_DEP_1)
	s_or_b32 exec_lo, exec_lo, s13
	v_lshrrev_b32_e32 v0, 16, v18
	s_mov_b32 s13, exec_lo
	v_and_b32_e32 v2, 0xff, v0
	s_delay_alu instid0(VALU_DEP_1)
	v_cmpx_ne_u16_e32 0, v2
	s_cbranch_execz .LBB6_1672
; %bb.1665:                             ;   in Loop: Header=BB6_356 Depth=4
	v_bfrev_b32_e32 v16, 1
	s_mov_b32 s73, exec_lo
	v_cmpx_ne_u16_e32 0x80, v2
	s_cbranch_execz .LBB6_1671
; %bb.1666:                             ;   in Loop: Header=BB6_356 Depth=4
	v_bfe_u32 v20, v18, 16, 7
	v_mov_b32_e32 v16, 0x7f800001
	s_mov_b32 s74, exec_lo
	s_delay_alu instid0(VALU_DEP_2)
	v_cmpx_ne_u32_e32 0x7f, v20
	s_cbranch_execz .LBB6_1670
; %bb.1667:                             ;   in Loop: Header=BB6_356 Depth=4
	v_and_b32_e32 v2, 7, v0
	v_lshrrev_b32_e32 v0, 3, v20
	s_mov_b32 s75, exec_lo
	v_cmpx_gt_u32_e32 8, v20
; %bb.1668:                             ;   in Loop: Header=BB6_356 Depth=4
	s_delay_alu instid0(VALU_DEP_3) | instskip(NEXT) | instid1(VALU_DEP_1)
	v_clz_i32_u32_e32 v0, v2
	v_min_u32_e32 v0, 32, v0
	s_delay_alu instid0(VALU_DEP_1) | instskip(SKIP_1) | instid1(VALU_DEP_2)
	v_subrev_nc_u32_e32 v16, 28, v0
	v_sub_nc_u32_e32 v0, 29, v0
	v_lshlrev_b64_e32 v[20:21], v16, v[2:3]
	s_delay_alu instid0(VALU_DEP_1)
	v_and_b32_e32 v2, 7, v20
; %bb.1669:                             ;   in Loop: Header=BB6_356 Depth=4
	s_or_b32 exec_lo, exec_lo, s75
	v_lshlrev_b32_e32 v16, 8, v18
	s_delay_alu instid0(VALU_DEP_2) | instskip(SKIP_1) | instid1(VALU_DEP_3)
	v_lshlrev_b32_e32 v2, 20, v2
	v_lshl_add_u32 v0, v0, 23, 0x3c000000
	v_and_b32_e32 v16, 0x80000000, v16
	s_delay_alu instid0(VALU_DEP_1)
	v_or3_b32 v16, v2, v16, v0
.LBB6_1670:                             ;   in Loop: Header=BB6_356 Depth=4
	s_or_b32 exec_lo, exec_lo, s74
.LBB6_1671:                             ;   in Loop: Header=BB6_356 Depth=4
	s_delay_alu instid0(SALU_CYCLE_1)
	s_or_b32 exec_lo, exec_lo, s73
.LBB6_1672:                             ;   in Loop: Header=BB6_356 Depth=4
	s_delay_alu instid0(SALU_CYCLE_1) | instskip(NEXT) | instid1(VALU_DEP_1)
	s_or_b32 exec_lo, exec_lo, s13
	v_add_f32_e32 v0, v17, v16
                                        ; implicit-def: $vgpr72
	s_mov_b32 s13, exec_lo
	s_delay_alu instid0(VALU_DEP_1) | instskip(SKIP_1) | instid1(VALU_DEP_2)
	v_and_b32_e32 v2, 0x7f800000, v0
	v_lshrrev_b32_e32 v16, 24, v0
	v_cmpx_ne_u64_e32 0x7f800000, v[2:3]
	s_xor_b32 s73, exec_lo, s13
	s_cbranch_execz .LBB6_1686
; %bb.1673:                             ;   in Loop: Header=BB6_356 Depth=4
	v_and_b32_e32 v2, 0x7fffffff, v0
	v_and_b32_e32 v66, 0x80, v16
                                        ; implicit-def: $vgpr72
	s_mov_b32 s13, exec_lo
	s_delay_alu instid0(VALU_DEP_2)
	v_cmpx_gt_u64_e32 0x43e00001, v[2:3]
	s_xor_b32 s74, exec_lo, s13
	s_cbranch_execz .LBB6_1683
; %bb.1674:                             ;   in Loop: Header=BB6_356 Depth=4
	v_mov_b32_e32 v72, 0
	s_mov_b32 s75, exec_lo
	v_cmpx_ne_u32_e32 0, v0
	s_cbranch_execz .LBB6_1682
; %bb.1675:                             ;   in Loop: Header=BB6_356 Depth=4
	v_bfe_u32 v67, v0, 23, 8
	v_and_b32_e32 v2, 0x7fffff, v0
	s_delay_alu instid0(VALU_DEP_2) | instskip(SKIP_2) | instid1(VALU_DEP_4)
	v_cmp_gt_u32_e64 s13, 0x7a, v67
	v_sub_nc_u32_e32 v0, 0x79, v67
	v_cmp_eq_u32_e32 vcc_lo, 0, v67
	v_or_b32_e32 v16, 0x800000, v2
	s_delay_alu instid0(VALU_DEP_1) | instskip(NEXT) | instid1(VALU_DEP_1)
	v_dual_cndmask_b32 v0, 0, v0, s13 :: v_dual_cndmask_b32 v2, v16, v2, vcc_lo
	v_cndmask_b32_e64 v0, v0, 0x78, vcc_lo
	s_delay_alu instid0(VALU_DEP_1) | instskip(NEXT) | instid1(VALU_DEP_1)
	v_dual_add_nc_u32 v16, 20, v0 :: v_dual_add_nc_u32 v20, 19, v0
	v_lshlrev_b64_e64 v[16:17], v16, -1
	s_delay_alu instid0(VALU_DEP_2) | instskip(NEXT) | instid1(VALU_DEP_2)
	v_lshlrev_b64_e64 v[20:21], v20, 1
	v_bfi_b32 v17, v17, 0, 0
	s_delay_alu instid0(VALU_DEP_3) | instskip(NEXT) | instid1(VALU_DEP_1)
	v_bfi_b32 v16, v16, 0, v2
	v_cmp_eq_u64_e64 s13, v[16:17], v[20:21]
	v_lshrrev_b64 v[16:17], v0, v[2:3]
	s_delay_alu instid0(VALU_DEP_1)
	v_mov_b64_e32 v[20:21], v[16:17]
	s_and_saveexec_b32 s76, s13
; %bb.1676:                             ;   in Loop: Header=BB6_356 Depth=4
	v_bfe_u32 v2, v16, 20, 1
	s_delay_alu instid0(VALU_DEP_1) | instskip(NEXT) | instid1(VALU_DEP_1)
	v_add_nc_u64_e32 v[20:21], v[16:17], v[2:3]
	v_add_nc_u64_e32 v[20:21], -1, v[20:21]
; %bb.1677:                             ;   in Loop: Header=BB6_356 Depth=4
	s_or_b32 exec_lo, exec_lo, s76
	v_add_nc_u32_e32 v2, 0xffffff81, v67
	v_lshrrev_b32_e32 v17, 23, v16
	s_mov_b32 s13, exec_lo
	s_delay_alu instid0(VALU_DEP_2) | instskip(NEXT) | instid1(VALU_DEP_1)
	v_cndmask_b32_e64 v2, v2, 0xffffff82, vcc_lo
	v_add3_u32 v21, v0, v2, v17
	v_and_b32_e32 v0, 0xfffff, v20
	s_delay_alu instid0(VALU_DEP_1) | instskip(NEXT) | instid1(VALU_DEP_1)
	v_dual_add_nc_u32 v20, 6, v21 :: v_dual_add_nc_u32 v2, v0, v16
                                        ; implicit-def: $vgpr16_vgpr17
                                        ; implicit-def: $vgpr0
	v_cmpx_ne_u32_e32 0, v20
	s_xor_b32 s13, exec_lo, s13
; %bb.1678:                             ;   in Loop: Header=BB6_356 Depth=4
	s_delay_alu instid0(VALU_DEP_2) | instskip(SKIP_2) | instid1(VALU_DEP_2)
	v_cmp_lt_u64_e32 vcc_lo, 0xffffff, v[2:3]
	v_add_nc_u32_e32 v0, 7, v21
	v_cndmask_b32_e64 v16, 0, 1, vcc_lo
	v_cndmask_b32_e32 v0, v20, v0, vcc_lo
	s_delay_alu instid0(VALU_DEP_2)
	v_lshrrev_b64 v[16:17], v16, v[2:3]
; %bb.1679:                             ;   in Loop: Header=BB6_356 Depth=4
	s_and_not1_saveexec_b32 s13, s13
; %bb.1680:                             ;   in Loop: Header=BB6_356 Depth=4
	v_mov_b64_e32 v[16:17], v[2:3]
	v_bfe_u32 v0, v2, 23, 1
; %bb.1681:                             ;   in Loop: Header=BB6_356 Depth=4
	s_or_b32 exec_lo, exec_lo, s13
	s_delay_alu instid0(VALU_DEP_2) | instskip(NEXT) | instid1(VALU_DEP_2)
	v_lshrrev_b64 v[16:17], 20, v[16:17]
	v_cmp_gt_i32_e32 vcc_lo, 16, v0
	v_min_i32_e32 v2, 15, v0
	v_cmp_eq_u32_e64 s13, 0, v0
	s_delay_alu instid0(VALU_DEP_2) | instskip(SKIP_1) | instid1(VALU_DEP_2)
	v_dual_cndmask_b32 v17, 0, v17 :: v_dual_lshlrev_b32 v2, 3, v2
	v_cndmask_b32_e32 v16, 7, v16, vcc_lo
	v_and_b32_e32 v2, 0xf8, v2
	s_delay_alu instid0(VALU_DEP_2) | instskip(NEXT) | instid1(VALU_DEP_2)
	v_cmp_eq_u64_e32 vcc_lo, 0, v[16:17]
	v_and_or_b32 v0, v16, 7, v2
	s_and_b32 s13, s13, vcc_lo
	s_delay_alu instid0(VALU_DEP_1) | instid1(SALU_CYCLE_1)
	v_cndmask_b32_e64 v0, v0, 0, s13
	s_delay_alu instid0(VALU_DEP_1)
	v_or_b32_e32 v72, v0, v66
.LBB6_1682:                             ;   in Loop: Header=BB6_356 Depth=4
	s_or_b32 exec_lo, exec_lo, s75
                                        ; implicit-def: $vgpr66
.LBB6_1683:                             ;   in Loop: Header=BB6_356 Depth=4
	s_and_not1_saveexec_b32 s13, s74
; %bb.1684:                             ;   in Loop: Header=BB6_356 Depth=4
	v_or_b32_e32 v72, 0x7e, v66
; %bb.1685:                             ;   in Loop: Header=BB6_356 Depth=4
	s_or_b32 exec_lo, exec_lo, s13
                                        ; implicit-def: $vgpr16
.LBB6_1686:                             ;   in Loop: Header=BB6_356 Depth=4
	s_and_not1_saveexec_b32 s13, s73
; %bb.1687:                             ;   in Loop: Header=BB6_356 Depth=4
	v_or_b32_e32 v72, 0x7f, v16
; %bb.1688:                             ;   in Loop: Header=BB6_356 Depth=4
	s_or_b32 exec_lo, exec_lo, s13
	v_dual_mov_b32 v16, 0 :: v_dual_mov_b32 v17, 0
	s_mov_b32 s13, exec_lo
	v_cmpx_lt_u32_e32 0xffffff, v22
	s_cbranch_execz .LBB6_1696
; %bb.1689:                             ;   in Loop: Header=BB6_356 Depth=4
	v_lshrrev_b32_e32 v0, 24, v22
	v_bfrev_b32_e32 v17, 1
	s_mov_b32 s73, exec_lo
	s_delay_alu instid0(VALU_DEP_2)
	v_cmpx_ne_u32_e32 0x80, v0
	s_cbranch_execz .LBB6_1695
; %bb.1690:                             ;   in Loop: Header=BB6_356 Depth=4
	v_bfe_u32 v20, v22, 24, 7
	v_mov_b32_e32 v17, 0x7f800001
	s_mov_b32 s74, exec_lo
	s_delay_alu instid0(VALU_DEP_2)
	v_cmpx_ne_u32_e32 0x7f, v20
	s_cbranch_execz .LBB6_1694
; %bb.1691:                             ;   in Loop: Header=BB6_356 Depth=4
	v_and_b32_e32 v2, 7, v0
	v_lshrrev_b32_e32 v17, 3, v20
	s_mov_b32 s75, exec_lo
	v_cmpx_gt_u32_e32 8, v20
; %bb.1692:                             ;   in Loop: Header=BB6_356 Depth=4
	s_delay_alu instid0(VALU_DEP_3) | instskip(NEXT) | instid1(VALU_DEP_1)
	v_clz_i32_u32_e32 v17, v2
	v_min_u32_e32 v17, 32, v17
	s_delay_alu instid0(VALU_DEP_1) | instskip(NEXT) | instid1(VALU_DEP_1)
	v_subrev_nc_u32_e32 v20, 28, v17
	v_lshlrev_b64_e32 v[20:21], v20, v[2:3]
	s_delay_alu instid0(VALU_DEP_1)
	v_dual_sub_nc_u32 v17, 29, v17 :: v_dual_bitop2_b32 v2, 7, v20 bitop3:0x40
; %bb.1693:                             ;   in Loop: Header=BB6_356 Depth=4
	s_or_b32 exec_lo, exec_lo, s75
	s_delay_alu instid0(VALU_DEP_1) | instskip(NEXT) | instid1(VALU_DEP_2)
	v_dual_lshlrev_b32 v0, 24, v0 :: v_dual_lshlrev_b32 v2, 20, v2
	v_lshl_add_u32 v17, v17, 23, 0x3c000000
	s_delay_alu instid0(VALU_DEP_2) | instskip(NEXT) | instid1(VALU_DEP_1)
	v_and_b32_e32 v0, 0x80000000, v0
	v_or3_b32 v17, v2, v0, v17
.LBB6_1694:                             ;   in Loop: Header=BB6_356 Depth=4
	s_or_b32 exec_lo, exec_lo, s74
.LBB6_1695:                             ;   in Loop: Header=BB6_356 Depth=4
	s_delay_alu instid0(SALU_CYCLE_1)
	s_or_b32 exec_lo, exec_lo, s73
.LBB6_1696:                             ;   in Loop: Header=BB6_356 Depth=4
	s_delay_alu instid0(SALU_CYCLE_1) | instskip(NEXT) | instid1(SALU_CYCLE_1)
	s_or_b32 exec_lo, exec_lo, s13
	s_mov_b32 s13, exec_lo
	v_cmpx_lt_u32_e32 0xffffff, v18
	s_cbranch_execz .LBB6_1704
; %bb.1697:                             ;   in Loop: Header=BB6_356 Depth=4
	v_lshrrev_b32_e32 v0, 24, v18
	v_bfrev_b32_e32 v16, 1
	s_mov_b32 s73, exec_lo
	s_delay_alu instid0(VALU_DEP_2)
	v_cmpx_ne_u32_e32 0x80, v0
	s_cbranch_execz .LBB6_1703
; %bb.1698:                             ;   in Loop: Header=BB6_356 Depth=4
	v_bfe_u32 v20, v18, 24, 7
	v_mov_b32_e32 v16, 0x7f800001
	s_mov_b32 s74, exec_lo
	s_delay_alu instid0(VALU_DEP_2)
	v_cmpx_ne_u32_e32 0x7f, v20
	s_cbranch_execz .LBB6_1702
; %bb.1699:                             ;   in Loop: Header=BB6_356 Depth=4
	v_and_b32_e32 v2, 7, v0
	v_lshrrev_b32_e32 v16, 3, v20
	s_mov_b32 s75, exec_lo
	v_cmpx_gt_u32_e32 8, v20
; %bb.1700:                             ;   in Loop: Header=BB6_356 Depth=4
	s_delay_alu instid0(VALU_DEP_3) | instskip(NEXT) | instid1(VALU_DEP_1)
	v_clz_i32_u32_e32 v16, v2
	v_min_u32_e32 v16, 32, v16
	s_delay_alu instid0(VALU_DEP_1) | instskip(SKIP_1) | instid1(VALU_DEP_2)
	v_subrev_nc_u32_e32 v20, 28, v16
	v_sub_nc_u32_e32 v16, 29, v16
	v_lshlrev_b64_e32 v[20:21], v20, v[2:3]
	s_delay_alu instid0(VALU_DEP_1)
	v_and_b32_e32 v2, 7, v20
; %bb.1701:                             ;   in Loop: Header=BB6_356 Depth=4
	s_or_b32 exec_lo, exec_lo, s75
	s_delay_alu instid0(VALU_DEP_1) | instskip(SKIP_1) | instid1(VALU_DEP_2)
	v_dual_lshlrev_b32 v0, 24, v0 :: v_dual_lshlrev_b32 v2, 20, v2
	v_lshl_add_u32 v16, v16, 23, 0x3c000000
	v_and_b32_e32 v0, 0x80000000, v0
	s_delay_alu instid0(VALU_DEP_1)
	v_or3_b32 v16, v2, v0, v16
.LBB6_1702:                             ;   in Loop: Header=BB6_356 Depth=4
	s_or_b32 exec_lo, exec_lo, s74
.LBB6_1703:                             ;   in Loop: Header=BB6_356 Depth=4
	s_delay_alu instid0(SALU_CYCLE_1)
	s_or_b32 exec_lo, exec_lo, s73
.LBB6_1704:                             ;   in Loop: Header=BB6_356 Depth=4
	s_delay_alu instid0(SALU_CYCLE_1) | instskip(NEXT) | instid1(VALU_DEP_1)
	s_or_b32 exec_lo, exec_lo, s13
	v_add_f32_e32 v0, v17, v16
                                        ; implicit-def: $vgpr73
	s_mov_b32 s13, exec_lo
	s_delay_alu instid0(VALU_DEP_1) | instskip(SKIP_1) | instid1(VALU_DEP_2)
	v_and_b32_e32 v2, 0x7f800000, v0
	v_lshrrev_b32_e32 v16, 24, v0
	v_cmpx_ne_u64_e32 0x7f800000, v[2:3]
	s_xor_b32 s73, exec_lo, s13
	s_cbranch_execz .LBB6_1718
; %bb.1705:                             ;   in Loop: Header=BB6_356 Depth=4
	v_and_b32_e32 v2, 0x7fffffff, v0
	v_and_b32_e32 v66, 0x80, v16
                                        ; implicit-def: $vgpr73
	s_mov_b32 s13, exec_lo
	s_delay_alu instid0(VALU_DEP_2)
	v_cmpx_gt_u64_e32 0x43e00001, v[2:3]
	s_xor_b32 s74, exec_lo, s13
	s_cbranch_execz .LBB6_1715
; %bb.1706:                             ;   in Loop: Header=BB6_356 Depth=4
	v_mov_b32_e32 v73, 0
	s_mov_b32 s75, exec_lo
	v_cmpx_ne_u32_e32 0, v0
	s_cbranch_execz .LBB6_1714
; %bb.1707:                             ;   in Loop: Header=BB6_356 Depth=4
	v_bfe_u32 v67, v0, 23, 8
	v_and_b32_e32 v2, 0x7fffff, v0
	s_delay_alu instid0(VALU_DEP_2) | instskip(SKIP_2) | instid1(VALU_DEP_4)
	v_cmp_gt_u32_e64 s13, 0x7a, v67
	v_sub_nc_u32_e32 v0, 0x79, v67
	v_cmp_eq_u32_e32 vcc_lo, 0, v67
	v_or_b32_e32 v16, 0x800000, v2
	s_delay_alu instid0(VALU_DEP_1) | instskip(NEXT) | instid1(VALU_DEP_1)
	v_dual_cndmask_b32 v0, 0, v0, s13 :: v_dual_cndmask_b32 v2, v16, v2, vcc_lo
	v_cndmask_b32_e64 v0, v0, 0x78, vcc_lo
	s_delay_alu instid0(VALU_DEP_1) | instskip(NEXT) | instid1(VALU_DEP_1)
	v_dual_add_nc_u32 v16, 20, v0 :: v_dual_add_nc_u32 v20, 19, v0
	v_lshlrev_b64_e64 v[16:17], v16, -1
	s_delay_alu instid0(VALU_DEP_2) | instskip(NEXT) | instid1(VALU_DEP_2)
	v_lshlrev_b64_e64 v[20:21], v20, 1
	v_bfi_b32 v17, v17, 0, 0
	s_delay_alu instid0(VALU_DEP_3) | instskip(NEXT) | instid1(VALU_DEP_1)
	v_bfi_b32 v16, v16, 0, v2
	v_cmp_eq_u64_e64 s13, v[16:17], v[20:21]
	v_lshrrev_b64 v[16:17], v0, v[2:3]
	s_delay_alu instid0(VALU_DEP_1)
	v_mov_b64_e32 v[20:21], v[16:17]
	s_and_saveexec_b32 s76, s13
; %bb.1708:                             ;   in Loop: Header=BB6_356 Depth=4
	v_bfe_u32 v2, v16, 20, 1
	s_delay_alu instid0(VALU_DEP_1) | instskip(NEXT) | instid1(VALU_DEP_1)
	v_add_nc_u64_e32 v[20:21], v[16:17], v[2:3]
	v_add_nc_u64_e32 v[20:21], -1, v[20:21]
; %bb.1709:                             ;   in Loop: Header=BB6_356 Depth=4
	s_or_b32 exec_lo, exec_lo, s76
	v_add_nc_u32_e32 v2, 0xffffff81, v67
	v_lshrrev_b32_e32 v17, 23, v16
	s_mov_b32 s13, exec_lo
	s_delay_alu instid0(VALU_DEP_2) | instskip(NEXT) | instid1(VALU_DEP_1)
	v_cndmask_b32_e64 v2, v2, 0xffffff82, vcc_lo
	v_add3_u32 v21, v0, v2, v17
	v_and_b32_e32 v0, 0xfffff, v20
	s_delay_alu instid0(VALU_DEP_1) | instskip(NEXT) | instid1(VALU_DEP_1)
	v_dual_add_nc_u32 v20, 6, v21 :: v_dual_add_nc_u32 v2, v0, v16
                                        ; implicit-def: $vgpr16_vgpr17
                                        ; implicit-def: $vgpr0
	v_cmpx_ne_u32_e32 0, v20
	s_xor_b32 s13, exec_lo, s13
; %bb.1710:                             ;   in Loop: Header=BB6_356 Depth=4
	s_delay_alu instid0(VALU_DEP_2) | instskip(SKIP_2) | instid1(VALU_DEP_2)
	v_cmp_lt_u64_e32 vcc_lo, 0xffffff, v[2:3]
	v_add_nc_u32_e32 v0, 7, v21
	v_cndmask_b32_e64 v16, 0, 1, vcc_lo
	v_cndmask_b32_e32 v0, v20, v0, vcc_lo
	s_delay_alu instid0(VALU_DEP_2)
	v_lshrrev_b64 v[16:17], v16, v[2:3]
; %bb.1711:                             ;   in Loop: Header=BB6_356 Depth=4
	s_and_not1_saveexec_b32 s13, s13
; %bb.1712:                             ;   in Loop: Header=BB6_356 Depth=4
	v_mov_b64_e32 v[16:17], v[2:3]
	v_bfe_u32 v0, v2, 23, 1
; %bb.1713:                             ;   in Loop: Header=BB6_356 Depth=4
	s_or_b32 exec_lo, exec_lo, s13
	s_delay_alu instid0(VALU_DEP_2) | instskip(NEXT) | instid1(VALU_DEP_2)
	v_lshrrev_b64 v[16:17], 20, v[16:17]
	v_cmp_gt_i32_e32 vcc_lo, 16, v0
	v_min_i32_e32 v2, 15, v0
	v_cmp_eq_u32_e64 s13, 0, v0
	s_delay_alu instid0(VALU_DEP_2) | instskip(SKIP_1) | instid1(VALU_DEP_2)
	v_dual_cndmask_b32 v17, 0, v17 :: v_dual_lshlrev_b32 v2, 3, v2
	v_cndmask_b32_e32 v16, 7, v16, vcc_lo
	v_and_b32_e32 v2, 0xf8, v2
	s_delay_alu instid0(VALU_DEP_2) | instskip(NEXT) | instid1(VALU_DEP_2)
	v_cmp_eq_u64_e32 vcc_lo, 0, v[16:17]
	v_and_or_b32 v0, v16, 7, v2
	s_and_b32 s13, s13, vcc_lo
	s_delay_alu instid0(VALU_DEP_1) | instid1(SALU_CYCLE_1)
	v_cndmask_b32_e64 v0, v0, 0, s13
	s_delay_alu instid0(VALU_DEP_1)
	v_or_b32_e32 v73, v0, v66
.LBB6_1714:                             ;   in Loop: Header=BB6_356 Depth=4
	s_or_b32 exec_lo, exec_lo, s75
                                        ; implicit-def: $vgpr66
.LBB6_1715:                             ;   in Loop: Header=BB6_356 Depth=4
	s_and_not1_saveexec_b32 s13, s74
; %bb.1716:                             ;   in Loop: Header=BB6_356 Depth=4
	v_or_b32_e32 v73, 0x7e, v66
; %bb.1717:                             ;   in Loop: Header=BB6_356 Depth=4
	s_or_b32 exec_lo, exec_lo, s13
                                        ; implicit-def: $vgpr16
.LBB6_1718:                             ;   in Loop: Header=BB6_356 Depth=4
	s_and_not1_saveexec_b32 s13, s73
; %bb.1719:                             ;   in Loop: Header=BB6_356 Depth=4
	v_or_b32_e32 v73, 0x7f, v16
; %bb.1720:                             ;   in Loop: Header=BB6_356 Depth=4
	s_or_b32 exec_lo, exec_lo, s13
	v_and_b32_e32 v0, 0xff, v23
	v_dual_mov_b32 v2, v23 :: v_dual_mov_b32 v16, 0
	v_mov_b32_e32 v17, 0
	s_mov_b32 s13, exec_lo
	s_delay_alu instid0(VALU_DEP_3)
	v_cmpx_ne_u16_e32 0, v0
	s_cbranch_execz .LBB6_1726
; %bb.1721:                             ;   in Loop: Header=BB6_356 Depth=4
	v_bfrev_b32_e32 v17, 1
	s_mov_b32 s73, exec_lo
	v_cmpx_ne_u16_e32 0x80, v0
	s_cbranch_execz .LBB6_1725
; %bb.1722:                             ;   in Loop: Header=BB6_356 Depth=4
	v_and_b32_e32 v0, 0x7f, v23
	v_mov_b32_e32 v17, 0x7f800001
	s_mov_b32 s74, exec_lo
	s_delay_alu instid0(VALU_DEP_2)
	v_cmpx_ne_u32_e32 0x7f, v0
	s_cbranch_execz .LBB6_1724
; %bb.1723:                             ;   in Loop: Header=BB6_356 Depth=4
	v_dual_lshrrev_b32 v20, 3, v0 :: v_dual_bitop2_b32 v17, 7, v23 bitop3:0x40
	v_cmp_gt_u32_e32 vcc_lo, 8, v0
	s_delay_alu instid0(VALU_DEP_2) | instskip(NEXT) | instid1(VALU_DEP_1)
	v_clz_i32_u32_e32 v0, v17
	v_min_u32_e32 v0, 32, v0
	s_delay_alu instid0(VALU_DEP_1) | instskip(NEXT) | instid1(VALU_DEP_1)
	v_subrev_nc_u32_e32 v17, 28, v0
	v_dual_cndmask_b32 v17, 0, v17 :: v_dual_sub_nc_u32 v0, 29, v0
	s_delay_alu instid0(VALU_DEP_1) | instskip(NEXT) | instid1(VALU_DEP_2)
	v_cndmask_b32_e32 v0, v20, v0, vcc_lo
	v_lshlrev_b64_e32 v[20:21], v17, v[2:3]
	s_delay_alu instid0(VALU_DEP_1) | instskip(NEXT) | instid1(VALU_DEP_3)
	v_dual_lshlrev_b32 v17, 20, v20 :: v_dual_lshlrev_b32 v20, 24, v2
	v_lshl_add_u32 v0, v0, 23, 0x3c000000
	s_delay_alu instid0(VALU_DEP_2) | instskip(NEXT) | instid1(VALU_DEP_3)
	v_and_b32_e32 v17, 0x700000, v17
	v_and_b32_e32 v20, 0x80000000, v20
	s_delay_alu instid0(VALU_DEP_1)
	v_or3_b32 v17, v17, v20, v0
.LBB6_1724:                             ;   in Loop: Header=BB6_356 Depth=4
	s_or_b32 exec_lo, exec_lo, s74
.LBB6_1725:                             ;   in Loop: Header=BB6_356 Depth=4
	s_delay_alu instid0(SALU_CYCLE_1)
	s_or_b32 exec_lo, exec_lo, s73
.LBB6_1726:                             ;   in Loop: Header=BB6_356 Depth=4
	s_delay_alu instid0(SALU_CYCLE_1) | instskip(SKIP_2) | instid1(VALU_DEP_1)
	s_or_b32 exec_lo, exec_lo, s13
	v_and_b32_e32 v0, 0xff, v19
	s_mov_b32 s13, exec_lo
	v_cmpx_ne_u16_e32 0, v0
	s_cbranch_execz .LBB6_1732
; %bb.1727:                             ;   in Loop: Header=BB6_356 Depth=4
	v_bfrev_b32_e32 v16, 1
	s_mov_b32 s73, exec_lo
	v_cmpx_ne_u16_e32 0x80, v0
	s_cbranch_execz .LBB6_1731
; %bb.1728:                             ;   in Loop: Header=BB6_356 Depth=4
	v_and_b32_e32 v0, 0x7f, v19
	v_mov_b32_e32 v16, 0x7f800001
	s_mov_b32 s74, exec_lo
	s_delay_alu instid0(VALU_DEP_2)
	v_cmpx_ne_u32_e32 0x7f, v0
	s_cbranch_execz .LBB6_1730
; %bb.1729:                             ;   in Loop: Header=BB6_356 Depth=4
	v_dual_lshrrev_b32 v52, 3, v0 :: v_dual_bitop2_b32 v16, 7, v19 bitop3:0x40
	v_cmp_gt_u32_e32 vcc_lo, 8, v0
	v_mov_b32_e32 v20, v19
	s_delay_alu instid0(VALU_DEP_3) | instskip(NEXT) | instid1(VALU_DEP_1)
	v_clz_i32_u32_e32 v16, v16
	v_min_u32_e32 v16, 32, v16
	s_delay_alu instid0(VALU_DEP_1) | instskip(SKIP_1) | instid1(VALU_DEP_1)
	v_subrev_nc_u32_e32 v0, 28, v16
	v_dual_mov_b32 v21, v3 :: v_dual_sub_nc_u32 v66, 29, v16
	v_dual_cndmask_b32 v0, 0, v0, vcc_lo :: v_dual_cndmask_b32 v16, v52, v66, vcc_lo
	s_delay_alu instid0(VALU_DEP_1) | instskip(SKIP_1) | instid1(VALU_DEP_3)
	v_lshlrev_b64_e32 v[66:67], v0, v[20:21]
	v_lshlrev_b32_e32 v0, 24, v20
	v_lshl_add_u32 v16, v16, 23, 0x3c000000
	s_delay_alu instid0(VALU_DEP_2) | instskip(NEXT) | instid1(VALU_DEP_4)
	v_and_b32_e32 v0, 0x80000000, v0
	v_lshlrev_b32_e32 v20, 20, v66
	s_delay_alu instid0(VALU_DEP_1) | instskip(NEXT) | instid1(VALU_DEP_1)
	v_and_b32_e32 v20, 0x700000, v20
	v_or3_b32 v16, v20, v0, v16
.LBB6_1730:                             ;   in Loop: Header=BB6_356 Depth=4
	s_or_b32 exec_lo, exec_lo, s74
.LBB6_1731:                             ;   in Loop: Header=BB6_356 Depth=4
	s_delay_alu instid0(SALU_CYCLE_1)
	s_or_b32 exec_lo, exec_lo, s73
.LBB6_1732:                             ;   in Loop: Header=BB6_356 Depth=4
	s_delay_alu instid0(SALU_CYCLE_1) | instskip(NEXT) | instid1(VALU_DEP_1)
	s_or_b32 exec_lo, exec_lo, s13
	v_dual_add_f32 v0, v17, v16 :: v_dual_mov_b32 v17, v3
                                        ; implicit-def: $vgpr56
	s_delay_alu instid0(VALU_DEP_1) | instskip(NEXT) | instid1(VALU_DEP_1)
	v_and_b32_e32 v16, 0x7f800000, v0
	v_cmp_ne_u64_e32 vcc_lo, 0x7f800000, v[16:17]
	v_lshrrev_b32_e32 v16, 24, v0
	s_and_saveexec_b32 s13, vcc_lo
	s_delay_alu instid0(SALU_CYCLE_1)
	s_xor_b32 s73, exec_lo, s13
	s_cbranch_execz .LBB6_1746
; %bb.1733:                             ;   in Loop: Header=BB6_356 Depth=4
	v_and_b32_e32 v20, 0x7fffffff, v0
	v_mov_b32_e32 v21, v3
	v_and_b32_e32 v66, 0x80, v16
                                        ; implicit-def: $vgpr56
	s_mov_b32 s13, exec_lo
	s_delay_alu instid0(VALU_DEP_2)
	v_cmpx_gt_u64_e32 0x43e00001, v[20:21]
	s_xor_b32 s74, exec_lo, s13
	s_cbranch_execz .LBB6_1743
; %bb.1734:                             ;   in Loop: Header=BB6_356 Depth=4
	v_mov_b32_e32 v56, 0
	s_mov_b32 s75, exec_lo
	v_cmpx_ne_u32_e32 0, v0
	s_cbranch_execz .LBB6_1742
; %bb.1735:                             ;   in Loop: Header=BB6_356 Depth=4
	v_and_b32_e32 v16, 0x7fffff, v0
	v_bfe_u32 v67, v0, 23, 8
	s_delay_alu instid0(VALU_DEP_2) | instskip(NEXT) | instid1(VALU_DEP_2)
	v_or_b32_e32 v17, 0x800000, v16
	v_cmp_eq_u32_e32 vcc_lo, 0, v67
	v_cmp_gt_u32_e64 s13, 0x7a, v67
	v_sub_nc_u32_e32 v0, 0x79, v67
	s_delay_alu instid0(VALU_DEP_4) | instskip(NEXT) | instid1(VALU_DEP_2)
	v_dual_cndmask_b32 v16, v17, v16 :: v_dual_mov_b32 v17, v3
	v_cndmask_b32_e64 v0, 0, v0, s13
	s_delay_alu instid0(VALU_DEP_1) | instskip(NEXT) | instid1(VALU_DEP_1)
	v_cndmask_b32_e64 v0, v0, 0x78, vcc_lo
	v_dual_add_nc_u32 v20, 20, v0 :: v_dual_add_nc_u32 v52, 19, v0
	s_delay_alu instid0(VALU_DEP_1) | instskip(NEXT) | instid1(VALU_DEP_2)
	v_lshlrev_b64_e64 v[20:21], v20, -1
	v_lshlrev_b64_e64 v[42:43], v52, 1
	s_delay_alu instid0(VALU_DEP_2) | instskip(SKIP_1) | instid1(VALU_DEP_4)
	v_bfi_b32 v20, v20, 0, v16
	v_lshrrev_b64 v[16:17], v0, v[16:17]
	v_bfi_b32 v21, v21, 0, 0
	s_delay_alu instid0(VALU_DEP_1) | instskip(NEXT) | instid1(VALU_DEP_3)
	v_cmp_eq_u64_e64 s13, v[20:21], v[42:43]
	v_mov_b64_e32 v[20:21], v[16:17]
	s_and_saveexec_b32 s76, s13
; %bb.1736:                             ;   in Loop: Header=BB6_356 Depth=4
	v_bfe_u32 v20, v16, 20, 1
	v_mov_b32_e32 v21, v3
	s_delay_alu instid0(VALU_DEP_1) | instskip(NEXT) | instid1(VALU_DEP_1)
	v_add_nc_u64_e32 v[20:21], v[16:17], v[20:21]
	v_add_nc_u64_e32 v[20:21], -1, v[20:21]
; %bb.1737:                             ;   in Loop: Header=BB6_356 Depth=4
	s_or_b32 exec_lo, exec_lo, s76
	v_add_nc_u32_e32 v17, 0xffffff81, v67
	v_lshrrev_b32_e32 v21, 23, v16
	s_mov_b32 s13, exec_lo
	s_delay_alu instid0(VALU_DEP_2) | instskip(NEXT) | instid1(VALU_DEP_1)
	v_cndmask_b32_e64 v17, v17, 0xffffff82, vcc_lo
	v_add3_u32 v21, v0, v17, v21
	v_and_b32_e32 v0, 0xfffff, v20
	s_delay_alu instid0(VALU_DEP_2) | instskip(NEXT) | instid1(VALU_DEP_2)
	v_dual_mov_b32 v17, v3 :: v_dual_add_nc_u32 v20, 6, v21
	v_add_nc_u32_e32 v16, v0, v16
                                        ; implicit-def: $vgpr0
	s_delay_alu instid0(VALU_DEP_2)
	v_cmpx_ne_u32_e32 0, v20
	s_xor_b32 s13, exec_lo, s13
; %bb.1738:                             ;   in Loop: Header=BB6_356 Depth=4
	s_delay_alu instid0(VALU_DEP_2) | instskip(SKIP_1) | instid1(VALU_DEP_1)
	v_cmp_lt_u64_e32 vcc_lo, 0xffffff, v[16:17]
	v_add_nc_u32_e32 v0, 7, v21
	v_cndmask_b32_e32 v0, v20, v0, vcc_lo
	v_cndmask_b32_e64 v20, 0, 1, vcc_lo
	s_delay_alu instid0(VALU_DEP_1)
	v_lshrrev_b64 v[16:17], v20, v[16:17]
; %bb.1739:                             ;   in Loop: Header=BB6_356 Depth=4
	s_and_not1_saveexec_b32 s13, s13
; %bb.1740:                             ;   in Loop: Header=BB6_356 Depth=4
	s_delay_alu instid0(VALU_DEP_1)
	v_bfe_u32 v0, v16, 23, 1
; %bb.1741:                             ;   in Loop: Header=BB6_356 Depth=4
	s_or_b32 exec_lo, exec_lo, s13
	s_delay_alu instid0(VALU_DEP_2) | instskip(NEXT) | instid1(VALU_DEP_2)
	v_lshrrev_b64 v[16:17], 20, v[16:17]
	v_cmp_gt_i32_e32 vcc_lo, 16, v0
	v_min_i32_e32 v20, 15, v0
	v_cmp_eq_u32_e64 s13, 0, v0
	s_delay_alu instid0(VALU_DEP_2) | instskip(SKIP_1) | instid1(VALU_DEP_2)
	v_dual_cndmask_b32 v17, 0, v17 :: v_dual_lshlrev_b32 v20, 3, v20
	v_cndmask_b32_e32 v16, 7, v16, vcc_lo
	v_and_b32_e32 v20, 0xf8, v20
	s_delay_alu instid0(VALU_DEP_2) | instskip(NEXT) | instid1(VALU_DEP_2)
	v_cmp_eq_u64_e32 vcc_lo, 0, v[16:17]
	v_and_or_b32 v0, v16, 7, v20
	s_and_b32 s13, s13, vcc_lo
	s_delay_alu instid0(VALU_DEP_1) | instid1(SALU_CYCLE_1)
	v_cndmask_b32_e64 v0, v0, 0, s13
	s_delay_alu instid0(VALU_DEP_1)
	v_or_b32_e32 v56, v0, v66
.LBB6_1742:                             ;   in Loop: Header=BB6_356 Depth=4
	s_or_b32 exec_lo, exec_lo, s75
                                        ; implicit-def: $vgpr66
.LBB6_1743:                             ;   in Loop: Header=BB6_356 Depth=4
	s_and_not1_saveexec_b32 s13, s74
; %bb.1744:                             ;   in Loop: Header=BB6_356 Depth=4
	v_or_b32_e32 v56, 0x7e, v66
; %bb.1745:                             ;   in Loop: Header=BB6_356 Depth=4
	s_or_b32 exec_lo, exec_lo, s13
                                        ; implicit-def: $vgpr16
.LBB6_1746:                             ;   in Loop: Header=BB6_356 Depth=4
	s_and_not1_saveexec_b32 s13, s73
; %bb.1747:                             ;   in Loop: Header=BB6_356 Depth=4
	v_or_b32_e32 v56, 0x7f, v16
; %bb.1748:                             ;   in Loop: Header=BB6_356 Depth=4
	s_or_b32 exec_lo, exec_lo, s13
	v_lshrrev_b16 v0, 8, v2
	v_dual_mov_b32 v20, 0 :: v_dual_mov_b32 v16, 0
	s_mov_b32 s13, exec_lo
	s_delay_alu instid0(VALU_DEP_2)
	v_cmpx_ne_u16_e32 0, v0
	s_cbranch_execz .LBB6_1756
; %bb.1749:                             ;   in Loop: Header=BB6_356 Depth=4
	v_bfrev_b32_e32 v16, 1
	s_mov_b32 s73, exec_lo
	v_cmpx_ne_u16_e32 0x80, v0
	s_cbranch_execz .LBB6_1755
; %bb.1750:                             ;   in Loop: Header=BB6_356 Depth=4
	v_and_b32_e32 v0, 0xffff, v0
	v_mov_b32_e32 v16, 0x7f800001
	s_mov_b32 s74, exec_lo
	s_delay_alu instid0(VALU_DEP_2) | instskip(NEXT) | instid1(VALU_DEP_1)
	v_and_b32_e32 v21, 0x7f, v0
	v_cmpx_ne_u32_e32 0x7f, v21
	s_cbranch_execz .LBB6_1754
; %bb.1751:                             ;   in Loop: Header=BB6_356 Depth=4
	v_dual_mov_b32 v17, v3 :: v_dual_bitop2_b32 v16, 7, v0 bitop3:0x40
	v_lshrrev_b32_e32 v0, 3, v21
	s_mov_b32 s75, exec_lo
	v_cmpx_gt_u32_e32 8, v21
; %bb.1752:                             ;   in Loop: Header=BB6_356 Depth=4
	s_delay_alu instid0(VALU_DEP_3) | instskip(NEXT) | instid1(VALU_DEP_1)
	v_clz_i32_u32_e32 v0, v16
	v_min_u32_e32 v0, 32, v0
	s_delay_alu instid0(VALU_DEP_1) | instskip(SKIP_1) | instid1(VALU_DEP_2)
	v_subrev_nc_u32_e32 v21, 28, v0
	v_sub_nc_u32_e32 v0, 29, v0
	v_lshlrev_b64_e32 v[16:17], v21, v[16:17]
	s_delay_alu instid0(VALU_DEP_1)
	v_and_b32_e32 v16, 7, v16
; %bb.1753:                             ;   in Loop: Header=BB6_356 Depth=4
	s_or_b32 exec_lo, exec_lo, s75
	s_delay_alu instid0(VALU_DEP_1) | instskip(SKIP_1) | instid1(VALU_DEP_2)
	v_dual_lshlrev_b32 v2, 16, v2 :: v_dual_lshlrev_b32 v16, 20, v16
	v_lshl_add_u32 v0, v0, 23, 0x3c000000
	v_and_b32_e32 v2, 0x80000000, v2
	s_delay_alu instid0(VALU_DEP_1)
	v_or3_b32 v16, v16, v2, v0
.LBB6_1754:                             ;   in Loop: Header=BB6_356 Depth=4
	s_or_b32 exec_lo, exec_lo, s74
.LBB6_1755:                             ;   in Loop: Header=BB6_356 Depth=4
	s_delay_alu instid0(SALU_CYCLE_1)
	s_or_b32 exec_lo, exec_lo, s73
.LBB6_1756:                             ;   in Loop: Header=BB6_356 Depth=4
	s_delay_alu instid0(SALU_CYCLE_1) | instskip(SKIP_2) | instid1(VALU_DEP_1)
	s_or_b32 exec_lo, exec_lo, s13
	v_lshrrev_b16 v0, 8, v19
	s_mov_b32 s13, exec_lo
	v_cmpx_ne_u16_e32 0, v0
	s_cbranch_execz .LBB6_1764
; %bb.1757:                             ;   in Loop: Header=BB6_356 Depth=4
	v_bfrev_b32_e32 v20, 1
	s_mov_b32 s73, exec_lo
	v_cmpx_ne_u16_e32 0x80, v0
	s_cbranch_execz .LBB6_1763
; %bb.1758:                             ;   in Loop: Header=BB6_356 Depth=4
	v_and_b32_e32 v0, 0xffff, v0
	v_mov_b32_e32 v20, 0x7f800001
	s_mov_b32 s74, exec_lo
	s_delay_alu instid0(VALU_DEP_2) | instskip(NEXT) | instid1(VALU_DEP_1)
	v_and_b32_e32 v17, 0x7f, v0
	v_cmpx_ne_u32_e32 0x7f, v17
	s_cbranch_execz .LBB6_1762
; %bb.1759:                             ;   in Loop: Header=BB6_356 Depth=4
	v_dual_lshrrev_b32 v0, 3, v17 :: v_dual_bitop2_b32 v2, 7, v0 bitop3:0x40
	s_mov_b32 s75, exec_lo
	v_cmpx_gt_u32_e32 8, v17
; %bb.1760:                             ;   in Loop: Header=BB6_356 Depth=4
	s_delay_alu instid0(VALU_DEP_2) | instskip(NEXT) | instid1(VALU_DEP_1)
	v_clz_i32_u32_e32 v0, v2
	v_min_u32_e32 v0, 32, v0
	s_delay_alu instid0(VALU_DEP_1) | instskip(SKIP_1) | instid1(VALU_DEP_2)
	v_subrev_nc_u32_e32 v17, 28, v0
	v_sub_nc_u32_e32 v0, 29, v0
	v_lshlrev_b64_e32 v[20:21], v17, v[2:3]
	s_delay_alu instid0(VALU_DEP_1)
	v_and_b32_e32 v2, 7, v20
; %bb.1761:                             ;   in Loop: Header=BB6_356 Depth=4
	s_or_b32 exec_lo, exec_lo, s75
	s_delay_alu instid0(VALU_DEP_1) | instskip(SKIP_1) | instid1(VALU_DEP_2)
	v_dual_lshlrev_b32 v17, 16, v19 :: v_dual_lshlrev_b32 v2, 20, v2
	v_lshl_add_u32 v0, v0, 23, 0x3c000000
	v_and_b32_e32 v17, 0x80000000, v17
	s_delay_alu instid0(VALU_DEP_1)
	v_or3_b32 v20, v2, v17, v0
.LBB6_1762:                             ;   in Loop: Header=BB6_356 Depth=4
	s_or_b32 exec_lo, exec_lo, s74
.LBB6_1763:                             ;   in Loop: Header=BB6_356 Depth=4
	s_delay_alu instid0(SALU_CYCLE_1)
	s_or_b32 exec_lo, exec_lo, s73
.LBB6_1764:                             ;   in Loop: Header=BB6_356 Depth=4
	s_delay_alu instid0(SALU_CYCLE_1) | instskip(NEXT) | instid1(VALU_DEP_1)
	s_or_b32 exec_lo, exec_lo, s13
	v_add_f32_e32 v0, v16, v20
                                        ; implicit-def: $vgpr57
	s_mov_b32 s13, exec_lo
	s_delay_alu instid0(VALU_DEP_1) | instskip(SKIP_1) | instid1(VALU_DEP_2)
	v_and_b32_e32 v2, 0x7f800000, v0
	v_lshrrev_b32_e32 v16, 24, v0
	v_cmpx_ne_u64_e32 0x7f800000, v[2:3]
	s_xor_b32 s73, exec_lo, s13
	s_cbranch_execz .LBB6_1778
; %bb.1765:                             ;   in Loop: Header=BB6_356 Depth=4
	v_and_b32_e32 v2, 0x7fffffff, v0
	v_and_b32_e32 v66, 0x80, v16
                                        ; implicit-def: $vgpr57
	s_mov_b32 s13, exec_lo
	s_delay_alu instid0(VALU_DEP_2)
	v_cmpx_gt_u64_e32 0x43e00001, v[2:3]
	s_xor_b32 s74, exec_lo, s13
	s_cbranch_execz .LBB6_1775
; %bb.1766:                             ;   in Loop: Header=BB6_356 Depth=4
	v_mov_b32_e32 v57, 0
	s_mov_b32 s75, exec_lo
	v_cmpx_ne_u32_e32 0, v0
	s_cbranch_execz .LBB6_1774
; %bb.1767:                             ;   in Loop: Header=BB6_356 Depth=4
	v_bfe_u32 v67, v0, 23, 8
	v_and_b32_e32 v2, 0x7fffff, v0
	s_delay_alu instid0(VALU_DEP_2) | instskip(SKIP_2) | instid1(VALU_DEP_4)
	v_cmp_gt_u32_e64 s13, 0x7a, v67
	v_sub_nc_u32_e32 v0, 0x79, v67
	v_cmp_eq_u32_e32 vcc_lo, 0, v67
	v_or_b32_e32 v16, 0x800000, v2
	s_delay_alu instid0(VALU_DEP_1) | instskip(NEXT) | instid1(VALU_DEP_1)
	v_dual_cndmask_b32 v0, 0, v0, s13 :: v_dual_cndmask_b32 v2, v16, v2, vcc_lo
	v_cndmask_b32_e64 v0, v0, 0x78, vcc_lo
	s_delay_alu instid0(VALU_DEP_1) | instskip(NEXT) | instid1(VALU_DEP_1)
	v_dual_add_nc_u32 v16, 20, v0 :: v_dual_add_nc_u32 v20, 19, v0
	v_lshlrev_b64_e64 v[16:17], v16, -1
	s_delay_alu instid0(VALU_DEP_2) | instskip(NEXT) | instid1(VALU_DEP_2)
	v_lshlrev_b64_e64 v[20:21], v20, 1
	v_bfi_b32 v17, v17, 0, 0
	s_delay_alu instid0(VALU_DEP_3) | instskip(NEXT) | instid1(VALU_DEP_1)
	v_bfi_b32 v16, v16, 0, v2
	v_cmp_eq_u64_e64 s13, v[16:17], v[20:21]
	v_lshrrev_b64 v[16:17], v0, v[2:3]
	s_delay_alu instid0(VALU_DEP_1)
	v_mov_b64_e32 v[20:21], v[16:17]
	s_and_saveexec_b32 s76, s13
; %bb.1768:                             ;   in Loop: Header=BB6_356 Depth=4
	v_bfe_u32 v2, v16, 20, 1
	s_delay_alu instid0(VALU_DEP_1) | instskip(NEXT) | instid1(VALU_DEP_1)
	v_add_nc_u64_e32 v[20:21], v[16:17], v[2:3]
	v_add_nc_u64_e32 v[20:21], -1, v[20:21]
; %bb.1769:                             ;   in Loop: Header=BB6_356 Depth=4
	s_or_b32 exec_lo, exec_lo, s76
	v_add_nc_u32_e32 v2, 0xffffff81, v67
	v_lshrrev_b32_e32 v17, 23, v16
	s_mov_b32 s13, exec_lo
	s_delay_alu instid0(VALU_DEP_2) | instskip(NEXT) | instid1(VALU_DEP_1)
	v_cndmask_b32_e64 v2, v2, 0xffffff82, vcc_lo
	v_add3_u32 v21, v0, v2, v17
	v_and_b32_e32 v0, 0xfffff, v20
	s_delay_alu instid0(VALU_DEP_1) | instskip(NEXT) | instid1(VALU_DEP_1)
	v_dual_add_nc_u32 v20, 6, v21 :: v_dual_add_nc_u32 v2, v0, v16
                                        ; implicit-def: $vgpr16_vgpr17
                                        ; implicit-def: $vgpr0
	v_cmpx_ne_u32_e32 0, v20
	s_xor_b32 s13, exec_lo, s13
; %bb.1770:                             ;   in Loop: Header=BB6_356 Depth=4
	s_delay_alu instid0(VALU_DEP_2) | instskip(SKIP_2) | instid1(VALU_DEP_2)
	v_cmp_lt_u64_e32 vcc_lo, 0xffffff, v[2:3]
	v_add_nc_u32_e32 v0, 7, v21
	v_cndmask_b32_e64 v16, 0, 1, vcc_lo
	v_cndmask_b32_e32 v0, v20, v0, vcc_lo
	s_delay_alu instid0(VALU_DEP_2)
	v_lshrrev_b64 v[16:17], v16, v[2:3]
; %bb.1771:                             ;   in Loop: Header=BB6_356 Depth=4
	s_and_not1_saveexec_b32 s13, s13
; %bb.1772:                             ;   in Loop: Header=BB6_356 Depth=4
	v_mov_b64_e32 v[16:17], v[2:3]
	v_bfe_u32 v0, v2, 23, 1
; %bb.1773:                             ;   in Loop: Header=BB6_356 Depth=4
	s_or_b32 exec_lo, exec_lo, s13
	s_delay_alu instid0(VALU_DEP_2) | instskip(NEXT) | instid1(VALU_DEP_2)
	v_lshrrev_b64 v[16:17], 20, v[16:17]
	v_cmp_gt_i32_e32 vcc_lo, 16, v0
	v_min_i32_e32 v2, 15, v0
	v_cmp_eq_u32_e64 s13, 0, v0
	s_delay_alu instid0(VALU_DEP_2) | instskip(SKIP_1) | instid1(VALU_DEP_2)
	v_dual_cndmask_b32 v17, 0, v17 :: v_dual_lshlrev_b32 v2, 3, v2
	v_cndmask_b32_e32 v16, 7, v16, vcc_lo
	v_and_b32_e32 v2, 0xf8, v2
	s_delay_alu instid0(VALU_DEP_2) | instskip(NEXT) | instid1(VALU_DEP_2)
	v_cmp_eq_u64_e32 vcc_lo, 0, v[16:17]
	v_and_or_b32 v0, v16, 7, v2
	s_and_b32 s13, s13, vcc_lo
	s_delay_alu instid0(VALU_DEP_1) | instid1(SALU_CYCLE_1)
	v_cndmask_b32_e64 v0, v0, 0, s13
	s_delay_alu instid0(VALU_DEP_1)
	v_or_b32_e32 v57, v0, v66
.LBB6_1774:                             ;   in Loop: Header=BB6_356 Depth=4
	s_or_b32 exec_lo, exec_lo, s75
                                        ; implicit-def: $vgpr66
.LBB6_1775:                             ;   in Loop: Header=BB6_356 Depth=4
	s_and_not1_saveexec_b32 s13, s74
; %bb.1776:                             ;   in Loop: Header=BB6_356 Depth=4
	v_or_b32_e32 v57, 0x7e, v66
; %bb.1777:                             ;   in Loop: Header=BB6_356 Depth=4
	s_or_b32 exec_lo, exec_lo, s13
                                        ; implicit-def: $vgpr16
.LBB6_1778:                             ;   in Loop: Header=BB6_356 Depth=4
	s_and_not1_saveexec_b32 s13, s73
; %bb.1779:                             ;   in Loop: Header=BB6_356 Depth=4
	v_or_b32_e32 v57, 0x7f, v16
; %bb.1780:                             ;   in Loop: Header=BB6_356 Depth=4
	s_or_b32 exec_lo, exec_lo, s13
	v_dual_lshrrev_b32 v0, 16, v23 :: v_dual_mov_b32 v16, 0
	v_mov_b32_e32 v17, 0
	s_mov_b32 s13, exec_lo
	s_delay_alu instid0(VALU_DEP_2) | instskip(NEXT) | instid1(VALU_DEP_1)
	v_and_b32_e32 v2, 0xff, v0
	v_cmpx_ne_u16_e32 0, v2
	s_cbranch_execz .LBB6_1788
; %bb.1781:                             ;   in Loop: Header=BB6_356 Depth=4
	v_bfrev_b32_e32 v17, 1
	s_mov_b32 s73, exec_lo
	v_cmpx_ne_u16_e32 0x80, v2
	s_cbranch_execz .LBB6_1787
; %bb.1782:                             ;   in Loop: Header=BB6_356 Depth=4
	v_bfe_u32 v20, v23, 16, 7
	v_mov_b32_e32 v17, 0x7f800001
	s_mov_b32 s74, exec_lo
	s_delay_alu instid0(VALU_DEP_2)
	v_cmpx_ne_u32_e32 0x7f, v20
	s_cbranch_execz .LBB6_1786
; %bb.1783:                             ;   in Loop: Header=BB6_356 Depth=4
	v_and_b32_e32 v2, 7, v0
	v_lshrrev_b32_e32 v17, 3, v20
	s_mov_b32 s75, exec_lo
	v_cmpx_gt_u32_e32 8, v20
; %bb.1784:                             ;   in Loop: Header=BB6_356 Depth=4
	s_delay_alu instid0(VALU_DEP_3) | instskip(NEXT) | instid1(VALU_DEP_1)
	v_clz_i32_u32_e32 v17, v2
	v_min_u32_e32 v17, 32, v17
	s_delay_alu instid0(VALU_DEP_1) | instskip(NEXT) | instid1(VALU_DEP_1)
	v_subrev_nc_u32_e32 v20, 28, v17
	v_lshlrev_b64_e32 v[20:21], v20, v[2:3]
	s_delay_alu instid0(VALU_DEP_1)
	v_dual_sub_nc_u32 v17, 29, v17 :: v_dual_bitop2_b32 v2, 7, v20 bitop3:0x40
; %bb.1785:                             ;   in Loop: Header=BB6_356 Depth=4
	s_or_b32 exec_lo, exec_lo, s75
	s_delay_alu instid0(VALU_DEP_1) | instskip(NEXT) | instid1(VALU_DEP_2)
	v_dual_lshlrev_b32 v0, 24, v0 :: v_dual_lshlrev_b32 v2, 20, v2
	v_lshl_add_u32 v17, v17, 23, 0x3c000000
	s_delay_alu instid0(VALU_DEP_2) | instskip(NEXT) | instid1(VALU_DEP_1)
	v_and_b32_e32 v0, 0x80000000, v0
	v_or3_b32 v17, v2, v0, v17
.LBB6_1786:                             ;   in Loop: Header=BB6_356 Depth=4
	s_or_b32 exec_lo, exec_lo, s74
.LBB6_1787:                             ;   in Loop: Header=BB6_356 Depth=4
	s_delay_alu instid0(SALU_CYCLE_1)
	s_or_b32 exec_lo, exec_lo, s73
.LBB6_1788:                             ;   in Loop: Header=BB6_356 Depth=4
	s_delay_alu instid0(SALU_CYCLE_1) | instskip(SKIP_2) | instid1(VALU_DEP_1)
	s_or_b32 exec_lo, exec_lo, s13
	v_lshrrev_b32_e32 v0, 16, v19
	s_mov_b32 s13, exec_lo
	v_and_b32_e32 v2, 0xff, v0
	s_delay_alu instid0(VALU_DEP_1)
	v_cmpx_ne_u16_e32 0, v2
	s_cbranch_execz .LBB6_1796
; %bb.1789:                             ;   in Loop: Header=BB6_356 Depth=4
	v_bfrev_b32_e32 v16, 1
	s_mov_b32 s73, exec_lo
	v_cmpx_ne_u16_e32 0x80, v2
	s_cbranch_execz .LBB6_1795
; %bb.1790:                             ;   in Loop: Header=BB6_356 Depth=4
	v_bfe_u32 v20, v19, 16, 7
	v_mov_b32_e32 v16, 0x7f800001
	s_mov_b32 s74, exec_lo
	s_delay_alu instid0(VALU_DEP_2)
	v_cmpx_ne_u32_e32 0x7f, v20
	s_cbranch_execz .LBB6_1794
; %bb.1791:                             ;   in Loop: Header=BB6_356 Depth=4
	v_and_b32_e32 v2, 7, v0
	v_lshrrev_b32_e32 v0, 3, v20
	s_mov_b32 s75, exec_lo
	v_cmpx_gt_u32_e32 8, v20
; %bb.1792:                             ;   in Loop: Header=BB6_356 Depth=4
	s_delay_alu instid0(VALU_DEP_3) | instskip(NEXT) | instid1(VALU_DEP_1)
	v_clz_i32_u32_e32 v0, v2
	v_min_u32_e32 v0, 32, v0
	s_delay_alu instid0(VALU_DEP_1) | instskip(SKIP_1) | instid1(VALU_DEP_2)
	v_subrev_nc_u32_e32 v16, 28, v0
	v_sub_nc_u32_e32 v0, 29, v0
	v_lshlrev_b64_e32 v[20:21], v16, v[2:3]
	s_delay_alu instid0(VALU_DEP_1)
	v_and_b32_e32 v2, 7, v20
; %bb.1793:                             ;   in Loop: Header=BB6_356 Depth=4
	s_or_b32 exec_lo, exec_lo, s75
	s_delay_alu instid0(VALU_DEP_1) | instskip(SKIP_1) | instid1(VALU_DEP_2)
	v_dual_lshlrev_b32 v16, 8, v19 :: v_dual_lshlrev_b32 v2, 20, v2
	v_lshl_add_u32 v0, v0, 23, 0x3c000000
	v_and_b32_e32 v16, 0x80000000, v16
	s_delay_alu instid0(VALU_DEP_1)
	v_or3_b32 v16, v2, v16, v0
.LBB6_1794:                             ;   in Loop: Header=BB6_356 Depth=4
	s_or_b32 exec_lo, exec_lo, s74
.LBB6_1795:                             ;   in Loop: Header=BB6_356 Depth=4
	s_delay_alu instid0(SALU_CYCLE_1)
	s_or_b32 exec_lo, exec_lo, s73
.LBB6_1796:                             ;   in Loop: Header=BB6_356 Depth=4
	s_delay_alu instid0(SALU_CYCLE_1) | instskip(NEXT) | instid1(VALU_DEP_1)
	s_or_b32 exec_lo, exec_lo, s13
	v_add_f32_e32 v0, v17, v16
                                        ; implicit-def: $vgpr20
	s_mov_b32 s13, exec_lo
	s_delay_alu instid0(VALU_DEP_1) | instskip(SKIP_1) | instid1(VALU_DEP_2)
	v_and_b32_e32 v2, 0x7f800000, v0
	v_lshrrev_b32_e32 v16, 24, v0
	v_cmpx_ne_u64_e32 0x7f800000, v[2:3]
	s_xor_b32 s73, exec_lo, s13
	s_cbranch_execz .LBB6_1810
; %bb.1797:                             ;   in Loop: Header=BB6_356 Depth=4
	v_and_b32_e32 v2, 0x7fffffff, v0
	v_and_b32_e32 v66, 0x80, v16
                                        ; implicit-def: $vgpr20
	s_mov_b32 s13, exec_lo
	s_delay_alu instid0(VALU_DEP_2)
	v_cmpx_gt_u64_e32 0x43e00001, v[2:3]
	s_xor_b32 s74, exec_lo, s13
	s_cbranch_execz .LBB6_1807
; %bb.1798:                             ;   in Loop: Header=BB6_356 Depth=4
	v_mov_b32_e32 v20, 0
	s_mov_b32 s75, exec_lo
	v_cmpx_ne_u32_e32 0, v0
	s_cbranch_execz .LBB6_1806
; %bb.1799:                             ;   in Loop: Header=BB6_356 Depth=4
	v_bfe_u32 v67, v0, 23, 8
	v_and_b32_e32 v2, 0x7fffff, v0
	s_delay_alu instid0(VALU_DEP_2) | instskip(SKIP_2) | instid1(VALU_DEP_4)
	v_cmp_gt_u32_e64 s13, 0x7a, v67
	v_sub_nc_u32_e32 v0, 0x79, v67
	v_cmp_eq_u32_e32 vcc_lo, 0, v67
	v_or_b32_e32 v16, 0x800000, v2
	s_delay_alu instid0(VALU_DEP_1) | instskip(NEXT) | instid1(VALU_DEP_1)
	v_dual_cndmask_b32 v0, 0, v0, s13 :: v_dual_cndmask_b32 v2, v16, v2, vcc_lo
	v_cndmask_b32_e64 v0, v0, 0x78, vcc_lo
	s_delay_alu instid0(VALU_DEP_1) | instskip(NEXT) | instid1(VALU_DEP_1)
	v_dual_add_nc_u32 v16, 20, v0 :: v_dual_add_nc_u32 v20, 19, v0
	v_lshlrev_b64_e64 v[16:17], v16, -1
	s_delay_alu instid0(VALU_DEP_2) | instskip(NEXT) | instid1(VALU_DEP_2)
	v_lshlrev_b64_e64 v[20:21], v20, 1
	v_bfi_b32 v17, v17, 0, 0
	s_delay_alu instid0(VALU_DEP_3) | instskip(NEXT) | instid1(VALU_DEP_1)
	v_bfi_b32 v16, v16, 0, v2
	v_cmp_eq_u64_e64 s13, v[16:17], v[20:21]
	v_lshrrev_b64 v[16:17], v0, v[2:3]
	s_delay_alu instid0(VALU_DEP_1)
	v_mov_b64_e32 v[20:21], v[16:17]
	s_and_saveexec_b32 s76, s13
; %bb.1800:                             ;   in Loop: Header=BB6_356 Depth=4
	v_bfe_u32 v2, v16, 20, 1
	s_delay_alu instid0(VALU_DEP_1) | instskip(NEXT) | instid1(VALU_DEP_1)
	v_add_nc_u64_e32 v[20:21], v[16:17], v[2:3]
	v_add_nc_u64_e32 v[20:21], -1, v[20:21]
; %bb.1801:                             ;   in Loop: Header=BB6_356 Depth=4
	s_or_b32 exec_lo, exec_lo, s76
	v_add_nc_u32_e32 v2, 0xffffff81, v67
	v_lshrrev_b32_e32 v17, 23, v16
	s_mov_b32 s13, exec_lo
	s_delay_alu instid0(VALU_DEP_2) | instskip(NEXT) | instid1(VALU_DEP_1)
	v_cndmask_b32_e64 v2, v2, 0xffffff82, vcc_lo
	v_add3_u32 v21, v0, v2, v17
	v_and_b32_e32 v0, 0xfffff, v20
	s_delay_alu instid0(VALU_DEP_1) | instskip(NEXT) | instid1(VALU_DEP_1)
	v_dual_add_nc_u32 v20, 6, v21 :: v_dual_add_nc_u32 v2, v0, v16
                                        ; implicit-def: $vgpr16_vgpr17
                                        ; implicit-def: $vgpr0
	v_cmpx_ne_u32_e32 0, v20
	s_xor_b32 s13, exec_lo, s13
; %bb.1802:                             ;   in Loop: Header=BB6_356 Depth=4
	s_delay_alu instid0(VALU_DEP_2) | instskip(SKIP_2) | instid1(VALU_DEP_2)
	v_cmp_lt_u64_e32 vcc_lo, 0xffffff, v[2:3]
	v_add_nc_u32_e32 v0, 7, v21
	v_cndmask_b32_e64 v16, 0, 1, vcc_lo
	v_cndmask_b32_e32 v0, v20, v0, vcc_lo
	s_delay_alu instid0(VALU_DEP_2)
	v_lshrrev_b64 v[16:17], v16, v[2:3]
; %bb.1803:                             ;   in Loop: Header=BB6_356 Depth=4
	s_and_not1_saveexec_b32 s13, s13
; %bb.1804:                             ;   in Loop: Header=BB6_356 Depth=4
	v_mov_b64_e32 v[16:17], v[2:3]
	v_bfe_u32 v0, v2, 23, 1
; %bb.1805:                             ;   in Loop: Header=BB6_356 Depth=4
	s_or_b32 exec_lo, exec_lo, s13
	s_delay_alu instid0(VALU_DEP_2) | instskip(NEXT) | instid1(VALU_DEP_2)
	v_lshrrev_b64 v[16:17], 20, v[16:17]
	v_cmp_gt_i32_e32 vcc_lo, 16, v0
	v_min_i32_e32 v2, 15, v0
	v_cmp_eq_u32_e64 s13, 0, v0
	s_delay_alu instid0(VALU_DEP_2) | instskip(SKIP_1) | instid1(VALU_DEP_2)
	v_dual_cndmask_b32 v17, 0, v17 :: v_dual_lshlrev_b32 v2, 3, v2
	v_cndmask_b32_e32 v16, 7, v16, vcc_lo
	v_and_b32_e32 v2, 0xf8, v2
	s_delay_alu instid0(VALU_DEP_2) | instskip(NEXT) | instid1(VALU_DEP_2)
	v_cmp_eq_u64_e32 vcc_lo, 0, v[16:17]
	v_and_or_b32 v0, v16, 7, v2
	s_and_b32 s13, s13, vcc_lo
	s_delay_alu instid0(VALU_DEP_1) | instid1(SALU_CYCLE_1)
	v_cndmask_b32_e64 v0, v0, 0, s13
	s_delay_alu instid0(VALU_DEP_1)
	v_or_b32_e32 v20, v0, v66
.LBB6_1806:                             ;   in Loop: Header=BB6_356 Depth=4
	s_or_b32 exec_lo, exec_lo, s75
                                        ; implicit-def: $vgpr66
.LBB6_1807:                             ;   in Loop: Header=BB6_356 Depth=4
	s_and_not1_saveexec_b32 s13, s74
; %bb.1808:                             ;   in Loop: Header=BB6_356 Depth=4
	v_or_b32_e32 v20, 0x7e, v66
; %bb.1809:                             ;   in Loop: Header=BB6_356 Depth=4
	s_or_b32 exec_lo, exec_lo, s13
                                        ; implicit-def: $vgpr16
.LBB6_1810:                             ;   in Loop: Header=BB6_356 Depth=4
	s_and_not1_saveexec_b32 s13, s73
; %bb.1811:                             ;   in Loop: Header=BB6_356 Depth=4
	v_or_b32_e32 v20, 0x7f, v16
; %bb.1812:                             ;   in Loop: Header=BB6_356 Depth=4
	s_or_b32 exec_lo, exec_lo, s13
	v_dual_mov_b32 v16, 0 :: v_dual_mov_b32 v17, 0
	s_mov_b32 s13, exec_lo
	v_cmpx_lt_u64_e64 s[22:23], v[22:23]
	s_cbranch_execz .LBB6_1820
; %bb.1813:                             ;   in Loop: Header=BB6_356 Depth=4
	v_lshrrev_b32_e32 v0, 24, v23
	v_bfrev_b32_e32 v17, 1
	s_mov_b32 s73, exec_lo
	s_delay_alu instid0(VALU_DEP_2)
	v_cmpx_ne_u32_e32 0x80, v0
	s_cbranch_execz .LBB6_1819
; %bb.1814:                             ;   in Loop: Header=BB6_356 Depth=4
	v_bfe_u32 v21, v23, 24, 7
	v_mov_b32_e32 v17, 0x7f800001
	s_mov_b32 s74, exec_lo
	s_delay_alu instid0(VALU_DEP_2)
	v_cmpx_ne_u32_e32 0x7f, v21
	s_cbranch_execz .LBB6_1818
; %bb.1815:                             ;   in Loop: Header=BB6_356 Depth=4
	v_dual_lshrrev_b32 v17, 3, v21 :: v_dual_bitop2_b32 v2, 7, v0 bitop3:0x40
	s_mov_b32 s75, exec_lo
	v_cmpx_gt_u32_e32 8, v21
; %bb.1816:                             ;   in Loop: Header=BB6_356 Depth=4
	s_delay_alu instid0(VALU_DEP_2) | instskip(NEXT) | instid1(VALU_DEP_1)
	v_clz_i32_u32_e32 v17, v2
	v_min_u32_e32 v17, 32, v17
	s_delay_alu instid0(VALU_DEP_1) | instskip(NEXT) | instid1(VALU_DEP_1)
	v_subrev_nc_u32_e32 v21, 28, v17
	v_lshlrev_b64_e32 v[22:23], v21, v[2:3]
	s_delay_alu instid0(VALU_DEP_1)
	v_dual_sub_nc_u32 v17, 29, v17 :: v_dual_bitop2_b32 v2, 7, v22 bitop3:0x40
; %bb.1817:                             ;   in Loop: Header=BB6_356 Depth=4
	s_or_b32 exec_lo, exec_lo, s75
	s_delay_alu instid0(VALU_DEP_1) | instskip(NEXT) | instid1(VALU_DEP_2)
	v_dual_lshlrev_b32 v0, 24, v0 :: v_dual_lshlrev_b32 v2, 20, v2
	v_lshl_add_u32 v17, v17, 23, 0x3c000000
	s_delay_alu instid0(VALU_DEP_2) | instskip(NEXT) | instid1(VALU_DEP_1)
	v_and_b32_e32 v0, 0x80000000, v0
	v_or3_b32 v17, v2, v0, v17
.LBB6_1818:                             ;   in Loop: Header=BB6_356 Depth=4
	s_or_b32 exec_lo, exec_lo, s74
.LBB6_1819:                             ;   in Loop: Header=BB6_356 Depth=4
	s_delay_alu instid0(SALU_CYCLE_1)
	s_or_b32 exec_lo, exec_lo, s73
.LBB6_1820:                             ;   in Loop: Header=BB6_356 Depth=4
	s_delay_alu instid0(SALU_CYCLE_1) | instskip(NEXT) | instid1(SALU_CYCLE_1)
	s_or_b32 exec_lo, exec_lo, s13
	s_mov_b32 s13, exec_lo
	v_cmpx_lt_u64_e64 s[22:23], v[18:19]
	s_cbranch_execz .LBB6_1828
; %bb.1821:                             ;   in Loop: Header=BB6_356 Depth=4
	v_lshrrev_b32_e32 v0, 24, v19
	v_bfrev_b32_e32 v16, 1
	s_mov_b32 s73, exec_lo
	s_delay_alu instid0(VALU_DEP_2)
	v_cmpx_ne_u32_e32 0x80, v0
	s_cbranch_execz .LBB6_1827
; %bb.1822:                             ;   in Loop: Header=BB6_356 Depth=4
	v_bfe_u32 v18, v19, 24, 7
	v_mov_b32_e32 v16, 0x7f800001
	s_mov_b32 s74, exec_lo
	s_delay_alu instid0(VALU_DEP_2)
	v_cmpx_ne_u32_e32 0x7f, v18
	s_cbranch_execz .LBB6_1826
; %bb.1823:                             ;   in Loop: Header=BB6_356 Depth=4
	v_dual_lshrrev_b32 v16, 3, v18 :: v_dual_bitop2_b32 v2, 7, v0 bitop3:0x40
	s_mov_b32 s75, exec_lo
	v_cmpx_gt_u32_e32 8, v18
; %bb.1824:                             ;   in Loop: Header=BB6_356 Depth=4
	s_delay_alu instid0(VALU_DEP_2) | instskip(NEXT) | instid1(VALU_DEP_1)
	v_clz_i32_u32_e32 v16, v2
	v_min_u32_e32 v16, 32, v16
	s_delay_alu instid0(VALU_DEP_1) | instskip(NEXT) | instid1(VALU_DEP_1)
	v_subrev_nc_u32_e32 v18, 28, v16
	v_lshlrev_b64_e32 v[18:19], v18, v[2:3]
	s_delay_alu instid0(VALU_DEP_1)
	v_dual_sub_nc_u32 v16, 29, v16 :: v_dual_bitop2_b32 v2, 7, v18 bitop3:0x40
; %bb.1825:                             ;   in Loop: Header=BB6_356 Depth=4
	s_or_b32 exec_lo, exec_lo, s75
	s_delay_alu instid0(VALU_DEP_1) | instskip(NEXT) | instid1(VALU_DEP_2)
	v_dual_lshlrev_b32 v0, 24, v0 :: v_dual_lshlrev_b32 v2, 20, v2
	v_lshl_add_u32 v16, v16, 23, 0x3c000000
	s_delay_alu instid0(VALU_DEP_2) | instskip(NEXT) | instid1(VALU_DEP_1)
	v_and_b32_e32 v0, 0x80000000, v0
	v_or3_b32 v16, v2, v0, v16
.LBB6_1826:                             ;   in Loop: Header=BB6_356 Depth=4
	s_or_b32 exec_lo, exec_lo, s74
.LBB6_1827:                             ;   in Loop: Header=BB6_356 Depth=4
	s_delay_alu instid0(SALU_CYCLE_1)
	s_or_b32 exec_lo, exec_lo, s73
.LBB6_1828:                             ;   in Loop: Header=BB6_356 Depth=4
	s_delay_alu instid0(SALU_CYCLE_1) | instskip(NEXT) | instid1(VALU_DEP_1)
	s_or_b32 exec_lo, exec_lo, s13
	v_add_f32_e32 v0, v17, v16
                                        ; implicit-def: $vgpr21
	s_mov_b32 s13, exec_lo
	s_delay_alu instid0(VALU_DEP_1) | instskip(SKIP_1) | instid1(VALU_DEP_2)
	v_and_b32_e32 v2, 0x7f800000, v0
	v_lshrrev_b32_e32 v16, 24, v0
	v_cmpx_ne_u64_e32 0x7f800000, v[2:3]
	s_xor_b32 s73, exec_lo, s13
	s_cbranch_execz .LBB6_1842
; %bb.1829:                             ;   in Loop: Header=BB6_356 Depth=4
	v_and_b32_e32 v2, 0x7fffffff, v0
	v_and_b32_e32 v22, 0x80, v16
                                        ; implicit-def: $vgpr21
	s_mov_b32 s13, exec_lo
	s_delay_alu instid0(VALU_DEP_2)
	v_cmpx_gt_u64_e32 0x43e00001, v[2:3]
	s_xor_b32 s74, exec_lo, s13
	s_cbranch_execz .LBB6_1839
; %bb.1830:                             ;   in Loop: Header=BB6_356 Depth=4
	v_mov_b32_e32 v21, 0
	s_mov_b32 s75, exec_lo
	v_cmpx_ne_u32_e32 0, v0
	s_cbranch_execz .LBB6_1838
; %bb.1831:                             ;   in Loop: Header=BB6_356 Depth=4
	v_bfe_u32 v21, v0, 23, 8
	v_and_b32_e32 v2, 0x7fffff, v0
	s_delay_alu instid0(VALU_DEP_2) | instskip(SKIP_2) | instid1(VALU_DEP_4)
	v_cmp_gt_u32_e64 s13, 0x7a, v21
	v_sub_nc_u32_e32 v0, 0x79, v21
	v_cmp_eq_u32_e32 vcc_lo, 0, v21
	v_or_b32_e32 v16, 0x800000, v2
	s_delay_alu instid0(VALU_DEP_1) | instskip(NEXT) | instid1(VALU_DEP_1)
	v_dual_cndmask_b32 v0, 0, v0, s13 :: v_dual_cndmask_b32 v2, v16, v2, vcc_lo
	v_cndmask_b32_e64 v0, v0, 0x78, vcc_lo
	s_delay_alu instid0(VALU_DEP_1) | instskip(NEXT) | instid1(VALU_DEP_1)
	v_dual_add_nc_u32 v16, 20, v0 :: v_dual_add_nc_u32 v18, 19, v0
	v_lshlrev_b64_e64 v[16:17], v16, -1
	s_delay_alu instid0(VALU_DEP_2) | instskip(NEXT) | instid1(VALU_DEP_2)
	v_lshlrev_b64_e64 v[18:19], v18, 1
	v_bfi_b32 v17, v17, 0, 0
	s_delay_alu instid0(VALU_DEP_3) | instskip(NEXT) | instid1(VALU_DEP_1)
	v_bfi_b32 v16, v16, 0, v2
	v_cmp_eq_u64_e64 s13, v[16:17], v[18:19]
	v_lshrrev_b64 v[16:17], v0, v[2:3]
	s_delay_alu instid0(VALU_DEP_1)
	v_mov_b64_e32 v[18:19], v[16:17]
	s_and_saveexec_b32 s76, s13
; %bb.1832:                             ;   in Loop: Header=BB6_356 Depth=4
	v_bfe_u32 v2, v16, 20, 1
	s_delay_alu instid0(VALU_DEP_1) | instskip(NEXT) | instid1(VALU_DEP_1)
	v_add_nc_u64_e32 v[18:19], v[16:17], v[2:3]
	v_add_nc_u64_e32 v[18:19], -1, v[18:19]
; %bb.1833:                             ;   in Loop: Header=BB6_356 Depth=4
	s_or_b32 exec_lo, exec_lo, s76
	v_add_nc_u32_e32 v2, 0xffffff81, v21
	v_lshrrev_b32_e32 v17, 23, v16
	s_mov_b32 s13, exec_lo
	s_delay_alu instid0(VALU_DEP_2) | instskip(NEXT) | instid1(VALU_DEP_1)
	v_cndmask_b32_e64 v2, v2, 0xffffff82, vcc_lo
	v_add3_u32 v19, v0, v2, v17
	v_and_b32_e32 v0, 0xfffff, v18
	s_delay_alu instid0(VALU_DEP_1) | instskip(NEXT) | instid1(VALU_DEP_1)
	v_dual_add_nc_u32 v18, 6, v19 :: v_dual_add_nc_u32 v2, v0, v16
                                        ; implicit-def: $vgpr16_vgpr17
                                        ; implicit-def: $vgpr0
	v_cmpx_ne_u32_e32 0, v18
	s_xor_b32 s13, exec_lo, s13
; %bb.1834:                             ;   in Loop: Header=BB6_356 Depth=4
	s_delay_alu instid0(VALU_DEP_2) | instskip(SKIP_2) | instid1(VALU_DEP_2)
	v_cmp_lt_u64_e32 vcc_lo, 0xffffff, v[2:3]
	v_add_nc_u32_e32 v0, 7, v19
	v_cndmask_b32_e64 v16, 0, 1, vcc_lo
	v_cndmask_b32_e32 v0, v18, v0, vcc_lo
	s_delay_alu instid0(VALU_DEP_2)
	v_lshrrev_b64 v[16:17], v16, v[2:3]
; %bb.1835:                             ;   in Loop: Header=BB6_356 Depth=4
	s_and_not1_saveexec_b32 s13, s13
; %bb.1836:                             ;   in Loop: Header=BB6_356 Depth=4
	v_mov_b64_e32 v[16:17], v[2:3]
	v_bfe_u32 v0, v2, 23, 1
; %bb.1837:                             ;   in Loop: Header=BB6_356 Depth=4
	s_or_b32 exec_lo, exec_lo, s13
	s_delay_alu instid0(VALU_DEP_2) | instskip(NEXT) | instid1(VALU_DEP_2)
	v_lshrrev_b64 v[16:17], 20, v[16:17]
	v_cmp_gt_i32_e32 vcc_lo, 16, v0
	v_min_i32_e32 v2, 15, v0
	v_cmp_eq_u32_e64 s13, 0, v0
	s_delay_alu instid0(VALU_DEP_2) | instskip(SKIP_1) | instid1(VALU_DEP_2)
	v_dual_cndmask_b32 v17, 0, v17 :: v_dual_lshlrev_b32 v2, 3, v2
	v_cndmask_b32_e32 v16, 7, v16, vcc_lo
	v_and_b32_e32 v2, 0xf8, v2
	s_delay_alu instid0(VALU_DEP_2) | instskip(NEXT) | instid1(VALU_DEP_2)
	v_cmp_eq_u64_e32 vcc_lo, 0, v[16:17]
	v_and_or_b32 v0, v16, 7, v2
	s_and_b32 s13, s13, vcc_lo
	s_delay_alu instid0(VALU_DEP_1) | instid1(SALU_CYCLE_1)
	v_cndmask_b32_e64 v0, v0, 0, s13
	s_delay_alu instid0(VALU_DEP_1)
	v_or_b32_e32 v21, v0, v22
.LBB6_1838:                             ;   in Loop: Header=BB6_356 Depth=4
	s_or_b32 exec_lo, exec_lo, s75
                                        ; implicit-def: $vgpr22
.LBB6_1839:                             ;   in Loop: Header=BB6_356 Depth=4
	s_and_not1_saveexec_b32 s13, s74
; %bb.1840:                             ;   in Loop: Header=BB6_356 Depth=4
	v_or_b32_e32 v21, 0x7e, v22
; %bb.1841:                             ;   in Loop: Header=BB6_356 Depth=4
	s_or_b32 exec_lo, exec_lo, s13
                                        ; implicit-def: $vgpr16
.LBB6_1842:                             ;   in Loop: Header=BB6_356 Depth=4
	s_and_not1_saveexec_b32 s13, s73
; %bb.1843:                             ;   in Loop: Header=BB6_356 Depth=4
	v_or_b32_e32 v21, 0x7f, v16
; %bb.1844:                             ;   in Loop: Header=BB6_356 Depth=4
	s_or_b32 exec_lo, exec_lo, s13
	v_and_b32_e32 v0, 0xff, v12
	v_dual_mov_b32 v2, 0 :: v_dual_mov_b32 v16, 0
	s_mov_b32 s13, exec_lo
	s_delay_alu instid0(VALU_DEP_2)
	v_cmpx_ne_u16_e32 0, v0
	s_cbranch_execz .LBB6_1850
; %bb.1845:                             ;   in Loop: Header=BB6_356 Depth=4
	v_bfrev_b32_e32 v16, 1
	s_mov_b32 s73, exec_lo
	v_cmpx_ne_u16_e32 0x80, v0
	s_cbranch_execz .LBB6_1849
; %bb.1846:                             ;   in Loop: Header=BB6_356 Depth=4
	v_and_b32_e32 v0, 0x7f, v12
	v_mov_b32_e32 v16, 0x7f800001
	s_mov_b32 s74, exec_lo
	s_delay_alu instid0(VALU_DEP_2)
	v_cmpx_ne_u32_e32 0x7f, v0
	s_cbranch_execz .LBB6_1848
; %bb.1847:                             ;   in Loop: Header=BB6_356 Depth=4
	v_and_b32_e32 v16, 7, v12
	v_lshrrev_b32_e32 v17, 3, v0
	v_cmp_gt_u32_e32 vcc_lo, 8, v0
	s_delay_alu instid0(VALU_DEP_3) | instskip(NEXT) | instid1(VALU_DEP_1)
	v_clz_i32_u32_e32 v0, v16
	v_min_u32_e32 v0, 32, v0
	s_delay_alu instid0(VALU_DEP_1) | instskip(SKIP_1) | instid1(VALU_DEP_2)
	v_subrev_nc_u32_e32 v16, 28, v0
	v_sub_nc_u32_e32 v0, 29, v0
	v_cndmask_b32_e32 v16, 0, v16, vcc_lo
	s_delay_alu instid0(VALU_DEP_2) | instskip(NEXT) | instid1(VALU_DEP_2)
	v_cndmask_b32_e32 v0, v17, v0, vcc_lo
	v_lshlrev_b64_e32 v[16:17], v16, v[12:13]
	v_lshlrev_b32_e32 v17, 24, v12
	s_delay_alu instid0(VALU_DEP_3) | instskip(NEXT) | instid1(VALU_DEP_2)
	v_lshl_add_u32 v0, v0, 23, 0x3c000000
	v_and_b32_e32 v17, 0x80000000, v17
	s_delay_alu instid0(VALU_DEP_4) | instskip(NEXT) | instid1(VALU_DEP_1)
	v_lshlrev_b32_e32 v16, 20, v16
	v_and_b32_e32 v16, 0x700000, v16
	s_delay_alu instid0(VALU_DEP_1)
	v_or3_b32 v16, v16, v17, v0
.LBB6_1848:                             ;   in Loop: Header=BB6_356 Depth=4
	s_or_b32 exec_lo, exec_lo, s74
.LBB6_1849:                             ;   in Loop: Header=BB6_356 Depth=4
	s_delay_alu instid0(SALU_CYCLE_1)
	s_or_b32 exec_lo, exec_lo, s73
.LBB6_1850:                             ;   in Loop: Header=BB6_356 Depth=4
	s_delay_alu instid0(SALU_CYCLE_1) | instskip(SKIP_3) | instid1(VALU_DEP_1)
	s_or_b32 exec_lo, exec_lo, s13
	s_wait_loadcnt 0x0
	v_and_b32_e32 v0, 0xff, v8
	s_mov_b32 s13, exec_lo
	v_cmpx_ne_u16_e32 0, v0
	s_cbranch_execz .LBB6_1856
; %bb.1851:                             ;   in Loop: Header=BB6_356 Depth=4
	v_bfrev_b32_e32 v2, 1
	s_mov_b32 s73, exec_lo
	v_cmpx_ne_u16_e32 0x80, v0
	s_cbranch_execz .LBB6_1855
; %bb.1852:                             ;   in Loop: Header=BB6_356 Depth=4
	v_and_b32_e32 v0, 0x7f, v8
	v_mov_b32_e32 v2, 0x7f800001
	s_mov_b32 s74, exec_lo
	s_delay_alu instid0(VALU_DEP_2)
	v_cmpx_ne_u32_e32 0x7f, v0
	s_cbranch_execz .LBB6_1854
; %bb.1853:                             ;   in Loop: Header=BB6_356 Depth=4
	v_and_b32_e32 v2, 7, v8
	v_lshrrev_b32_e32 v17, 3, v0
	v_cmp_gt_u32_e32 vcc_lo, 8, v0
	s_delay_alu instid0(VALU_DEP_3) | instskip(NEXT) | instid1(VALU_DEP_1)
	v_clz_i32_u32_e32 v0, v2
	v_min_u32_e32 v0, 32, v0
	s_delay_alu instid0(VALU_DEP_1) | instskip(NEXT) | instid1(VALU_DEP_1)
	v_subrev_nc_u32_e32 v2, 28, v0
	v_dual_sub_nc_u32 v0, 29, v0 :: v_dual_cndmask_b32 v2, 0, v2, vcc_lo
	s_delay_alu instid0(VALU_DEP_1) | instskip(SKIP_1) | instid1(VALU_DEP_3)
	v_cndmask_b32_e32 v0, v17, v0, vcc_lo
	v_lshlrev_b32_e32 v17, 24, v8
	v_lshlrev_b64_e32 v[18:19], v2, v[8:9]
	s_delay_alu instid0(VALU_DEP_3) | instskip(NEXT) | instid1(VALU_DEP_3)
	v_lshl_add_u32 v0, v0, 23, 0x3c000000
	v_and_b32_e32 v17, 0x80000000, v17
	s_delay_alu instid0(VALU_DEP_3) | instskip(NEXT) | instid1(VALU_DEP_1)
	v_lshlrev_b32_e32 v2, 20, v18
	v_and_b32_e32 v2, 0x700000, v2
	s_delay_alu instid0(VALU_DEP_1)
	v_or3_b32 v2, v2, v17, v0
.LBB6_1854:                             ;   in Loop: Header=BB6_356 Depth=4
	s_or_b32 exec_lo, exec_lo, s74
.LBB6_1855:                             ;   in Loop: Header=BB6_356 Depth=4
	s_delay_alu instid0(SALU_CYCLE_1)
	s_or_b32 exec_lo, exec_lo, s73
.LBB6_1856:                             ;   in Loop: Header=BB6_356 Depth=4
	s_delay_alu instid0(SALU_CYCLE_1) | instskip(NEXT) | instid1(VALU_DEP_1)
	s_or_b32 exec_lo, exec_lo, s13
	v_add_f32_e32 v0, v16, v2
                                        ; implicit-def: $vgpr22
	s_mov_b32 s13, exec_lo
	s_delay_alu instid0(VALU_DEP_1) | instskip(SKIP_1) | instid1(VALU_DEP_2)
	v_and_b32_e32 v2, 0x7f800000, v0
	v_lshrrev_b32_e32 v16, 24, v0
	v_cmpx_ne_u64_e32 0x7f800000, v[2:3]
	s_xor_b32 s73, exec_lo, s13
	s_cbranch_execz .LBB6_1870
; %bb.1857:                             ;   in Loop: Header=BB6_356 Depth=4
	v_and_b32_e32 v2, 0x7fffffff, v0
	v_and_b32_e32 v23, 0x80, v16
                                        ; implicit-def: $vgpr22
	s_mov_b32 s13, exec_lo
	s_delay_alu instid0(VALU_DEP_2)
	v_cmpx_gt_u64_e32 0x43e00001, v[2:3]
	s_xor_b32 s74, exec_lo, s13
	s_cbranch_execz .LBB6_1867
; %bb.1858:                             ;   in Loop: Header=BB6_356 Depth=4
	v_mov_b32_e32 v22, 0
	s_mov_b32 s75, exec_lo
	v_cmpx_ne_u32_e32 0, v0
	s_cbranch_execz .LBB6_1866
; %bb.1859:                             ;   in Loop: Header=BB6_356 Depth=4
	v_bfe_u32 v22, v0, 23, 8
	v_and_b32_e32 v2, 0x7fffff, v0
	s_delay_alu instid0(VALU_DEP_2) | instskip(SKIP_2) | instid1(VALU_DEP_4)
	v_cmp_gt_u32_e64 s13, 0x7a, v22
	v_sub_nc_u32_e32 v0, 0x79, v22
	v_cmp_eq_u32_e32 vcc_lo, 0, v22
	v_or_b32_e32 v16, 0x800000, v2
	s_delay_alu instid0(VALU_DEP_1) | instskip(NEXT) | instid1(VALU_DEP_1)
	v_dual_cndmask_b32 v0, 0, v0, s13 :: v_dual_cndmask_b32 v2, v16, v2, vcc_lo
	v_cndmask_b32_e64 v0, v0, 0x78, vcc_lo
	s_delay_alu instid0(VALU_DEP_1) | instskip(NEXT) | instid1(VALU_DEP_1)
	v_dual_add_nc_u32 v16, 20, v0 :: v_dual_add_nc_u32 v18, 19, v0
	v_lshlrev_b64_e64 v[16:17], v16, -1
	s_delay_alu instid0(VALU_DEP_2) | instskip(NEXT) | instid1(VALU_DEP_2)
	v_lshlrev_b64_e64 v[18:19], v18, 1
	v_bfi_b32 v17, v17, 0, 0
	s_delay_alu instid0(VALU_DEP_3) | instskip(NEXT) | instid1(VALU_DEP_1)
	v_bfi_b32 v16, v16, 0, v2
	v_cmp_eq_u64_e64 s13, v[16:17], v[18:19]
	v_lshrrev_b64 v[16:17], v0, v[2:3]
	s_delay_alu instid0(VALU_DEP_1)
	v_mov_b64_e32 v[18:19], v[16:17]
	s_and_saveexec_b32 s76, s13
; %bb.1860:                             ;   in Loop: Header=BB6_356 Depth=4
	v_bfe_u32 v2, v16, 20, 1
	s_delay_alu instid0(VALU_DEP_1) | instskip(NEXT) | instid1(VALU_DEP_1)
	v_add_nc_u64_e32 v[18:19], v[16:17], v[2:3]
	v_add_nc_u64_e32 v[18:19], -1, v[18:19]
; %bb.1861:                             ;   in Loop: Header=BB6_356 Depth=4
	s_or_b32 exec_lo, exec_lo, s76
	v_add_nc_u32_e32 v2, 0xffffff81, v22
	v_lshrrev_b32_e32 v17, 23, v16
	s_mov_b32 s13, exec_lo
	s_delay_alu instid0(VALU_DEP_2) | instskip(NEXT) | instid1(VALU_DEP_1)
	v_cndmask_b32_e64 v2, v2, 0xffffff82, vcc_lo
	v_add3_u32 v19, v0, v2, v17
	v_and_b32_e32 v0, 0xfffff, v18
	s_delay_alu instid0(VALU_DEP_1) | instskip(NEXT) | instid1(VALU_DEP_1)
	v_dual_add_nc_u32 v18, 6, v19 :: v_dual_add_nc_u32 v2, v0, v16
                                        ; implicit-def: $vgpr16_vgpr17
                                        ; implicit-def: $vgpr0
	v_cmpx_ne_u32_e32 0, v18
	s_xor_b32 s13, exec_lo, s13
; %bb.1862:                             ;   in Loop: Header=BB6_356 Depth=4
	s_delay_alu instid0(VALU_DEP_2) | instskip(SKIP_2) | instid1(VALU_DEP_2)
	v_cmp_lt_u64_e32 vcc_lo, 0xffffff, v[2:3]
	v_add_nc_u32_e32 v0, 7, v19
	v_cndmask_b32_e64 v16, 0, 1, vcc_lo
	v_cndmask_b32_e32 v0, v18, v0, vcc_lo
	s_delay_alu instid0(VALU_DEP_2)
	v_lshrrev_b64 v[16:17], v16, v[2:3]
; %bb.1863:                             ;   in Loop: Header=BB6_356 Depth=4
	s_and_not1_saveexec_b32 s13, s13
; %bb.1864:                             ;   in Loop: Header=BB6_356 Depth=4
	v_mov_b64_e32 v[16:17], v[2:3]
	v_bfe_u32 v0, v2, 23, 1
; %bb.1865:                             ;   in Loop: Header=BB6_356 Depth=4
	s_or_b32 exec_lo, exec_lo, s13
	s_delay_alu instid0(VALU_DEP_2) | instskip(NEXT) | instid1(VALU_DEP_2)
	v_lshrrev_b64 v[16:17], 20, v[16:17]
	v_cmp_gt_i32_e32 vcc_lo, 16, v0
	v_min_i32_e32 v2, 15, v0
	v_cmp_eq_u32_e64 s13, 0, v0
	s_delay_alu instid0(VALU_DEP_2) | instskip(SKIP_1) | instid1(VALU_DEP_2)
	v_dual_cndmask_b32 v17, 0, v17 :: v_dual_lshlrev_b32 v2, 3, v2
	v_cndmask_b32_e32 v16, 7, v16, vcc_lo
	v_and_b32_e32 v2, 0xf8, v2
	s_delay_alu instid0(VALU_DEP_2) | instskip(NEXT) | instid1(VALU_DEP_2)
	v_cmp_eq_u64_e32 vcc_lo, 0, v[16:17]
	v_and_or_b32 v0, v16, 7, v2
	s_and_b32 s13, s13, vcc_lo
	s_delay_alu instid0(VALU_DEP_1) | instid1(SALU_CYCLE_1)
	v_cndmask_b32_e64 v0, v0, 0, s13
	s_delay_alu instid0(VALU_DEP_1)
	v_or_b32_e32 v22, v0, v23
.LBB6_1866:                             ;   in Loop: Header=BB6_356 Depth=4
	s_or_b32 exec_lo, exec_lo, s75
                                        ; implicit-def: $vgpr23
.LBB6_1867:                             ;   in Loop: Header=BB6_356 Depth=4
	s_and_not1_saveexec_b32 s13, s74
; %bb.1868:                             ;   in Loop: Header=BB6_356 Depth=4
	v_or_b32_e32 v22, 0x7e, v23
; %bb.1869:                             ;   in Loop: Header=BB6_356 Depth=4
	s_or_b32 exec_lo, exec_lo, s13
                                        ; implicit-def: $vgpr16
.LBB6_1870:                             ;   in Loop: Header=BB6_356 Depth=4
	s_and_not1_saveexec_b32 s13, s73
; %bb.1871:                             ;   in Loop: Header=BB6_356 Depth=4
	v_or_b32_e32 v22, 0x7f, v16
; %bb.1872:                             ;   in Loop: Header=BB6_356 Depth=4
	s_or_b32 exec_lo, exec_lo, s13
	v_lshrrev_b16 v0, 8, v12
	v_dual_mov_b32 v16, 0 :: v_dual_mov_b32 v17, 0
	s_mov_b32 s13, exec_lo
	s_delay_alu instid0(VALU_DEP_2)
	v_cmpx_ne_u16_e32 0, v0
	s_cbranch_execz .LBB6_1880
; %bb.1873:                             ;   in Loop: Header=BB6_356 Depth=4
	v_bfrev_b32_e32 v17, 1
	s_mov_b32 s73, exec_lo
	v_cmpx_ne_u16_e32 0x80, v0
	s_cbranch_execz .LBB6_1879
; %bb.1874:                             ;   in Loop: Header=BB6_356 Depth=4
	v_and_b32_e32 v0, 0xffff, v0
	v_mov_b32_e32 v17, 0x7f800001
	s_mov_b32 s74, exec_lo
	s_delay_alu instid0(VALU_DEP_2) | instskip(NEXT) | instid1(VALU_DEP_1)
	v_and_b32_e32 v18, 0x7f, v0
	v_cmpx_ne_u32_e32 0x7f, v18
	s_cbranch_execz .LBB6_1878
; %bb.1875:                             ;   in Loop: Header=BB6_356 Depth=4
	v_dual_lshrrev_b32 v0, 3, v18 :: v_dual_bitop2_b32 v2, 7, v0 bitop3:0x40
	s_mov_b32 s75, exec_lo
	v_cmpx_gt_u32_e32 8, v18
; %bb.1876:                             ;   in Loop: Header=BB6_356 Depth=4
	s_delay_alu instid0(VALU_DEP_2) | instskip(NEXT) | instid1(VALU_DEP_1)
	v_clz_i32_u32_e32 v0, v2
	v_min_u32_e32 v0, 32, v0
	s_delay_alu instid0(VALU_DEP_1) | instskip(NEXT) | instid1(VALU_DEP_1)
	v_subrev_nc_u32_e32 v17, 28, v0
	v_lshlrev_b64_e32 v[18:19], v17, v[2:3]
	s_delay_alu instid0(VALU_DEP_1)
	v_dual_sub_nc_u32 v0, 29, v0 :: v_dual_bitop2_b32 v2, 7, v18 bitop3:0x40
; %bb.1877:                             ;   in Loop: Header=BB6_356 Depth=4
	s_or_b32 exec_lo, exec_lo, s75
	s_delay_alu instid0(VALU_DEP_1) | instskip(NEXT) | instid1(VALU_DEP_2)
	v_dual_lshlrev_b32 v17, 16, v12 :: v_dual_lshlrev_b32 v2, 20, v2
	v_lshl_add_u32 v0, v0, 23, 0x3c000000
	s_delay_alu instid0(VALU_DEP_2) | instskip(NEXT) | instid1(VALU_DEP_1)
	v_and_b32_e32 v17, 0x80000000, v17
	v_or3_b32 v17, v2, v17, v0
.LBB6_1878:                             ;   in Loop: Header=BB6_356 Depth=4
	s_or_b32 exec_lo, exec_lo, s74
.LBB6_1879:                             ;   in Loop: Header=BB6_356 Depth=4
	s_delay_alu instid0(SALU_CYCLE_1)
	s_or_b32 exec_lo, exec_lo, s73
.LBB6_1880:                             ;   in Loop: Header=BB6_356 Depth=4
	s_delay_alu instid0(SALU_CYCLE_1) | instskip(SKIP_2) | instid1(VALU_DEP_1)
	s_or_b32 exec_lo, exec_lo, s13
	v_lshrrev_b16 v0, 8, v8
	s_mov_b32 s13, exec_lo
	v_cmpx_ne_u16_e32 0, v0
	s_cbranch_execz .LBB6_1888
; %bb.1881:                             ;   in Loop: Header=BB6_356 Depth=4
	v_bfrev_b32_e32 v16, 1
	s_mov_b32 s73, exec_lo
	v_cmpx_ne_u16_e32 0x80, v0
	s_cbranch_execz .LBB6_1887
; %bb.1882:                             ;   in Loop: Header=BB6_356 Depth=4
	v_and_b32_e32 v0, 0xffff, v0
	v_mov_b32_e32 v16, 0x7f800001
	s_mov_b32 s74, exec_lo
	s_delay_alu instid0(VALU_DEP_2) | instskip(NEXT) | instid1(VALU_DEP_1)
	v_and_b32_e32 v18, 0x7f, v0
	v_cmpx_ne_u32_e32 0x7f, v18
	s_cbranch_execz .LBB6_1886
; %bb.1883:                             ;   in Loop: Header=BB6_356 Depth=4
	v_dual_lshrrev_b32 v0, 3, v18 :: v_dual_bitop2_b32 v2, 7, v0 bitop3:0x40
	s_mov_b32 s75, exec_lo
	v_cmpx_gt_u32_e32 8, v18
; %bb.1884:                             ;   in Loop: Header=BB6_356 Depth=4
	s_delay_alu instid0(VALU_DEP_2) | instskip(NEXT) | instid1(VALU_DEP_1)
	v_clz_i32_u32_e32 v0, v2
	v_min_u32_e32 v0, 32, v0
	s_delay_alu instid0(VALU_DEP_1) | instskip(NEXT) | instid1(VALU_DEP_1)
	v_subrev_nc_u32_e32 v16, 28, v0
	v_lshlrev_b64_e32 v[18:19], v16, v[2:3]
	s_delay_alu instid0(VALU_DEP_1)
	v_dual_sub_nc_u32 v0, 29, v0 :: v_dual_bitop2_b32 v2, 7, v18 bitop3:0x40
; %bb.1885:                             ;   in Loop: Header=BB6_356 Depth=4
	s_or_b32 exec_lo, exec_lo, s75
	s_delay_alu instid0(VALU_DEP_1) | instskip(NEXT) | instid1(VALU_DEP_2)
	v_dual_lshlrev_b32 v16, 16, v8 :: v_dual_lshlrev_b32 v2, 20, v2
	v_lshl_add_u32 v0, v0, 23, 0x3c000000
	s_delay_alu instid0(VALU_DEP_2) | instskip(NEXT) | instid1(VALU_DEP_1)
	v_and_b32_e32 v16, 0x80000000, v16
	v_or3_b32 v16, v2, v16, v0
.LBB6_1886:                             ;   in Loop: Header=BB6_356 Depth=4
	s_or_b32 exec_lo, exec_lo, s74
.LBB6_1887:                             ;   in Loop: Header=BB6_356 Depth=4
	s_delay_alu instid0(SALU_CYCLE_1)
	s_or_b32 exec_lo, exec_lo, s73
.LBB6_1888:                             ;   in Loop: Header=BB6_356 Depth=4
	s_delay_alu instid0(SALU_CYCLE_1) | instskip(NEXT) | instid1(VALU_DEP_1)
	s_or_b32 exec_lo, exec_lo, s13
	v_add_f32_e32 v0, v17, v16
                                        ; implicit-def: $vgpr23
	s_mov_b32 s13, exec_lo
	s_delay_alu instid0(VALU_DEP_1) | instskip(SKIP_1) | instid1(VALU_DEP_2)
	v_and_b32_e32 v2, 0x7f800000, v0
	v_lshrrev_b32_e32 v16, 24, v0
	v_cmpx_ne_u64_e32 0x7f800000, v[2:3]
	s_xor_b32 s73, exec_lo, s13
	s_cbranch_execz .LBB6_1902
; %bb.1889:                             ;   in Loop: Header=BB6_356 Depth=4
	v_and_b32_e32 v2, 0x7fffffff, v0
	v_and_b32_e32 v66, 0x80, v16
                                        ; implicit-def: $vgpr23
	s_mov_b32 s13, exec_lo
	s_delay_alu instid0(VALU_DEP_2)
	v_cmpx_gt_u64_e32 0x43e00001, v[2:3]
	s_xor_b32 s74, exec_lo, s13
	s_cbranch_execz .LBB6_1899
; %bb.1890:                             ;   in Loop: Header=BB6_356 Depth=4
	v_mov_b32_e32 v23, 0
	s_mov_b32 s75, exec_lo
	v_cmpx_ne_u32_e32 0, v0
	s_cbranch_execz .LBB6_1898
; %bb.1891:                             ;   in Loop: Header=BB6_356 Depth=4
	v_bfe_u32 v23, v0, 23, 8
	v_and_b32_e32 v2, 0x7fffff, v0
	s_delay_alu instid0(VALU_DEP_2) | instskip(SKIP_2) | instid1(VALU_DEP_4)
	v_cmp_gt_u32_e64 s13, 0x7a, v23
	v_sub_nc_u32_e32 v0, 0x79, v23
	v_cmp_eq_u32_e32 vcc_lo, 0, v23
	v_or_b32_e32 v16, 0x800000, v2
	s_delay_alu instid0(VALU_DEP_1) | instskip(NEXT) | instid1(VALU_DEP_1)
	v_dual_cndmask_b32 v0, 0, v0, s13 :: v_dual_cndmask_b32 v2, v16, v2, vcc_lo
	v_cndmask_b32_e64 v0, v0, 0x78, vcc_lo
	s_delay_alu instid0(VALU_DEP_1) | instskip(NEXT) | instid1(VALU_DEP_1)
	v_dual_add_nc_u32 v16, 20, v0 :: v_dual_add_nc_u32 v18, 19, v0
	v_lshlrev_b64_e64 v[16:17], v16, -1
	s_delay_alu instid0(VALU_DEP_2) | instskip(NEXT) | instid1(VALU_DEP_2)
	v_lshlrev_b64_e64 v[18:19], v18, 1
	v_bfi_b32 v17, v17, 0, 0
	s_delay_alu instid0(VALU_DEP_3) | instskip(NEXT) | instid1(VALU_DEP_1)
	v_bfi_b32 v16, v16, 0, v2
	v_cmp_eq_u64_e64 s13, v[16:17], v[18:19]
	v_lshrrev_b64 v[16:17], v0, v[2:3]
	s_delay_alu instid0(VALU_DEP_1)
	v_mov_b64_e32 v[18:19], v[16:17]
	s_and_saveexec_b32 s76, s13
; %bb.1892:                             ;   in Loop: Header=BB6_356 Depth=4
	v_bfe_u32 v2, v16, 20, 1
	s_delay_alu instid0(VALU_DEP_1) | instskip(NEXT) | instid1(VALU_DEP_1)
	v_add_nc_u64_e32 v[18:19], v[16:17], v[2:3]
	v_add_nc_u64_e32 v[18:19], -1, v[18:19]
; %bb.1893:                             ;   in Loop: Header=BB6_356 Depth=4
	s_or_b32 exec_lo, exec_lo, s76
	v_add_nc_u32_e32 v2, 0xffffff81, v23
	v_lshrrev_b32_e32 v17, 23, v16
	s_mov_b32 s13, exec_lo
	s_delay_alu instid0(VALU_DEP_2) | instskip(NEXT) | instid1(VALU_DEP_1)
	v_cndmask_b32_e64 v2, v2, 0xffffff82, vcc_lo
	v_add3_u32 v19, v0, v2, v17
	v_and_b32_e32 v0, 0xfffff, v18
	s_delay_alu instid0(VALU_DEP_1) | instskip(NEXT) | instid1(VALU_DEP_1)
	v_dual_add_nc_u32 v18, 6, v19 :: v_dual_add_nc_u32 v2, v0, v16
                                        ; implicit-def: $vgpr16_vgpr17
                                        ; implicit-def: $vgpr0
	v_cmpx_ne_u32_e32 0, v18
	s_xor_b32 s13, exec_lo, s13
; %bb.1894:                             ;   in Loop: Header=BB6_356 Depth=4
	s_delay_alu instid0(VALU_DEP_2) | instskip(SKIP_2) | instid1(VALU_DEP_2)
	v_cmp_lt_u64_e32 vcc_lo, 0xffffff, v[2:3]
	v_add_nc_u32_e32 v0, 7, v19
	v_cndmask_b32_e64 v16, 0, 1, vcc_lo
	v_cndmask_b32_e32 v0, v18, v0, vcc_lo
	s_delay_alu instid0(VALU_DEP_2)
	v_lshrrev_b64 v[16:17], v16, v[2:3]
; %bb.1895:                             ;   in Loop: Header=BB6_356 Depth=4
	s_and_not1_saveexec_b32 s13, s13
; %bb.1896:                             ;   in Loop: Header=BB6_356 Depth=4
	v_mov_b64_e32 v[16:17], v[2:3]
	v_bfe_u32 v0, v2, 23, 1
; %bb.1897:                             ;   in Loop: Header=BB6_356 Depth=4
	s_or_b32 exec_lo, exec_lo, s13
	s_delay_alu instid0(VALU_DEP_2) | instskip(NEXT) | instid1(VALU_DEP_2)
	v_lshrrev_b64 v[16:17], 20, v[16:17]
	v_cmp_gt_i32_e32 vcc_lo, 16, v0
	v_min_i32_e32 v2, 15, v0
	v_cmp_eq_u32_e64 s13, 0, v0
	s_delay_alu instid0(VALU_DEP_2) | instskip(SKIP_1) | instid1(VALU_DEP_2)
	v_dual_cndmask_b32 v17, 0, v17 :: v_dual_lshlrev_b32 v2, 3, v2
	v_cndmask_b32_e32 v16, 7, v16, vcc_lo
	v_and_b32_e32 v2, 0xf8, v2
	s_delay_alu instid0(VALU_DEP_2) | instskip(NEXT) | instid1(VALU_DEP_2)
	v_cmp_eq_u64_e32 vcc_lo, 0, v[16:17]
	v_and_or_b32 v0, v16, 7, v2
	s_and_b32 s13, s13, vcc_lo
	s_delay_alu instid0(VALU_DEP_1) | instid1(SALU_CYCLE_1)
	v_cndmask_b32_e64 v0, v0, 0, s13
	s_delay_alu instid0(VALU_DEP_1)
	v_or_b32_e32 v23, v0, v66
.LBB6_1898:                             ;   in Loop: Header=BB6_356 Depth=4
	s_or_b32 exec_lo, exec_lo, s75
                                        ; implicit-def: $vgpr66
.LBB6_1899:                             ;   in Loop: Header=BB6_356 Depth=4
	s_and_not1_saveexec_b32 s13, s74
; %bb.1900:                             ;   in Loop: Header=BB6_356 Depth=4
	v_or_b32_e32 v23, 0x7e, v66
; %bb.1901:                             ;   in Loop: Header=BB6_356 Depth=4
	s_or_b32 exec_lo, exec_lo, s13
                                        ; implicit-def: $vgpr16
.LBB6_1902:                             ;   in Loop: Header=BB6_356 Depth=4
	s_and_not1_saveexec_b32 s13, s73
; %bb.1903:                             ;   in Loop: Header=BB6_356 Depth=4
	v_or_b32_e32 v23, 0x7f, v16
; %bb.1904:                             ;   in Loop: Header=BB6_356 Depth=4
	s_or_b32 exec_lo, exec_lo, s13
	v_dual_lshrrev_b32 v0, 16, v12 :: v_dual_mov_b32 v16, 0
	v_mov_b32_e32 v17, 0
	s_mov_b32 s13, exec_lo
	s_delay_alu instid0(VALU_DEP_2) | instskip(NEXT) | instid1(VALU_DEP_1)
	v_and_b32_e32 v2, 0xff, v0
	v_cmpx_ne_u16_e32 0, v2
	s_cbranch_execz .LBB6_1912
; %bb.1905:                             ;   in Loop: Header=BB6_356 Depth=4
	v_bfrev_b32_e32 v17, 1
	s_mov_b32 s73, exec_lo
	v_cmpx_ne_u16_e32 0x80, v2
	s_cbranch_execz .LBB6_1911
; %bb.1906:                             ;   in Loop: Header=BB6_356 Depth=4
	v_bfe_u32 v18, v12, 16, 7
	v_mov_b32_e32 v17, 0x7f800001
	s_mov_b32 s74, exec_lo
	s_delay_alu instid0(VALU_DEP_2)
	v_cmpx_ne_u32_e32 0x7f, v18
	s_cbranch_execz .LBB6_1910
; %bb.1907:                             ;   in Loop: Header=BB6_356 Depth=4
	v_dual_lshrrev_b32 v17, 3, v18 :: v_dual_bitop2_b32 v2, 7, v0 bitop3:0x40
	s_mov_b32 s75, exec_lo
	v_cmpx_gt_u32_e32 8, v18
; %bb.1908:                             ;   in Loop: Header=BB6_356 Depth=4
	s_delay_alu instid0(VALU_DEP_2) | instskip(NEXT) | instid1(VALU_DEP_1)
	v_clz_i32_u32_e32 v17, v2
	v_min_u32_e32 v17, 32, v17
	s_delay_alu instid0(VALU_DEP_1) | instskip(NEXT) | instid1(VALU_DEP_1)
	v_subrev_nc_u32_e32 v18, 28, v17
	v_lshlrev_b64_e32 v[18:19], v18, v[2:3]
	s_delay_alu instid0(VALU_DEP_1)
	v_dual_sub_nc_u32 v17, 29, v17 :: v_dual_bitop2_b32 v2, 7, v18 bitop3:0x40
; %bb.1909:                             ;   in Loop: Header=BB6_356 Depth=4
	s_or_b32 exec_lo, exec_lo, s75
	s_delay_alu instid0(VALU_DEP_1) | instskip(NEXT) | instid1(VALU_DEP_2)
	v_dual_lshlrev_b32 v0, 24, v0 :: v_dual_lshlrev_b32 v2, 20, v2
	v_lshl_add_u32 v17, v17, 23, 0x3c000000
	s_delay_alu instid0(VALU_DEP_2) | instskip(NEXT) | instid1(VALU_DEP_1)
	v_and_b32_e32 v0, 0x80000000, v0
	v_or3_b32 v17, v2, v0, v17
.LBB6_1910:                             ;   in Loop: Header=BB6_356 Depth=4
	s_or_b32 exec_lo, exec_lo, s74
.LBB6_1911:                             ;   in Loop: Header=BB6_356 Depth=4
	s_delay_alu instid0(SALU_CYCLE_1)
	s_or_b32 exec_lo, exec_lo, s73
.LBB6_1912:                             ;   in Loop: Header=BB6_356 Depth=4
	s_delay_alu instid0(SALU_CYCLE_1) | instskip(SKIP_2) | instid1(VALU_DEP_1)
	s_or_b32 exec_lo, exec_lo, s13
	v_lshrrev_b32_e32 v0, 16, v8
	s_mov_b32 s13, exec_lo
	v_and_b32_e32 v2, 0xff, v0
	s_delay_alu instid0(VALU_DEP_1)
	v_cmpx_ne_u16_e32 0, v2
	s_cbranch_execz .LBB6_1920
; %bb.1913:                             ;   in Loop: Header=BB6_356 Depth=4
	v_bfrev_b32_e32 v16, 1
	s_mov_b32 s73, exec_lo
	v_cmpx_ne_u16_e32 0x80, v2
	s_cbranch_execz .LBB6_1919
; %bb.1914:                             ;   in Loop: Header=BB6_356 Depth=4
	v_bfe_u32 v18, v8, 16, 7
	v_mov_b32_e32 v16, 0x7f800001
	s_mov_b32 s74, exec_lo
	s_delay_alu instid0(VALU_DEP_2)
	v_cmpx_ne_u32_e32 0x7f, v18
	s_cbranch_execz .LBB6_1918
; %bb.1915:                             ;   in Loop: Header=BB6_356 Depth=4
	v_dual_lshrrev_b32 v0, 3, v18 :: v_dual_bitop2_b32 v2, 7, v0 bitop3:0x40
	s_mov_b32 s75, exec_lo
	v_cmpx_gt_u32_e32 8, v18
; %bb.1916:                             ;   in Loop: Header=BB6_356 Depth=4
	s_delay_alu instid0(VALU_DEP_2) | instskip(NEXT) | instid1(VALU_DEP_1)
	v_clz_i32_u32_e32 v0, v2
	v_min_u32_e32 v0, 32, v0
	s_delay_alu instid0(VALU_DEP_1) | instskip(NEXT) | instid1(VALU_DEP_1)
	v_subrev_nc_u32_e32 v16, 28, v0
	v_lshlrev_b64_e32 v[18:19], v16, v[2:3]
	s_delay_alu instid0(VALU_DEP_1)
	v_dual_sub_nc_u32 v0, 29, v0 :: v_dual_bitop2_b32 v2, 7, v18 bitop3:0x40
; %bb.1917:                             ;   in Loop: Header=BB6_356 Depth=4
	s_or_b32 exec_lo, exec_lo, s75
	s_delay_alu instid0(VALU_DEP_1) | instskip(NEXT) | instid1(VALU_DEP_2)
	v_dual_lshlrev_b32 v16, 8, v8 :: v_dual_lshlrev_b32 v2, 20, v2
	v_lshl_add_u32 v0, v0, 23, 0x3c000000
	s_delay_alu instid0(VALU_DEP_2) | instskip(NEXT) | instid1(VALU_DEP_1)
	v_and_b32_e32 v16, 0x80000000, v16
	v_or3_b32 v16, v2, v16, v0
.LBB6_1918:                             ;   in Loop: Header=BB6_356 Depth=4
	s_or_b32 exec_lo, exec_lo, s74
.LBB6_1919:                             ;   in Loop: Header=BB6_356 Depth=4
	s_delay_alu instid0(SALU_CYCLE_1)
	s_or_b32 exec_lo, exec_lo, s73
.LBB6_1920:                             ;   in Loop: Header=BB6_356 Depth=4
	s_delay_alu instid0(SALU_CYCLE_1) | instskip(NEXT) | instid1(VALU_DEP_1)
	s_or_b32 exec_lo, exec_lo, s13
	v_add_f32_e32 v0, v17, v16
                                        ; implicit-def: $vgpr46
	s_mov_b32 s13, exec_lo
	s_delay_alu instid0(VALU_DEP_1) | instskip(SKIP_1) | instid1(VALU_DEP_2)
	v_and_b32_e32 v2, 0x7f800000, v0
	v_lshrrev_b32_e32 v16, 24, v0
	v_cmpx_ne_u64_e32 0x7f800000, v[2:3]
	s_xor_b32 s73, exec_lo, s13
	s_cbranch_execz .LBB6_1934
; %bb.1921:                             ;   in Loop: Header=BB6_356 Depth=4
	v_and_b32_e32 v2, 0x7fffffff, v0
	v_and_b32_e32 v66, 0x80, v16
                                        ; implicit-def: $vgpr46
	s_mov_b32 s13, exec_lo
	s_delay_alu instid0(VALU_DEP_2)
	v_cmpx_gt_u64_e32 0x43e00001, v[2:3]
	s_xor_b32 s74, exec_lo, s13
	s_cbranch_execz .LBB6_1931
; %bb.1922:                             ;   in Loop: Header=BB6_356 Depth=4
	v_mov_b32_e32 v46, 0
	s_mov_b32 s75, exec_lo
	v_cmpx_ne_u32_e32 0, v0
	s_cbranch_execz .LBB6_1930
; %bb.1923:                             ;   in Loop: Header=BB6_356 Depth=4
	v_bfe_u32 v67, v0, 23, 8
	v_and_b32_e32 v2, 0x7fffff, v0
	s_delay_alu instid0(VALU_DEP_2) | instskip(SKIP_2) | instid1(VALU_DEP_4)
	v_cmp_gt_u32_e64 s13, 0x7a, v67
	v_sub_nc_u32_e32 v0, 0x79, v67
	v_cmp_eq_u32_e32 vcc_lo, 0, v67
	v_or_b32_e32 v16, 0x800000, v2
	s_delay_alu instid0(VALU_DEP_1) | instskip(NEXT) | instid1(VALU_DEP_1)
	v_dual_cndmask_b32 v0, 0, v0, s13 :: v_dual_cndmask_b32 v2, v16, v2, vcc_lo
	v_cndmask_b32_e64 v0, v0, 0x78, vcc_lo
	s_delay_alu instid0(VALU_DEP_1) | instskip(NEXT) | instid1(VALU_DEP_1)
	v_dual_add_nc_u32 v16, 20, v0 :: v_dual_add_nc_u32 v18, 19, v0
	v_lshlrev_b64_e64 v[16:17], v16, -1
	s_delay_alu instid0(VALU_DEP_2) | instskip(NEXT) | instid1(VALU_DEP_2)
	v_lshlrev_b64_e64 v[18:19], v18, 1
	v_bfi_b32 v17, v17, 0, 0
	s_delay_alu instid0(VALU_DEP_3) | instskip(NEXT) | instid1(VALU_DEP_1)
	v_bfi_b32 v16, v16, 0, v2
	v_cmp_eq_u64_e64 s13, v[16:17], v[18:19]
	v_lshrrev_b64 v[16:17], v0, v[2:3]
	s_delay_alu instid0(VALU_DEP_1)
	v_mov_b64_e32 v[18:19], v[16:17]
	s_and_saveexec_b32 s76, s13
; %bb.1924:                             ;   in Loop: Header=BB6_356 Depth=4
	v_bfe_u32 v2, v16, 20, 1
	s_delay_alu instid0(VALU_DEP_1) | instskip(NEXT) | instid1(VALU_DEP_1)
	v_add_nc_u64_e32 v[18:19], v[16:17], v[2:3]
	v_add_nc_u64_e32 v[18:19], -1, v[18:19]
; %bb.1925:                             ;   in Loop: Header=BB6_356 Depth=4
	s_or_b32 exec_lo, exec_lo, s76
	v_add_nc_u32_e32 v2, 0xffffff81, v67
	v_lshrrev_b32_e32 v17, 23, v16
	s_mov_b32 s13, exec_lo
	s_delay_alu instid0(VALU_DEP_2) | instskip(NEXT) | instid1(VALU_DEP_1)
	v_cndmask_b32_e64 v2, v2, 0xffffff82, vcc_lo
	v_add3_u32 v19, v0, v2, v17
	v_and_b32_e32 v0, 0xfffff, v18
	s_delay_alu instid0(VALU_DEP_1) | instskip(NEXT) | instid1(VALU_DEP_1)
	v_dual_add_nc_u32 v18, 6, v19 :: v_dual_add_nc_u32 v2, v0, v16
                                        ; implicit-def: $vgpr16_vgpr17
                                        ; implicit-def: $vgpr0
	v_cmpx_ne_u32_e32 0, v18
	s_xor_b32 s13, exec_lo, s13
; %bb.1926:                             ;   in Loop: Header=BB6_356 Depth=4
	s_delay_alu instid0(VALU_DEP_2) | instskip(SKIP_2) | instid1(VALU_DEP_2)
	v_cmp_lt_u64_e32 vcc_lo, 0xffffff, v[2:3]
	v_add_nc_u32_e32 v0, 7, v19
	v_cndmask_b32_e64 v16, 0, 1, vcc_lo
	v_cndmask_b32_e32 v0, v18, v0, vcc_lo
	s_delay_alu instid0(VALU_DEP_2)
	v_lshrrev_b64 v[16:17], v16, v[2:3]
; %bb.1927:                             ;   in Loop: Header=BB6_356 Depth=4
	s_and_not1_saveexec_b32 s13, s13
; %bb.1928:                             ;   in Loop: Header=BB6_356 Depth=4
	v_mov_b64_e32 v[16:17], v[2:3]
	v_bfe_u32 v0, v2, 23, 1
; %bb.1929:                             ;   in Loop: Header=BB6_356 Depth=4
	s_or_b32 exec_lo, exec_lo, s13
	s_delay_alu instid0(VALU_DEP_2) | instskip(NEXT) | instid1(VALU_DEP_2)
	v_lshrrev_b64 v[16:17], 20, v[16:17]
	v_cmp_gt_i32_e32 vcc_lo, 16, v0
	v_min_i32_e32 v2, 15, v0
	v_cmp_eq_u32_e64 s13, 0, v0
	s_delay_alu instid0(VALU_DEP_2) | instskip(SKIP_1) | instid1(VALU_DEP_2)
	v_dual_cndmask_b32 v17, 0, v17 :: v_dual_lshlrev_b32 v2, 3, v2
	v_cndmask_b32_e32 v16, 7, v16, vcc_lo
	v_and_b32_e32 v2, 0xf8, v2
	s_delay_alu instid0(VALU_DEP_2) | instskip(NEXT) | instid1(VALU_DEP_2)
	v_cmp_eq_u64_e32 vcc_lo, 0, v[16:17]
	v_and_or_b32 v0, v16, 7, v2
	s_and_b32 s13, s13, vcc_lo
	s_delay_alu instid0(VALU_DEP_1) | instid1(SALU_CYCLE_1)
	v_cndmask_b32_e64 v0, v0, 0, s13
	s_delay_alu instid0(VALU_DEP_1)
	v_or_b32_e32 v46, v0, v66
.LBB6_1930:                             ;   in Loop: Header=BB6_356 Depth=4
	s_or_b32 exec_lo, exec_lo, s75
                                        ; implicit-def: $vgpr66
.LBB6_1931:                             ;   in Loop: Header=BB6_356 Depth=4
	s_and_not1_saveexec_b32 s13, s74
; %bb.1932:                             ;   in Loop: Header=BB6_356 Depth=4
	v_or_b32_e32 v46, 0x7e, v66
; %bb.1933:                             ;   in Loop: Header=BB6_356 Depth=4
	s_or_b32 exec_lo, exec_lo, s13
                                        ; implicit-def: $vgpr16
.LBB6_1934:                             ;   in Loop: Header=BB6_356 Depth=4
	s_and_not1_saveexec_b32 s13, s73
; %bb.1935:                             ;   in Loop: Header=BB6_356 Depth=4
	v_or_b32_e32 v46, 0x7f, v16
; %bb.1936:                             ;   in Loop: Header=BB6_356 Depth=4
	s_or_b32 exec_lo, exec_lo, s13
	v_dual_mov_b32 v16, 0 :: v_dual_mov_b32 v17, 0
	s_mov_b32 s13, exec_lo
	v_cmpx_lt_u32_e32 0xffffff, v12
	s_cbranch_execz .LBB6_1944
; %bb.1937:                             ;   in Loop: Header=BB6_356 Depth=4
	v_lshrrev_b32_e32 v0, 24, v12
	v_bfrev_b32_e32 v17, 1
	s_mov_b32 s73, exec_lo
	s_delay_alu instid0(VALU_DEP_2)
	v_cmpx_ne_u32_e32 0x80, v0
	s_cbranch_execz .LBB6_1943
; %bb.1938:                             ;   in Loop: Header=BB6_356 Depth=4
	v_bfe_u32 v18, v12, 24, 7
	v_mov_b32_e32 v17, 0x7f800001
	s_mov_b32 s74, exec_lo
	s_delay_alu instid0(VALU_DEP_2)
	v_cmpx_ne_u32_e32 0x7f, v18
	s_cbranch_execz .LBB6_1942
; %bb.1939:                             ;   in Loop: Header=BB6_356 Depth=4
	v_dual_lshrrev_b32 v17, 3, v18 :: v_dual_bitop2_b32 v2, 7, v0 bitop3:0x40
	s_mov_b32 s75, exec_lo
	v_cmpx_gt_u32_e32 8, v18
; %bb.1940:                             ;   in Loop: Header=BB6_356 Depth=4
	s_delay_alu instid0(VALU_DEP_2) | instskip(NEXT) | instid1(VALU_DEP_1)
	v_clz_i32_u32_e32 v17, v2
	v_min_u32_e32 v17, 32, v17
	s_delay_alu instid0(VALU_DEP_1) | instskip(NEXT) | instid1(VALU_DEP_1)
	v_subrev_nc_u32_e32 v18, 28, v17
	v_lshlrev_b64_e32 v[18:19], v18, v[2:3]
	s_delay_alu instid0(VALU_DEP_1)
	v_dual_sub_nc_u32 v17, 29, v17 :: v_dual_bitop2_b32 v2, 7, v18 bitop3:0x40
; %bb.1941:                             ;   in Loop: Header=BB6_356 Depth=4
	s_or_b32 exec_lo, exec_lo, s75
	s_delay_alu instid0(VALU_DEP_1) | instskip(NEXT) | instid1(VALU_DEP_2)
	v_dual_lshlrev_b32 v0, 24, v0 :: v_dual_lshlrev_b32 v2, 20, v2
	v_lshl_add_u32 v17, v17, 23, 0x3c000000
	s_delay_alu instid0(VALU_DEP_2) | instskip(NEXT) | instid1(VALU_DEP_1)
	v_and_b32_e32 v0, 0x80000000, v0
	v_or3_b32 v17, v2, v0, v17
.LBB6_1942:                             ;   in Loop: Header=BB6_356 Depth=4
	s_or_b32 exec_lo, exec_lo, s74
.LBB6_1943:                             ;   in Loop: Header=BB6_356 Depth=4
	s_delay_alu instid0(SALU_CYCLE_1)
	s_or_b32 exec_lo, exec_lo, s73
.LBB6_1944:                             ;   in Loop: Header=BB6_356 Depth=4
	s_delay_alu instid0(SALU_CYCLE_1) | instskip(NEXT) | instid1(SALU_CYCLE_1)
	s_or_b32 exec_lo, exec_lo, s13
	s_mov_b32 s13, exec_lo
	v_cmpx_lt_u32_e32 0xffffff, v8
	s_cbranch_execz .LBB6_1952
; %bb.1945:                             ;   in Loop: Header=BB6_356 Depth=4
	v_lshrrev_b32_e32 v0, 24, v8
	v_bfrev_b32_e32 v16, 1
	s_mov_b32 s73, exec_lo
	s_delay_alu instid0(VALU_DEP_2)
	v_cmpx_ne_u32_e32 0x80, v0
	s_cbranch_execz .LBB6_1951
; %bb.1946:                             ;   in Loop: Header=BB6_356 Depth=4
	v_bfe_u32 v18, v8, 24, 7
	v_mov_b32_e32 v16, 0x7f800001
	s_mov_b32 s74, exec_lo
	s_delay_alu instid0(VALU_DEP_2)
	v_cmpx_ne_u32_e32 0x7f, v18
	s_cbranch_execz .LBB6_1950
; %bb.1947:                             ;   in Loop: Header=BB6_356 Depth=4
	v_dual_lshrrev_b32 v16, 3, v18 :: v_dual_bitop2_b32 v2, 7, v0 bitop3:0x40
	s_mov_b32 s75, exec_lo
	v_cmpx_gt_u32_e32 8, v18
; %bb.1948:                             ;   in Loop: Header=BB6_356 Depth=4
	s_delay_alu instid0(VALU_DEP_2) | instskip(NEXT) | instid1(VALU_DEP_1)
	v_clz_i32_u32_e32 v16, v2
	v_min_u32_e32 v16, 32, v16
	s_delay_alu instid0(VALU_DEP_1) | instskip(NEXT) | instid1(VALU_DEP_1)
	v_subrev_nc_u32_e32 v18, 28, v16
	v_lshlrev_b64_e32 v[18:19], v18, v[2:3]
	s_delay_alu instid0(VALU_DEP_1)
	v_dual_sub_nc_u32 v16, 29, v16 :: v_dual_bitop2_b32 v2, 7, v18 bitop3:0x40
; %bb.1949:                             ;   in Loop: Header=BB6_356 Depth=4
	s_or_b32 exec_lo, exec_lo, s75
	s_delay_alu instid0(VALU_DEP_1) | instskip(NEXT) | instid1(VALU_DEP_2)
	v_dual_lshlrev_b32 v0, 24, v0 :: v_dual_lshlrev_b32 v2, 20, v2
	v_lshl_add_u32 v16, v16, 23, 0x3c000000
	s_delay_alu instid0(VALU_DEP_2) | instskip(NEXT) | instid1(VALU_DEP_1)
	v_and_b32_e32 v0, 0x80000000, v0
	v_or3_b32 v16, v2, v0, v16
.LBB6_1950:                             ;   in Loop: Header=BB6_356 Depth=4
	s_or_b32 exec_lo, exec_lo, s74
.LBB6_1951:                             ;   in Loop: Header=BB6_356 Depth=4
	s_delay_alu instid0(SALU_CYCLE_1)
	s_or_b32 exec_lo, exec_lo, s73
.LBB6_1952:                             ;   in Loop: Header=BB6_356 Depth=4
	s_delay_alu instid0(SALU_CYCLE_1) | instskip(NEXT) | instid1(VALU_DEP_1)
	s_or_b32 exec_lo, exec_lo, s13
	v_add_f32_e32 v0, v17, v16
                                        ; implicit-def: $vgpr47
	s_mov_b32 s13, exec_lo
	s_delay_alu instid0(VALU_DEP_1) | instskip(SKIP_1) | instid1(VALU_DEP_2)
	v_and_b32_e32 v2, 0x7f800000, v0
	v_lshrrev_b32_e32 v16, 24, v0
	v_cmpx_ne_u64_e32 0x7f800000, v[2:3]
	s_xor_b32 s73, exec_lo, s13
	s_cbranch_execz .LBB6_1966
; %bb.1953:                             ;   in Loop: Header=BB6_356 Depth=4
	v_and_b32_e32 v2, 0x7fffffff, v0
	v_and_b32_e32 v66, 0x80, v16
                                        ; implicit-def: $vgpr47
	s_mov_b32 s13, exec_lo
	s_delay_alu instid0(VALU_DEP_2)
	v_cmpx_gt_u64_e32 0x43e00001, v[2:3]
	s_xor_b32 s74, exec_lo, s13
	s_cbranch_execz .LBB6_1963
; %bb.1954:                             ;   in Loop: Header=BB6_356 Depth=4
	v_mov_b32_e32 v47, 0
	s_mov_b32 s75, exec_lo
	v_cmpx_ne_u32_e32 0, v0
	s_cbranch_execz .LBB6_1962
; %bb.1955:                             ;   in Loop: Header=BB6_356 Depth=4
	v_bfe_u32 v67, v0, 23, 8
	v_and_b32_e32 v2, 0x7fffff, v0
	s_delay_alu instid0(VALU_DEP_2) | instskip(SKIP_2) | instid1(VALU_DEP_4)
	v_cmp_gt_u32_e64 s13, 0x7a, v67
	v_sub_nc_u32_e32 v0, 0x79, v67
	v_cmp_eq_u32_e32 vcc_lo, 0, v67
	v_or_b32_e32 v16, 0x800000, v2
	s_delay_alu instid0(VALU_DEP_1) | instskip(NEXT) | instid1(VALU_DEP_1)
	v_dual_cndmask_b32 v0, 0, v0, s13 :: v_dual_cndmask_b32 v2, v16, v2, vcc_lo
	v_cndmask_b32_e64 v0, v0, 0x78, vcc_lo
	s_delay_alu instid0(VALU_DEP_1) | instskip(NEXT) | instid1(VALU_DEP_1)
	v_dual_add_nc_u32 v16, 20, v0 :: v_dual_add_nc_u32 v18, 19, v0
	v_lshlrev_b64_e64 v[16:17], v16, -1
	s_delay_alu instid0(VALU_DEP_2) | instskip(NEXT) | instid1(VALU_DEP_2)
	v_lshlrev_b64_e64 v[18:19], v18, 1
	v_bfi_b32 v17, v17, 0, 0
	s_delay_alu instid0(VALU_DEP_3) | instskip(NEXT) | instid1(VALU_DEP_1)
	v_bfi_b32 v16, v16, 0, v2
	v_cmp_eq_u64_e64 s13, v[16:17], v[18:19]
	v_lshrrev_b64 v[16:17], v0, v[2:3]
	s_delay_alu instid0(VALU_DEP_1)
	v_mov_b64_e32 v[18:19], v[16:17]
	s_and_saveexec_b32 s76, s13
; %bb.1956:                             ;   in Loop: Header=BB6_356 Depth=4
	v_bfe_u32 v2, v16, 20, 1
	s_delay_alu instid0(VALU_DEP_1) | instskip(NEXT) | instid1(VALU_DEP_1)
	v_add_nc_u64_e32 v[18:19], v[16:17], v[2:3]
	v_add_nc_u64_e32 v[18:19], -1, v[18:19]
; %bb.1957:                             ;   in Loop: Header=BB6_356 Depth=4
	s_or_b32 exec_lo, exec_lo, s76
	v_add_nc_u32_e32 v2, 0xffffff81, v67
	v_lshrrev_b32_e32 v17, 23, v16
	s_mov_b32 s13, exec_lo
	s_delay_alu instid0(VALU_DEP_2) | instskip(NEXT) | instid1(VALU_DEP_1)
	v_cndmask_b32_e64 v2, v2, 0xffffff82, vcc_lo
	v_add3_u32 v19, v0, v2, v17
	v_and_b32_e32 v0, 0xfffff, v18
	s_delay_alu instid0(VALU_DEP_1) | instskip(NEXT) | instid1(VALU_DEP_1)
	v_dual_add_nc_u32 v18, 6, v19 :: v_dual_add_nc_u32 v2, v0, v16
                                        ; implicit-def: $vgpr16_vgpr17
                                        ; implicit-def: $vgpr0
	v_cmpx_ne_u32_e32 0, v18
	s_xor_b32 s13, exec_lo, s13
; %bb.1958:                             ;   in Loop: Header=BB6_356 Depth=4
	s_delay_alu instid0(VALU_DEP_2) | instskip(SKIP_2) | instid1(VALU_DEP_2)
	v_cmp_lt_u64_e32 vcc_lo, 0xffffff, v[2:3]
	v_add_nc_u32_e32 v0, 7, v19
	v_cndmask_b32_e64 v16, 0, 1, vcc_lo
	v_cndmask_b32_e32 v0, v18, v0, vcc_lo
	s_delay_alu instid0(VALU_DEP_2)
	v_lshrrev_b64 v[16:17], v16, v[2:3]
; %bb.1959:                             ;   in Loop: Header=BB6_356 Depth=4
	s_and_not1_saveexec_b32 s13, s13
; %bb.1960:                             ;   in Loop: Header=BB6_356 Depth=4
	v_mov_b64_e32 v[16:17], v[2:3]
	v_bfe_u32 v0, v2, 23, 1
; %bb.1961:                             ;   in Loop: Header=BB6_356 Depth=4
	s_or_b32 exec_lo, exec_lo, s13
	s_delay_alu instid0(VALU_DEP_2) | instskip(NEXT) | instid1(VALU_DEP_2)
	v_lshrrev_b64 v[16:17], 20, v[16:17]
	v_cmp_gt_i32_e32 vcc_lo, 16, v0
	v_min_i32_e32 v2, 15, v0
	v_cmp_eq_u32_e64 s13, 0, v0
	s_delay_alu instid0(VALU_DEP_2) | instskip(SKIP_1) | instid1(VALU_DEP_2)
	v_dual_cndmask_b32 v17, 0, v17 :: v_dual_lshlrev_b32 v2, 3, v2
	v_cndmask_b32_e32 v16, 7, v16, vcc_lo
	v_and_b32_e32 v2, 0xf8, v2
	s_delay_alu instid0(VALU_DEP_2) | instskip(NEXT) | instid1(VALU_DEP_2)
	v_cmp_eq_u64_e32 vcc_lo, 0, v[16:17]
	v_and_or_b32 v0, v16, 7, v2
	s_and_b32 s13, s13, vcc_lo
	s_delay_alu instid0(VALU_DEP_1) | instid1(SALU_CYCLE_1)
	v_cndmask_b32_e64 v0, v0, 0, s13
	s_delay_alu instid0(VALU_DEP_1)
	v_or_b32_e32 v47, v0, v66
.LBB6_1962:                             ;   in Loop: Header=BB6_356 Depth=4
	s_or_b32 exec_lo, exec_lo, s75
                                        ; implicit-def: $vgpr66
.LBB6_1963:                             ;   in Loop: Header=BB6_356 Depth=4
	s_and_not1_saveexec_b32 s13, s74
; %bb.1964:                             ;   in Loop: Header=BB6_356 Depth=4
	v_or_b32_e32 v47, 0x7e, v66
; %bb.1965:                             ;   in Loop: Header=BB6_356 Depth=4
	s_or_b32 exec_lo, exec_lo, s13
                                        ; implicit-def: $vgpr16
.LBB6_1966:                             ;   in Loop: Header=BB6_356 Depth=4
	s_and_not1_saveexec_b32 s13, s73
; %bb.1967:                             ;   in Loop: Header=BB6_356 Depth=4
	v_or_b32_e32 v47, 0x7f, v16
; %bb.1968:                             ;   in Loop: Header=BB6_356 Depth=4
	s_or_b32 exec_lo, exec_lo, s13
	v_and_b32_e32 v0, 0xff, v13
	v_dual_mov_b32 v2, v13 :: v_dual_mov_b32 v16, 0
	v_mov_b32_e32 v17, 0
	s_mov_b32 s13, exec_lo
	s_delay_alu instid0(VALU_DEP_3)
	v_cmpx_ne_u16_e32 0, v0
	s_cbranch_execz .LBB6_1974
; %bb.1969:                             ;   in Loop: Header=BB6_356 Depth=4
	v_bfrev_b32_e32 v17, 1
	s_mov_b32 s73, exec_lo
	v_cmpx_ne_u16_e32 0x80, v0
	s_cbranch_execz .LBB6_1973
; %bb.1970:                             ;   in Loop: Header=BB6_356 Depth=4
	v_and_b32_e32 v0, 0x7f, v13
	v_mov_b32_e32 v17, 0x7f800001
	s_mov_b32 s74, exec_lo
	s_delay_alu instid0(VALU_DEP_2)
	v_cmpx_ne_u32_e32 0x7f, v0
	s_cbranch_execz .LBB6_1972
; %bb.1971:                             ;   in Loop: Header=BB6_356 Depth=4
	v_dual_lshrrev_b32 v18, 3, v0 :: v_dual_bitop2_b32 v17, 7, v13 bitop3:0x40
	v_cmp_gt_u32_e32 vcc_lo, 8, v0
	s_delay_alu instid0(VALU_DEP_2) | instskip(NEXT) | instid1(VALU_DEP_1)
	v_clz_i32_u32_e32 v0, v17
	v_min_u32_e32 v0, 32, v0
	s_delay_alu instid0(VALU_DEP_1) | instskip(NEXT) | instid1(VALU_DEP_1)
	v_subrev_nc_u32_e32 v17, 28, v0
	v_dual_cndmask_b32 v17, 0, v17 :: v_dual_sub_nc_u32 v0, 29, v0
	s_delay_alu instid0(VALU_DEP_1) | instskip(NEXT) | instid1(VALU_DEP_2)
	v_cndmask_b32_e32 v0, v18, v0, vcc_lo
	v_lshlrev_b64_e32 v[18:19], v17, v[2:3]
	s_delay_alu instid0(VALU_DEP_1) | instskip(SKIP_1) | instid1(VALU_DEP_4)
	v_lshlrev_b32_e32 v17, 20, v18
	v_lshlrev_b32_e32 v18, 24, v2
	v_lshl_add_u32 v0, v0, 23, 0x3c000000
	s_delay_alu instid0(VALU_DEP_3) | instskip(NEXT) | instid1(VALU_DEP_3)
	v_and_b32_e32 v17, 0x700000, v17
	v_and_b32_e32 v18, 0x80000000, v18
	s_delay_alu instid0(VALU_DEP_1)
	v_or3_b32 v17, v17, v18, v0
.LBB6_1972:                             ;   in Loop: Header=BB6_356 Depth=4
	s_or_b32 exec_lo, exec_lo, s74
.LBB6_1973:                             ;   in Loop: Header=BB6_356 Depth=4
	s_delay_alu instid0(SALU_CYCLE_1)
	s_or_b32 exec_lo, exec_lo, s73
.LBB6_1974:                             ;   in Loop: Header=BB6_356 Depth=4
	s_delay_alu instid0(SALU_CYCLE_1) | instskip(SKIP_2) | instid1(VALU_DEP_1)
	s_or_b32 exec_lo, exec_lo, s13
	v_and_b32_e32 v0, 0xff, v9
	s_mov_b32 s13, exec_lo
	v_cmpx_ne_u16_e32 0, v0
	s_cbranch_execz .LBB6_1980
; %bb.1975:                             ;   in Loop: Header=BB6_356 Depth=4
	v_bfrev_b32_e32 v16, 1
	s_mov_b32 s73, exec_lo
	v_cmpx_ne_u16_e32 0x80, v0
	s_cbranch_execz .LBB6_1979
; %bb.1976:                             ;   in Loop: Header=BB6_356 Depth=4
	v_and_b32_e32 v0, 0x7f, v9
	v_mov_b32_e32 v16, 0x7f800001
	s_mov_b32 s74, exec_lo
	s_delay_alu instid0(VALU_DEP_2)
	v_cmpx_ne_u32_e32 0x7f, v0
	s_cbranch_execz .LBB6_1978
; %bb.1977:                             ;   in Loop: Header=BB6_356 Depth=4
	v_dual_lshrrev_b32 v52, 3, v0 :: v_dual_bitop2_b32 v16, 7, v9 bitop3:0x40
	v_cmp_gt_u32_e32 vcc_lo, 8, v0
	v_mov_b32_e32 v18, v9
	s_delay_alu instid0(VALU_DEP_3) | instskip(NEXT) | instid1(VALU_DEP_1)
	v_clz_i32_u32_e32 v16, v16
	v_min_u32_e32 v16, 32, v16
	s_delay_alu instid0(VALU_DEP_1) | instskip(SKIP_1) | instid1(VALU_DEP_1)
	v_subrev_nc_u32_e32 v0, 28, v16
	v_dual_mov_b32 v19, v3 :: v_dual_sub_nc_u32 v66, 29, v16
	v_dual_cndmask_b32 v0, 0, v0, vcc_lo :: v_dual_cndmask_b32 v16, v52, v66, vcc_lo
	s_delay_alu instid0(VALU_DEP_1) | instskip(SKIP_1) | instid1(VALU_DEP_3)
	v_lshlrev_b64_e32 v[66:67], v0, v[18:19]
	v_lshlrev_b32_e32 v0, 24, v18
	v_lshl_add_u32 v16, v16, 23, 0x3c000000
	s_delay_alu instid0(VALU_DEP_2) | instskip(NEXT) | instid1(VALU_DEP_4)
	v_and_b32_e32 v0, 0x80000000, v0
	v_lshlrev_b32_e32 v18, 20, v66
	s_delay_alu instid0(VALU_DEP_1) | instskip(NEXT) | instid1(VALU_DEP_1)
	v_and_b32_e32 v18, 0x700000, v18
	v_or3_b32 v16, v18, v0, v16
.LBB6_1978:                             ;   in Loop: Header=BB6_356 Depth=4
	s_or_b32 exec_lo, exec_lo, s74
.LBB6_1979:                             ;   in Loop: Header=BB6_356 Depth=4
	s_delay_alu instid0(SALU_CYCLE_1)
	s_or_b32 exec_lo, exec_lo, s73
.LBB6_1980:                             ;   in Loop: Header=BB6_356 Depth=4
	s_delay_alu instid0(SALU_CYCLE_1) | instskip(NEXT) | instid1(VALU_DEP_1)
	s_or_b32 exec_lo, exec_lo, s13
	v_dual_add_f32 v0, v17, v16 :: v_dual_mov_b32 v17, v3
                                        ; implicit-def: $vgpr126
	s_delay_alu instid0(VALU_DEP_1) | instskip(NEXT) | instid1(VALU_DEP_1)
	v_and_b32_e32 v16, 0x7f800000, v0
	v_cmp_ne_u64_e32 vcc_lo, 0x7f800000, v[16:17]
	v_lshrrev_b32_e32 v16, 24, v0
	s_and_saveexec_b32 s13, vcc_lo
	s_delay_alu instid0(SALU_CYCLE_1)
	s_xor_b32 s73, exec_lo, s13
	s_cbranch_execz .LBB6_1994
; %bb.1981:                             ;   in Loop: Header=BB6_356 Depth=4
	v_and_b32_e32 v18, 0x7fffffff, v0
	v_mov_b32_e32 v19, v3
	v_and_b32_e32 v66, 0x80, v16
                                        ; implicit-def: $vgpr126
	s_mov_b32 s13, exec_lo
	s_delay_alu instid0(VALU_DEP_2)
	v_cmpx_gt_u64_e32 0x43e00001, v[18:19]
	s_xor_b32 s74, exec_lo, s13
	s_cbranch_execz .LBB6_1991
; %bb.1982:                             ;   in Loop: Header=BB6_356 Depth=4
	v_mov_b32_e32 v126, 0
	s_mov_b32 s75, exec_lo
	v_cmpx_ne_u32_e32 0, v0
	s_cbranch_execz .LBB6_1990
; %bb.1983:                             ;   in Loop: Header=BB6_356 Depth=4
	v_and_b32_e32 v16, 0x7fffff, v0
	v_bfe_u32 v67, v0, 23, 8
	s_delay_alu instid0(VALU_DEP_2) | instskip(NEXT) | instid1(VALU_DEP_2)
	v_or_b32_e32 v17, 0x800000, v16
	v_cmp_eq_u32_e32 vcc_lo, 0, v67
	v_cmp_gt_u32_e64 s13, 0x7a, v67
	v_sub_nc_u32_e32 v0, 0x79, v67
	s_delay_alu instid0(VALU_DEP_4) | instskip(NEXT) | instid1(VALU_DEP_2)
	v_dual_cndmask_b32 v16, v17, v16 :: v_dual_mov_b32 v17, v3
	v_cndmask_b32_e64 v0, 0, v0, s13
	s_delay_alu instid0(VALU_DEP_1) | instskip(NEXT) | instid1(VALU_DEP_1)
	v_cndmask_b32_e64 v0, v0, 0x78, vcc_lo
	v_dual_add_nc_u32 v18, 20, v0 :: v_dual_add_nc_u32 v52, 19, v0
	s_delay_alu instid0(VALU_DEP_1) | instskip(NEXT) | instid1(VALU_DEP_2)
	v_lshlrev_b64_e64 v[18:19], v18, -1
	v_lshlrev_b64_e64 v[42:43], v52, 1
	s_delay_alu instid0(VALU_DEP_2) | instskip(SKIP_1) | instid1(VALU_DEP_4)
	v_bfi_b32 v18, v18, 0, v16
	v_lshrrev_b64 v[16:17], v0, v[16:17]
	v_bfi_b32 v19, v19, 0, 0
	s_delay_alu instid0(VALU_DEP_1) | instskip(NEXT) | instid1(VALU_DEP_3)
	v_cmp_eq_u64_e64 s13, v[18:19], v[42:43]
	v_mov_b64_e32 v[18:19], v[16:17]
	s_and_saveexec_b32 s76, s13
; %bb.1984:                             ;   in Loop: Header=BB6_356 Depth=4
	v_bfe_u32 v18, v16, 20, 1
	v_mov_b32_e32 v19, v3
	s_delay_alu instid0(VALU_DEP_1) | instskip(NEXT) | instid1(VALU_DEP_1)
	v_add_nc_u64_e32 v[18:19], v[16:17], v[18:19]
	v_add_nc_u64_e32 v[18:19], -1, v[18:19]
; %bb.1985:                             ;   in Loop: Header=BB6_356 Depth=4
	s_or_b32 exec_lo, exec_lo, s76
	v_add_nc_u32_e32 v17, 0xffffff81, v67
	v_lshrrev_b32_e32 v19, 23, v16
	s_mov_b32 s13, exec_lo
	s_delay_alu instid0(VALU_DEP_2) | instskip(NEXT) | instid1(VALU_DEP_1)
	v_cndmask_b32_e64 v17, v17, 0xffffff82, vcc_lo
	v_add3_u32 v19, v0, v17, v19
	v_and_b32_e32 v0, 0xfffff, v18
	s_delay_alu instid0(VALU_DEP_2) | instskip(NEXT) | instid1(VALU_DEP_2)
	v_dual_mov_b32 v17, v3 :: v_dual_add_nc_u32 v18, 6, v19
	v_add_nc_u32_e32 v16, v0, v16
                                        ; implicit-def: $vgpr0
	s_delay_alu instid0(VALU_DEP_2)
	v_cmpx_ne_u32_e32 0, v18
	s_xor_b32 s13, exec_lo, s13
; %bb.1986:                             ;   in Loop: Header=BB6_356 Depth=4
	s_delay_alu instid0(VALU_DEP_2) | instskip(SKIP_1) | instid1(VALU_DEP_1)
	v_cmp_lt_u64_e32 vcc_lo, 0xffffff, v[16:17]
	v_add_nc_u32_e32 v0, 7, v19
	v_cndmask_b32_e32 v0, v18, v0, vcc_lo
	v_cndmask_b32_e64 v18, 0, 1, vcc_lo
	s_delay_alu instid0(VALU_DEP_1)
	v_lshrrev_b64 v[16:17], v18, v[16:17]
; %bb.1987:                             ;   in Loop: Header=BB6_356 Depth=4
	s_and_not1_saveexec_b32 s13, s13
; %bb.1988:                             ;   in Loop: Header=BB6_356 Depth=4
	s_delay_alu instid0(VALU_DEP_1)
	v_bfe_u32 v0, v16, 23, 1
; %bb.1989:                             ;   in Loop: Header=BB6_356 Depth=4
	s_or_b32 exec_lo, exec_lo, s13
	s_delay_alu instid0(VALU_DEP_2) | instskip(NEXT) | instid1(VALU_DEP_2)
	v_lshrrev_b64 v[16:17], 20, v[16:17]
	v_cmp_gt_i32_e32 vcc_lo, 16, v0
	v_min_i32_e32 v18, 15, v0
	v_cmp_eq_u32_e64 s13, 0, v0
	s_delay_alu instid0(VALU_DEP_2) | instskip(SKIP_1) | instid1(VALU_DEP_2)
	v_dual_cndmask_b32 v17, 0, v17 :: v_dual_lshlrev_b32 v18, 3, v18
	v_cndmask_b32_e32 v16, 7, v16, vcc_lo
	v_and_b32_e32 v18, 0xf8, v18
	s_delay_alu instid0(VALU_DEP_2) | instskip(NEXT) | instid1(VALU_DEP_2)
	v_cmp_eq_u64_e32 vcc_lo, 0, v[16:17]
	v_and_or_b32 v0, v16, 7, v18
	s_and_b32 s13, s13, vcc_lo
	s_delay_alu instid0(VALU_DEP_1) | instid1(SALU_CYCLE_1)
	v_cndmask_b32_e64 v0, v0, 0, s13
	s_delay_alu instid0(VALU_DEP_1)
	v_or_b32_e32 v126, v0, v66
.LBB6_1990:                             ;   in Loop: Header=BB6_356 Depth=4
	s_or_b32 exec_lo, exec_lo, s75
                                        ; implicit-def: $vgpr66
.LBB6_1991:                             ;   in Loop: Header=BB6_356 Depth=4
	s_and_not1_saveexec_b32 s13, s74
; %bb.1992:                             ;   in Loop: Header=BB6_356 Depth=4
	v_or_b32_e32 v126, 0x7e, v66
; %bb.1993:                             ;   in Loop: Header=BB6_356 Depth=4
	s_or_b32 exec_lo, exec_lo, s13
                                        ; implicit-def: $vgpr16
.LBB6_1994:                             ;   in Loop: Header=BB6_356 Depth=4
	s_and_not1_saveexec_b32 s13, s73
; %bb.1995:                             ;   in Loop: Header=BB6_356 Depth=4
	v_or_b32_e32 v126, 0x7f, v16
; %bb.1996:                             ;   in Loop: Header=BB6_356 Depth=4
	s_or_b32 exec_lo, exec_lo, s13
	v_lshrrev_b16 v0, 8, v2
	v_dual_mov_b32 v18, 0 :: v_dual_mov_b32 v16, 0
	s_mov_b32 s13, exec_lo
	s_delay_alu instid0(VALU_DEP_2)
	v_cmpx_ne_u16_e32 0, v0
	s_cbranch_execz .LBB6_2004
; %bb.1997:                             ;   in Loop: Header=BB6_356 Depth=4
	v_bfrev_b32_e32 v16, 1
	s_mov_b32 s73, exec_lo
	v_cmpx_ne_u16_e32 0x80, v0
	s_cbranch_execz .LBB6_2003
; %bb.1998:                             ;   in Loop: Header=BB6_356 Depth=4
	v_and_b32_e32 v0, 0xffff, v0
	v_mov_b32_e32 v16, 0x7f800001
	s_mov_b32 s74, exec_lo
	s_delay_alu instid0(VALU_DEP_2) | instskip(NEXT) | instid1(VALU_DEP_1)
	v_and_b32_e32 v19, 0x7f, v0
	v_cmpx_ne_u32_e32 0x7f, v19
	s_cbranch_execz .LBB6_2002
; %bb.1999:                             ;   in Loop: Header=BB6_356 Depth=4
	v_dual_mov_b32 v17, v3 :: v_dual_bitop2_b32 v16, 7, v0 bitop3:0x40
	v_lshrrev_b32_e32 v0, 3, v19
	s_mov_b32 s75, exec_lo
	v_cmpx_gt_u32_e32 8, v19
; %bb.2000:                             ;   in Loop: Header=BB6_356 Depth=4
	s_delay_alu instid0(VALU_DEP_3) | instskip(NEXT) | instid1(VALU_DEP_1)
	v_clz_i32_u32_e32 v0, v16
	v_min_u32_e32 v0, 32, v0
	s_delay_alu instid0(VALU_DEP_1) | instskip(SKIP_1) | instid1(VALU_DEP_2)
	v_subrev_nc_u32_e32 v19, 28, v0
	v_sub_nc_u32_e32 v0, 29, v0
	v_lshlrev_b64_e32 v[16:17], v19, v[16:17]
	s_delay_alu instid0(VALU_DEP_1)
	v_and_b32_e32 v16, 7, v16
; %bb.2001:                             ;   in Loop: Header=BB6_356 Depth=4
	s_or_b32 exec_lo, exec_lo, s75
	s_delay_alu instid0(VALU_DEP_1) | instskip(SKIP_1) | instid1(VALU_DEP_2)
	v_dual_lshlrev_b32 v2, 16, v2 :: v_dual_lshlrev_b32 v16, 20, v16
	v_lshl_add_u32 v0, v0, 23, 0x3c000000
	v_and_b32_e32 v2, 0x80000000, v2
	s_delay_alu instid0(VALU_DEP_1)
	v_or3_b32 v16, v16, v2, v0
.LBB6_2002:                             ;   in Loop: Header=BB6_356 Depth=4
	s_or_b32 exec_lo, exec_lo, s74
.LBB6_2003:                             ;   in Loop: Header=BB6_356 Depth=4
	s_delay_alu instid0(SALU_CYCLE_1)
	s_or_b32 exec_lo, exec_lo, s73
.LBB6_2004:                             ;   in Loop: Header=BB6_356 Depth=4
	s_delay_alu instid0(SALU_CYCLE_1) | instskip(SKIP_2) | instid1(VALU_DEP_1)
	s_or_b32 exec_lo, exec_lo, s13
	v_lshrrev_b16 v0, 8, v9
	s_mov_b32 s13, exec_lo
	v_cmpx_ne_u16_e32 0, v0
	s_cbranch_execz .LBB6_2012
; %bb.2005:                             ;   in Loop: Header=BB6_356 Depth=4
	v_bfrev_b32_e32 v18, 1
	s_mov_b32 s73, exec_lo
	v_cmpx_ne_u16_e32 0x80, v0
	s_cbranch_execz .LBB6_2011
; %bb.2006:                             ;   in Loop: Header=BB6_356 Depth=4
	v_and_b32_e32 v0, 0xffff, v0
	v_mov_b32_e32 v18, 0x7f800001
	s_mov_b32 s74, exec_lo
	s_delay_alu instid0(VALU_DEP_2) | instskip(NEXT) | instid1(VALU_DEP_1)
	v_and_b32_e32 v17, 0x7f, v0
	v_cmpx_ne_u32_e32 0x7f, v17
	s_cbranch_execz .LBB6_2010
; %bb.2007:                             ;   in Loop: Header=BB6_356 Depth=4
	v_dual_lshrrev_b32 v0, 3, v17 :: v_dual_bitop2_b32 v2, 7, v0 bitop3:0x40
	s_mov_b32 s75, exec_lo
	v_cmpx_gt_u32_e32 8, v17
; %bb.2008:                             ;   in Loop: Header=BB6_356 Depth=4
	s_delay_alu instid0(VALU_DEP_2) | instskip(NEXT) | instid1(VALU_DEP_1)
	v_clz_i32_u32_e32 v0, v2
	v_min_u32_e32 v0, 32, v0
	s_delay_alu instid0(VALU_DEP_1) | instskip(NEXT) | instid1(VALU_DEP_1)
	v_subrev_nc_u32_e32 v17, 28, v0
	v_lshlrev_b64_e32 v[18:19], v17, v[2:3]
	s_delay_alu instid0(VALU_DEP_1)
	v_dual_sub_nc_u32 v0, 29, v0 :: v_dual_bitop2_b32 v2, 7, v18 bitop3:0x40
; %bb.2009:                             ;   in Loop: Header=BB6_356 Depth=4
	s_or_b32 exec_lo, exec_lo, s75
	s_delay_alu instid0(VALU_DEP_1) | instskip(NEXT) | instid1(VALU_DEP_2)
	v_dual_lshlrev_b32 v17, 16, v9 :: v_dual_lshlrev_b32 v2, 20, v2
	v_lshl_add_u32 v0, v0, 23, 0x3c000000
	s_delay_alu instid0(VALU_DEP_2) | instskip(NEXT) | instid1(VALU_DEP_1)
	v_and_b32_e32 v17, 0x80000000, v17
	v_or3_b32 v18, v2, v17, v0
.LBB6_2010:                             ;   in Loop: Header=BB6_356 Depth=4
	s_or_b32 exec_lo, exec_lo, s74
.LBB6_2011:                             ;   in Loop: Header=BB6_356 Depth=4
	s_delay_alu instid0(SALU_CYCLE_1)
	s_or_b32 exec_lo, exec_lo, s73
.LBB6_2012:                             ;   in Loop: Header=BB6_356 Depth=4
	s_delay_alu instid0(SALU_CYCLE_1) | instskip(NEXT) | instid1(VALU_DEP_1)
	s_or_b32 exec_lo, exec_lo, s13
	v_add_f32_e32 v0, v16, v18
                                        ; implicit-def: $vgpr124
	s_mov_b32 s13, exec_lo
	s_delay_alu instid0(VALU_DEP_1) | instskip(SKIP_1) | instid1(VALU_DEP_2)
	v_and_b32_e32 v2, 0x7f800000, v0
	v_lshrrev_b32_e32 v16, 24, v0
	v_cmpx_ne_u64_e32 0x7f800000, v[2:3]
	s_xor_b32 s73, exec_lo, s13
	s_cbranch_execz .LBB6_2026
; %bb.2013:                             ;   in Loop: Header=BB6_356 Depth=4
	v_and_b32_e32 v2, 0x7fffffff, v0
	v_and_b32_e32 v66, 0x80, v16
                                        ; implicit-def: $vgpr124
	s_mov_b32 s13, exec_lo
	s_delay_alu instid0(VALU_DEP_2)
	v_cmpx_gt_u64_e32 0x43e00001, v[2:3]
	s_xor_b32 s74, exec_lo, s13
	s_cbranch_execz .LBB6_2023
; %bb.2014:                             ;   in Loop: Header=BB6_356 Depth=4
	v_mov_b32_e32 v124, 0
	s_mov_b32 s75, exec_lo
	v_cmpx_ne_u32_e32 0, v0
	s_cbranch_execz .LBB6_2022
; %bb.2015:                             ;   in Loop: Header=BB6_356 Depth=4
	v_bfe_u32 v67, v0, 23, 8
	v_and_b32_e32 v2, 0x7fffff, v0
	s_delay_alu instid0(VALU_DEP_2) | instskip(SKIP_2) | instid1(VALU_DEP_4)
	v_cmp_gt_u32_e64 s13, 0x7a, v67
	v_sub_nc_u32_e32 v0, 0x79, v67
	v_cmp_eq_u32_e32 vcc_lo, 0, v67
	v_or_b32_e32 v16, 0x800000, v2
	s_delay_alu instid0(VALU_DEP_1) | instskip(NEXT) | instid1(VALU_DEP_1)
	v_dual_cndmask_b32 v0, 0, v0, s13 :: v_dual_cndmask_b32 v2, v16, v2, vcc_lo
	v_cndmask_b32_e64 v0, v0, 0x78, vcc_lo
	s_delay_alu instid0(VALU_DEP_1) | instskip(NEXT) | instid1(VALU_DEP_1)
	v_dual_add_nc_u32 v16, 20, v0 :: v_dual_add_nc_u32 v18, 19, v0
	v_lshlrev_b64_e64 v[16:17], v16, -1
	s_delay_alu instid0(VALU_DEP_2) | instskip(NEXT) | instid1(VALU_DEP_2)
	v_lshlrev_b64_e64 v[18:19], v18, 1
	v_bfi_b32 v17, v17, 0, 0
	s_delay_alu instid0(VALU_DEP_3) | instskip(NEXT) | instid1(VALU_DEP_1)
	v_bfi_b32 v16, v16, 0, v2
	v_cmp_eq_u64_e64 s13, v[16:17], v[18:19]
	v_lshrrev_b64 v[16:17], v0, v[2:3]
	s_delay_alu instid0(VALU_DEP_1)
	v_mov_b64_e32 v[18:19], v[16:17]
	s_and_saveexec_b32 s76, s13
; %bb.2016:                             ;   in Loop: Header=BB6_356 Depth=4
	v_bfe_u32 v2, v16, 20, 1
	s_delay_alu instid0(VALU_DEP_1) | instskip(NEXT) | instid1(VALU_DEP_1)
	v_add_nc_u64_e32 v[18:19], v[16:17], v[2:3]
	v_add_nc_u64_e32 v[18:19], -1, v[18:19]
; %bb.2017:                             ;   in Loop: Header=BB6_356 Depth=4
	s_or_b32 exec_lo, exec_lo, s76
	v_add_nc_u32_e32 v2, 0xffffff81, v67
	v_lshrrev_b32_e32 v17, 23, v16
	s_mov_b32 s13, exec_lo
	s_delay_alu instid0(VALU_DEP_2) | instskip(NEXT) | instid1(VALU_DEP_1)
	v_cndmask_b32_e64 v2, v2, 0xffffff82, vcc_lo
	v_add3_u32 v19, v0, v2, v17
	v_and_b32_e32 v0, 0xfffff, v18
	s_delay_alu instid0(VALU_DEP_1) | instskip(NEXT) | instid1(VALU_DEP_1)
	v_dual_add_nc_u32 v18, 6, v19 :: v_dual_add_nc_u32 v2, v0, v16
                                        ; implicit-def: $vgpr16_vgpr17
                                        ; implicit-def: $vgpr0
	v_cmpx_ne_u32_e32 0, v18
	s_xor_b32 s13, exec_lo, s13
; %bb.2018:                             ;   in Loop: Header=BB6_356 Depth=4
	s_delay_alu instid0(VALU_DEP_2) | instskip(SKIP_2) | instid1(VALU_DEP_2)
	v_cmp_lt_u64_e32 vcc_lo, 0xffffff, v[2:3]
	v_add_nc_u32_e32 v0, 7, v19
	v_cndmask_b32_e64 v16, 0, 1, vcc_lo
	v_cndmask_b32_e32 v0, v18, v0, vcc_lo
	s_delay_alu instid0(VALU_DEP_2)
	v_lshrrev_b64 v[16:17], v16, v[2:3]
; %bb.2019:                             ;   in Loop: Header=BB6_356 Depth=4
	s_and_not1_saveexec_b32 s13, s13
; %bb.2020:                             ;   in Loop: Header=BB6_356 Depth=4
	v_mov_b64_e32 v[16:17], v[2:3]
	v_bfe_u32 v0, v2, 23, 1
; %bb.2021:                             ;   in Loop: Header=BB6_356 Depth=4
	s_or_b32 exec_lo, exec_lo, s13
	s_delay_alu instid0(VALU_DEP_2) | instskip(NEXT) | instid1(VALU_DEP_2)
	v_lshrrev_b64 v[16:17], 20, v[16:17]
	v_cmp_gt_i32_e32 vcc_lo, 16, v0
	v_min_i32_e32 v2, 15, v0
	v_cmp_eq_u32_e64 s13, 0, v0
	s_delay_alu instid0(VALU_DEP_2) | instskip(SKIP_1) | instid1(VALU_DEP_2)
	v_dual_cndmask_b32 v17, 0, v17 :: v_dual_lshlrev_b32 v2, 3, v2
	v_cndmask_b32_e32 v16, 7, v16, vcc_lo
	v_and_b32_e32 v2, 0xf8, v2
	s_delay_alu instid0(VALU_DEP_2) | instskip(NEXT) | instid1(VALU_DEP_2)
	v_cmp_eq_u64_e32 vcc_lo, 0, v[16:17]
	v_and_or_b32 v0, v16, 7, v2
	s_and_b32 s13, s13, vcc_lo
	s_delay_alu instid0(VALU_DEP_1) | instid1(SALU_CYCLE_1)
	v_cndmask_b32_e64 v0, v0, 0, s13
	s_delay_alu instid0(VALU_DEP_1)
	v_or_b32_e32 v124, v0, v66
.LBB6_2022:                             ;   in Loop: Header=BB6_356 Depth=4
	s_or_b32 exec_lo, exec_lo, s75
                                        ; implicit-def: $vgpr66
.LBB6_2023:                             ;   in Loop: Header=BB6_356 Depth=4
	s_and_not1_saveexec_b32 s13, s74
; %bb.2024:                             ;   in Loop: Header=BB6_356 Depth=4
	v_or_b32_e32 v124, 0x7e, v66
; %bb.2025:                             ;   in Loop: Header=BB6_356 Depth=4
	s_or_b32 exec_lo, exec_lo, s13
                                        ; implicit-def: $vgpr16
.LBB6_2026:                             ;   in Loop: Header=BB6_356 Depth=4
	s_and_not1_saveexec_b32 s13, s73
; %bb.2027:                             ;   in Loop: Header=BB6_356 Depth=4
	v_or_b32_e32 v124, 0x7f, v16
; %bb.2028:                             ;   in Loop: Header=BB6_356 Depth=4
	s_or_b32 exec_lo, exec_lo, s13
	v_dual_lshrrev_b32 v0, 16, v13 :: v_dual_mov_b32 v16, 0
	v_mov_b32_e32 v17, 0
	s_mov_b32 s13, exec_lo
	s_delay_alu instid0(VALU_DEP_2) | instskip(NEXT) | instid1(VALU_DEP_1)
	v_and_b32_e32 v2, 0xff, v0
	v_cmpx_ne_u16_e32 0, v2
	s_cbranch_execz .LBB6_2036
; %bb.2029:                             ;   in Loop: Header=BB6_356 Depth=4
	v_bfrev_b32_e32 v17, 1
	s_mov_b32 s73, exec_lo
	v_cmpx_ne_u16_e32 0x80, v2
	s_cbranch_execz .LBB6_2035
; %bb.2030:                             ;   in Loop: Header=BB6_356 Depth=4
	v_bfe_u32 v18, v13, 16, 7
	v_mov_b32_e32 v17, 0x7f800001
	s_mov_b32 s74, exec_lo
	s_delay_alu instid0(VALU_DEP_2)
	v_cmpx_ne_u32_e32 0x7f, v18
	s_cbranch_execz .LBB6_2034
; %bb.2031:                             ;   in Loop: Header=BB6_356 Depth=4
	v_dual_lshrrev_b32 v17, 3, v18 :: v_dual_bitop2_b32 v2, 7, v0 bitop3:0x40
	s_mov_b32 s75, exec_lo
	v_cmpx_gt_u32_e32 8, v18
; %bb.2032:                             ;   in Loop: Header=BB6_356 Depth=4
	s_delay_alu instid0(VALU_DEP_2) | instskip(NEXT) | instid1(VALU_DEP_1)
	v_clz_i32_u32_e32 v17, v2
	v_min_u32_e32 v17, 32, v17
	s_delay_alu instid0(VALU_DEP_1) | instskip(NEXT) | instid1(VALU_DEP_1)
	v_subrev_nc_u32_e32 v18, 28, v17
	v_lshlrev_b64_e32 v[18:19], v18, v[2:3]
	s_delay_alu instid0(VALU_DEP_1)
	v_dual_sub_nc_u32 v17, 29, v17 :: v_dual_bitop2_b32 v2, 7, v18 bitop3:0x40
; %bb.2033:                             ;   in Loop: Header=BB6_356 Depth=4
	s_or_b32 exec_lo, exec_lo, s75
	s_delay_alu instid0(VALU_DEP_1) | instskip(NEXT) | instid1(VALU_DEP_2)
	v_dual_lshlrev_b32 v0, 24, v0 :: v_dual_lshlrev_b32 v2, 20, v2
	v_lshl_add_u32 v17, v17, 23, 0x3c000000
	s_delay_alu instid0(VALU_DEP_2) | instskip(NEXT) | instid1(VALU_DEP_1)
	v_and_b32_e32 v0, 0x80000000, v0
	v_or3_b32 v17, v2, v0, v17
.LBB6_2034:                             ;   in Loop: Header=BB6_356 Depth=4
	s_or_b32 exec_lo, exec_lo, s74
.LBB6_2035:                             ;   in Loop: Header=BB6_356 Depth=4
	s_delay_alu instid0(SALU_CYCLE_1)
	s_or_b32 exec_lo, exec_lo, s73
.LBB6_2036:                             ;   in Loop: Header=BB6_356 Depth=4
	s_delay_alu instid0(SALU_CYCLE_1) | instskip(SKIP_2) | instid1(VALU_DEP_1)
	s_or_b32 exec_lo, exec_lo, s13
	v_lshrrev_b32_e32 v0, 16, v9
	s_mov_b32 s13, exec_lo
	v_and_b32_e32 v2, 0xff, v0
	s_delay_alu instid0(VALU_DEP_1)
	v_cmpx_ne_u16_e32 0, v2
	s_cbranch_execz .LBB6_2044
; %bb.2037:                             ;   in Loop: Header=BB6_356 Depth=4
	v_bfrev_b32_e32 v16, 1
	s_mov_b32 s73, exec_lo
	v_cmpx_ne_u16_e32 0x80, v2
	s_cbranch_execz .LBB6_2043
; %bb.2038:                             ;   in Loop: Header=BB6_356 Depth=4
	v_bfe_u32 v18, v9, 16, 7
	v_mov_b32_e32 v16, 0x7f800001
	s_mov_b32 s74, exec_lo
	s_delay_alu instid0(VALU_DEP_2)
	v_cmpx_ne_u32_e32 0x7f, v18
	s_cbranch_execz .LBB6_2042
; %bb.2039:                             ;   in Loop: Header=BB6_356 Depth=4
	v_dual_lshrrev_b32 v0, 3, v18 :: v_dual_bitop2_b32 v2, 7, v0 bitop3:0x40
	s_mov_b32 s75, exec_lo
	v_cmpx_gt_u32_e32 8, v18
; %bb.2040:                             ;   in Loop: Header=BB6_356 Depth=4
	s_delay_alu instid0(VALU_DEP_2) | instskip(NEXT) | instid1(VALU_DEP_1)
	v_clz_i32_u32_e32 v0, v2
	v_min_u32_e32 v0, 32, v0
	s_delay_alu instid0(VALU_DEP_1) | instskip(NEXT) | instid1(VALU_DEP_1)
	v_subrev_nc_u32_e32 v16, 28, v0
	v_lshlrev_b64_e32 v[18:19], v16, v[2:3]
	s_delay_alu instid0(VALU_DEP_1)
	v_dual_sub_nc_u32 v0, 29, v0 :: v_dual_bitop2_b32 v2, 7, v18 bitop3:0x40
; %bb.2041:                             ;   in Loop: Header=BB6_356 Depth=4
	s_or_b32 exec_lo, exec_lo, s75
	s_delay_alu instid0(VALU_DEP_1) | instskip(NEXT) | instid1(VALU_DEP_2)
	v_dual_lshlrev_b32 v16, 8, v9 :: v_dual_lshlrev_b32 v2, 20, v2
	v_lshl_add_u32 v0, v0, 23, 0x3c000000
	s_delay_alu instid0(VALU_DEP_2) | instskip(NEXT) | instid1(VALU_DEP_1)
	v_and_b32_e32 v16, 0x80000000, v16
	v_or3_b32 v16, v2, v16, v0
.LBB6_2042:                             ;   in Loop: Header=BB6_356 Depth=4
	s_or_b32 exec_lo, exec_lo, s74
.LBB6_2043:                             ;   in Loop: Header=BB6_356 Depth=4
	s_delay_alu instid0(SALU_CYCLE_1)
	s_or_b32 exec_lo, exec_lo, s73
.LBB6_2044:                             ;   in Loop: Header=BB6_356 Depth=4
	s_delay_alu instid0(SALU_CYCLE_1) | instskip(NEXT) | instid1(VALU_DEP_1)
	s_or_b32 exec_lo, exec_lo, s13
	v_add_f32_e32 v0, v17, v16
                                        ; implicit-def: $vgpr16
	s_mov_b32 s13, exec_lo
	s_delay_alu instid0(VALU_DEP_1) | instskip(SKIP_1) | instid1(VALU_DEP_2)
	v_and_b32_e32 v2, 0x7f800000, v0
	v_lshrrev_b32_e32 v17, 24, v0
	v_cmpx_ne_u64_e32 0x7f800000, v[2:3]
	s_xor_b32 s73, exec_lo, s13
	s_cbranch_execz .LBB6_2058
; %bb.2045:                             ;   in Loop: Header=BB6_356 Depth=4
	v_and_b32_e32 v2, 0x7fffffff, v0
	v_and_b32_e32 v66, 0x80, v17
                                        ; implicit-def: $vgpr16
	s_mov_b32 s13, exec_lo
	s_delay_alu instid0(VALU_DEP_2)
	v_cmpx_gt_u64_e32 0x43e00001, v[2:3]
	s_xor_b32 s74, exec_lo, s13
	s_cbranch_execz .LBB6_2055
; %bb.2046:                             ;   in Loop: Header=BB6_356 Depth=4
	v_mov_b32_e32 v16, 0
	s_mov_b32 s75, exec_lo
	v_cmpx_ne_u32_e32 0, v0
	s_cbranch_execz .LBB6_2054
; %bb.2047:                             ;   in Loop: Header=BB6_356 Depth=4
	v_bfe_u32 v67, v0, 23, 8
	v_and_b32_e32 v2, 0x7fffff, v0
	s_delay_alu instid0(VALU_DEP_2) | instskip(SKIP_2) | instid1(VALU_DEP_4)
	v_cmp_gt_u32_e64 s13, 0x7a, v67
	v_sub_nc_u32_e32 v0, 0x79, v67
	v_cmp_eq_u32_e32 vcc_lo, 0, v67
	v_or_b32_e32 v16, 0x800000, v2
	s_delay_alu instid0(VALU_DEP_1) | instskip(NEXT) | instid1(VALU_DEP_1)
	v_dual_cndmask_b32 v0, 0, v0, s13 :: v_dual_cndmask_b32 v2, v16, v2, vcc_lo
	v_cndmask_b32_e64 v0, v0, 0x78, vcc_lo
	s_delay_alu instid0(VALU_DEP_1) | instskip(NEXT) | instid1(VALU_DEP_1)
	v_dual_add_nc_u32 v16, 20, v0 :: v_dual_add_nc_u32 v18, 19, v0
	v_lshlrev_b64_e64 v[16:17], v16, -1
	s_delay_alu instid0(VALU_DEP_2) | instskip(NEXT) | instid1(VALU_DEP_2)
	v_lshlrev_b64_e64 v[18:19], v18, 1
	v_bfi_b32 v17, v17, 0, 0
	s_delay_alu instid0(VALU_DEP_3) | instskip(NEXT) | instid1(VALU_DEP_1)
	v_bfi_b32 v16, v16, 0, v2
	v_cmp_eq_u64_e64 s13, v[16:17], v[18:19]
	v_lshrrev_b64 v[16:17], v0, v[2:3]
	s_delay_alu instid0(VALU_DEP_1)
	v_mov_b64_e32 v[18:19], v[16:17]
	s_and_saveexec_b32 s76, s13
; %bb.2048:                             ;   in Loop: Header=BB6_356 Depth=4
	v_bfe_u32 v2, v16, 20, 1
	s_delay_alu instid0(VALU_DEP_1) | instskip(NEXT) | instid1(VALU_DEP_1)
	v_add_nc_u64_e32 v[18:19], v[16:17], v[2:3]
	v_add_nc_u64_e32 v[18:19], -1, v[18:19]
; %bb.2049:                             ;   in Loop: Header=BB6_356 Depth=4
	s_or_b32 exec_lo, exec_lo, s76
	v_add_nc_u32_e32 v2, 0xffffff81, v67
	v_lshrrev_b32_e32 v17, 23, v16
	s_mov_b32 s13, exec_lo
	s_delay_alu instid0(VALU_DEP_2) | instskip(NEXT) | instid1(VALU_DEP_1)
	v_cndmask_b32_e64 v2, v2, 0xffffff82, vcc_lo
	v_add3_u32 v19, v0, v2, v17
	v_and_b32_e32 v0, 0xfffff, v18
	s_delay_alu instid0(VALU_DEP_1) | instskip(NEXT) | instid1(VALU_DEP_1)
	v_dual_add_nc_u32 v18, 6, v19 :: v_dual_add_nc_u32 v2, v0, v16
                                        ; implicit-def: $vgpr16_vgpr17
                                        ; implicit-def: $vgpr0
	v_cmpx_ne_u32_e32 0, v18
	s_xor_b32 s13, exec_lo, s13
; %bb.2050:                             ;   in Loop: Header=BB6_356 Depth=4
	s_delay_alu instid0(VALU_DEP_2) | instskip(SKIP_2) | instid1(VALU_DEP_2)
	v_cmp_lt_u64_e32 vcc_lo, 0xffffff, v[2:3]
	v_add_nc_u32_e32 v0, 7, v19
	v_cndmask_b32_e64 v16, 0, 1, vcc_lo
	v_cndmask_b32_e32 v0, v18, v0, vcc_lo
	s_delay_alu instid0(VALU_DEP_2)
	v_lshrrev_b64 v[16:17], v16, v[2:3]
; %bb.2051:                             ;   in Loop: Header=BB6_356 Depth=4
	s_and_not1_saveexec_b32 s13, s13
; %bb.2052:                             ;   in Loop: Header=BB6_356 Depth=4
	v_mov_b64_e32 v[16:17], v[2:3]
	v_bfe_u32 v0, v2, 23, 1
; %bb.2053:                             ;   in Loop: Header=BB6_356 Depth=4
	s_or_b32 exec_lo, exec_lo, s13
	s_delay_alu instid0(VALU_DEP_2) | instskip(NEXT) | instid1(VALU_DEP_2)
	v_lshrrev_b64 v[16:17], 20, v[16:17]
	v_cmp_gt_i32_e32 vcc_lo, 16, v0
	v_min_i32_e32 v2, 15, v0
	v_cmp_eq_u32_e64 s13, 0, v0
	s_delay_alu instid0(VALU_DEP_2) | instskip(SKIP_1) | instid1(VALU_DEP_2)
	v_dual_cndmask_b32 v17, 0, v17 :: v_dual_lshlrev_b32 v2, 3, v2
	v_cndmask_b32_e32 v16, 7, v16, vcc_lo
	v_and_b32_e32 v2, 0xf8, v2
	s_delay_alu instid0(VALU_DEP_2) | instskip(NEXT) | instid1(VALU_DEP_2)
	v_cmp_eq_u64_e32 vcc_lo, 0, v[16:17]
	v_and_or_b32 v0, v16, 7, v2
	s_and_b32 s13, s13, vcc_lo
	s_delay_alu instid0(VALU_DEP_1) | instid1(SALU_CYCLE_1)
	v_cndmask_b32_e64 v0, v0, 0, s13
	s_delay_alu instid0(VALU_DEP_1)
	v_or_b32_e32 v16, v0, v66
.LBB6_2054:                             ;   in Loop: Header=BB6_356 Depth=4
	s_or_b32 exec_lo, exec_lo, s75
                                        ; implicit-def: $vgpr66
.LBB6_2055:                             ;   in Loop: Header=BB6_356 Depth=4
	s_and_not1_saveexec_b32 s13, s74
; %bb.2056:                             ;   in Loop: Header=BB6_356 Depth=4
	v_or_b32_e32 v16, 0x7e, v66
; %bb.2057:                             ;   in Loop: Header=BB6_356 Depth=4
	s_or_b32 exec_lo, exec_lo, s13
                                        ; implicit-def: $vgpr17
.LBB6_2058:                             ;   in Loop: Header=BB6_356 Depth=4
	s_and_not1_saveexec_b32 s13, s73
; %bb.2059:                             ;   in Loop: Header=BB6_356 Depth=4
	v_or_b32_e32 v16, 0x7f, v17
; %bb.2060:                             ;   in Loop: Header=BB6_356 Depth=4
	s_or_b32 exec_lo, exec_lo, s13
	v_cmp_lt_u64_e32 vcc_lo, s[22:23], v[12:13]
	v_dual_mov_b32 v12, 0 :: v_dual_mov_b32 v17, 0
	s_and_saveexec_b32 s13, vcc_lo
	s_cbranch_execz .LBB6_2068
; %bb.2061:                             ;   in Loop: Header=BB6_356 Depth=4
	v_lshrrev_b32_e32 v0, 24, v13
	v_bfrev_b32_e32 v17, 1
	s_mov_b32 s73, exec_lo
	s_delay_alu instid0(VALU_DEP_2)
	v_cmpx_ne_u32_e32 0x80, v0
	s_cbranch_execz .LBB6_2067
; %bb.2062:                             ;   in Loop: Header=BB6_356 Depth=4
	v_bfe_u32 v18, v13, 24, 7
	v_mov_b32_e32 v17, 0x7f800001
	s_mov_b32 s74, exec_lo
	s_delay_alu instid0(VALU_DEP_2)
	v_cmpx_ne_u32_e32 0x7f, v18
	s_cbranch_execz .LBB6_2066
; %bb.2063:                             ;   in Loop: Header=BB6_356 Depth=4
	v_dual_lshrrev_b32 v13, 3, v18 :: v_dual_bitop2_b32 v2, 7, v0 bitop3:0x40
	s_mov_b32 s75, exec_lo
	v_cmpx_gt_u32_e32 8, v18
; %bb.2064:                             ;   in Loop: Header=BB6_356 Depth=4
	s_delay_alu instid0(VALU_DEP_2) | instskip(NEXT) | instid1(VALU_DEP_1)
	v_clz_i32_u32_e32 v13, v2
	v_min_u32_e32 v13, 32, v13
	s_delay_alu instid0(VALU_DEP_1) | instskip(NEXT) | instid1(VALU_DEP_1)
	v_subrev_nc_u32_e32 v17, 28, v13
	v_lshlrev_b64_e32 v[18:19], v17, v[2:3]
	s_delay_alu instid0(VALU_DEP_1)
	v_dual_sub_nc_u32 v13, 29, v13 :: v_dual_bitop2_b32 v2, 7, v18 bitop3:0x40
; %bb.2065:                             ;   in Loop: Header=BB6_356 Depth=4
	s_or_b32 exec_lo, exec_lo, s75
	s_delay_alu instid0(VALU_DEP_1) | instskip(NEXT) | instid1(VALU_DEP_2)
	v_dual_lshlrev_b32 v0, 24, v0 :: v_dual_lshlrev_b32 v2, 20, v2
	v_lshl_add_u32 v13, v13, 23, 0x3c000000
	s_delay_alu instid0(VALU_DEP_2) | instskip(NEXT) | instid1(VALU_DEP_1)
	v_and_b32_e32 v0, 0x80000000, v0
	v_or3_b32 v17, v2, v0, v13
.LBB6_2066:                             ;   in Loop: Header=BB6_356 Depth=4
	s_or_b32 exec_lo, exec_lo, s74
.LBB6_2067:                             ;   in Loop: Header=BB6_356 Depth=4
	s_delay_alu instid0(SALU_CYCLE_1)
	s_or_b32 exec_lo, exec_lo, s73
.LBB6_2068:                             ;   in Loop: Header=BB6_356 Depth=4
	s_delay_alu instid0(SALU_CYCLE_1) | instskip(NEXT) | instid1(SALU_CYCLE_1)
	s_or_b32 exec_lo, exec_lo, s13
	s_mov_b32 s13, exec_lo
	v_cmpx_lt_u64_e64 s[22:23], v[8:9]
	s_cbranch_execz .LBB6_2076
; %bb.2069:                             ;   in Loop: Header=BB6_356 Depth=4
	v_lshrrev_b32_e32 v0, 24, v9
	v_bfrev_b32_e32 v12, 1
	s_mov_b32 s73, exec_lo
	s_delay_alu instid0(VALU_DEP_2)
	v_cmpx_ne_u32_e32 0x80, v0
	s_cbranch_execz .LBB6_2075
; %bb.2070:                             ;   in Loop: Header=BB6_356 Depth=4
	v_bfe_u32 v9, v9, 24, 7
	v_mov_b32_e32 v12, 0x7f800001
	s_mov_b32 s74, exec_lo
	s_delay_alu instid0(VALU_DEP_2)
	v_cmpx_ne_u32_e32 0x7f, v9
	s_cbranch_execz .LBB6_2074
; %bb.2071:                             ;   in Loop: Header=BB6_356 Depth=4
	v_dual_lshrrev_b32 v8, 3, v9 :: v_dual_bitop2_b32 v2, 7, v0 bitop3:0x40
	s_mov_b32 s75, exec_lo
	v_cmpx_gt_u32_e32 8, v9
; %bb.2072:                             ;   in Loop: Header=BB6_356 Depth=4
	s_delay_alu instid0(VALU_DEP_2) | instskip(NEXT) | instid1(VALU_DEP_1)
	v_clz_i32_u32_e32 v8, v2
	v_min_u32_e32 v8, 32, v8
	s_delay_alu instid0(VALU_DEP_1) | instskip(SKIP_1) | instid1(VALU_DEP_2)
	v_subrev_nc_u32_e32 v9, 28, v8
	v_sub_nc_u32_e32 v8, 29, v8
	v_lshlrev_b64_e32 v[12:13], v9, v[2:3]
	s_delay_alu instid0(VALU_DEP_1)
	v_and_b32_e32 v2, 7, v12
; %bb.2073:                             ;   in Loop: Header=BB6_356 Depth=4
	s_or_b32 exec_lo, exec_lo, s75
	s_delay_alu instid0(VALU_DEP_1) | instskip(SKIP_1) | instid1(VALU_DEP_2)
	v_dual_lshlrev_b32 v0, 24, v0 :: v_dual_lshlrev_b32 v2, 20, v2
	v_lshl_add_u32 v8, v8, 23, 0x3c000000
	v_and_b32_e32 v0, 0x80000000, v0
	s_delay_alu instid0(VALU_DEP_1)
	v_or3_b32 v12, v2, v0, v8
.LBB6_2074:                             ;   in Loop: Header=BB6_356 Depth=4
	s_or_b32 exec_lo, exec_lo, s74
.LBB6_2075:                             ;   in Loop: Header=BB6_356 Depth=4
	s_delay_alu instid0(SALU_CYCLE_1)
	s_or_b32 exec_lo, exec_lo, s73
.LBB6_2076:                             ;   in Loop: Header=BB6_356 Depth=4
	s_delay_alu instid0(SALU_CYCLE_1) | instskip(NEXT) | instid1(VALU_DEP_1)
	s_or_b32 exec_lo, exec_lo, s13
	v_add_f32_e32 v0, v17, v12
                                        ; implicit-def: $vgpr17
	s_mov_b32 s13, exec_lo
	s_delay_alu instid0(VALU_DEP_1) | instskip(SKIP_1) | instid1(VALU_DEP_2)
	v_and_b32_e32 v2, 0x7f800000, v0
	v_lshrrev_b32_e32 v8, 24, v0
	v_cmpx_ne_u64_e32 0x7f800000, v[2:3]
	s_xor_b32 s73, exec_lo, s13
	s_cbranch_execz .LBB6_2090
; %bb.2077:                             ;   in Loop: Header=BB6_356 Depth=4
	v_and_b32_e32 v2, 0x7fffffff, v0
	v_and_b32_e32 v18, 0x80, v8
                                        ; implicit-def: $vgpr17
	s_mov_b32 s13, exec_lo
	s_delay_alu instid0(VALU_DEP_2)
	v_cmpx_gt_u64_e32 0x43e00001, v[2:3]
	s_xor_b32 s74, exec_lo, s13
	s_cbranch_execz .LBB6_2087
; %bb.2078:                             ;   in Loop: Header=BB6_356 Depth=4
	v_mov_b32_e32 v17, 0
	s_mov_b32 s75, exec_lo
	v_cmpx_ne_u32_e32 0, v0
	s_cbranch_execz .LBB6_2086
; %bb.2079:                             ;   in Loop: Header=BB6_356 Depth=4
	v_bfe_u32 v17, v0, 23, 8
	v_and_b32_e32 v2, 0x7fffff, v0
	s_delay_alu instid0(VALU_DEP_2) | instskip(SKIP_2) | instid1(VALU_DEP_4)
	v_cmp_gt_u32_e64 s13, 0x7a, v17
	v_sub_nc_u32_e32 v0, 0x79, v17
	v_cmp_eq_u32_e32 vcc_lo, 0, v17
	v_or_b32_e32 v8, 0x800000, v2
	s_delay_alu instid0(VALU_DEP_1) | instskip(NEXT) | instid1(VALU_DEP_1)
	v_dual_cndmask_b32 v0, 0, v0, s13 :: v_dual_cndmask_b32 v2, v8, v2, vcc_lo
	v_cndmask_b32_e64 v0, v0, 0x78, vcc_lo
	s_delay_alu instid0(VALU_DEP_1) | instskip(NEXT) | instid1(VALU_DEP_1)
	v_dual_add_nc_u32 v8, 20, v0 :: v_dual_add_nc_u32 v12, 19, v0
	v_lshlrev_b64_e64 v[8:9], v8, -1
	s_delay_alu instid0(VALU_DEP_2) | instskip(NEXT) | instid1(VALU_DEP_2)
	v_lshlrev_b64_e64 v[12:13], v12, 1
	v_bfi_b32 v9, v9, 0, 0
	s_delay_alu instid0(VALU_DEP_3) | instskip(NEXT) | instid1(VALU_DEP_1)
	v_bfi_b32 v8, v8, 0, v2
	v_cmp_eq_u64_e64 s13, v[8:9], v[12:13]
	v_lshrrev_b64 v[8:9], v0, v[2:3]
	s_delay_alu instid0(VALU_DEP_1)
	v_mov_b64_e32 v[12:13], v[8:9]
	s_and_saveexec_b32 s76, s13
; %bb.2080:                             ;   in Loop: Header=BB6_356 Depth=4
	v_bfe_u32 v2, v8, 20, 1
	s_delay_alu instid0(VALU_DEP_1) | instskip(NEXT) | instid1(VALU_DEP_1)
	v_add_nc_u64_e32 v[12:13], v[8:9], v[2:3]
	v_add_nc_u64_e32 v[12:13], -1, v[12:13]
; %bb.2081:                             ;   in Loop: Header=BB6_356 Depth=4
	s_or_b32 exec_lo, exec_lo, s76
	v_add_nc_u32_e32 v2, 0xffffff81, v17
	v_lshrrev_b32_e32 v9, 23, v8
	s_mov_b32 s13, exec_lo
	s_delay_alu instid0(VALU_DEP_2) | instskip(NEXT) | instid1(VALU_DEP_1)
	v_cndmask_b32_e64 v2, v2, 0xffffff82, vcc_lo
	v_add3_u32 v13, v0, v2, v9
	v_and_b32_e32 v0, 0xfffff, v12
	s_delay_alu instid0(VALU_DEP_1) | instskip(NEXT) | instid1(VALU_DEP_1)
	v_dual_add_nc_u32 v12, 6, v13 :: v_dual_add_nc_u32 v2, v0, v8
                                        ; implicit-def: $vgpr8_vgpr9
                                        ; implicit-def: $vgpr0
	v_cmpx_ne_u32_e32 0, v12
	s_xor_b32 s13, exec_lo, s13
; %bb.2082:                             ;   in Loop: Header=BB6_356 Depth=4
	s_delay_alu instid0(VALU_DEP_2) | instskip(SKIP_2) | instid1(VALU_DEP_2)
	v_cmp_lt_u64_e32 vcc_lo, 0xffffff, v[2:3]
	v_add_nc_u32_e32 v0, 7, v13
	v_cndmask_b32_e64 v8, 0, 1, vcc_lo
	v_cndmask_b32_e32 v0, v12, v0, vcc_lo
	s_delay_alu instid0(VALU_DEP_2)
	v_lshrrev_b64 v[8:9], v8, v[2:3]
; %bb.2083:                             ;   in Loop: Header=BB6_356 Depth=4
	s_and_not1_saveexec_b32 s13, s13
; %bb.2084:                             ;   in Loop: Header=BB6_356 Depth=4
	v_mov_b64_e32 v[8:9], v[2:3]
	v_bfe_u32 v0, v2, 23, 1
; %bb.2085:                             ;   in Loop: Header=BB6_356 Depth=4
	s_or_b32 exec_lo, exec_lo, s13
	s_delay_alu instid0(VALU_DEP_2) | instskip(NEXT) | instid1(VALU_DEP_2)
	v_lshrrev_b64 v[8:9], 20, v[8:9]
	v_cmp_gt_i32_e32 vcc_lo, 16, v0
	v_min_i32_e32 v2, 15, v0
	v_cmp_eq_u32_e64 s13, 0, v0
	s_delay_alu instid0(VALU_DEP_2) | instskip(SKIP_1) | instid1(VALU_DEP_2)
	v_dual_cndmask_b32 v9, 0, v9 :: v_dual_lshlrev_b32 v2, 3, v2
	v_cndmask_b32_e32 v8, 7, v8, vcc_lo
	v_and_b32_e32 v2, 0xf8, v2
	s_delay_alu instid0(VALU_DEP_2) | instskip(NEXT) | instid1(VALU_DEP_2)
	v_cmp_eq_u64_e32 vcc_lo, 0, v[8:9]
	v_and_or_b32 v0, v8, 7, v2
	s_and_b32 s13, s13, vcc_lo
	s_delay_alu instid0(VALU_DEP_1) | instid1(SALU_CYCLE_1)
	v_cndmask_b32_e64 v0, v0, 0, s13
	s_delay_alu instid0(VALU_DEP_1)
	v_or_b32_e32 v17, v0, v18
.LBB6_2086:                             ;   in Loop: Header=BB6_356 Depth=4
	s_or_b32 exec_lo, exec_lo, s75
                                        ; implicit-def: $vgpr18
.LBB6_2087:                             ;   in Loop: Header=BB6_356 Depth=4
	s_and_not1_saveexec_b32 s13, s74
; %bb.2088:                             ;   in Loop: Header=BB6_356 Depth=4
	v_or_b32_e32 v17, 0x7e, v18
; %bb.2089:                             ;   in Loop: Header=BB6_356 Depth=4
	s_or_b32 exec_lo, exec_lo, s13
                                        ; implicit-def: $vgpr8
.LBB6_2090:                             ;   in Loop: Header=BB6_356 Depth=4
	s_and_not1_saveexec_b32 s13, s73
; %bb.2091:                             ;   in Loop: Header=BB6_356 Depth=4
	v_or_b32_e32 v17, 0x7f, v8
; %bb.2092:                             ;   in Loop: Header=BB6_356 Depth=4
	s_or_b32 exec_lo, exec_lo, s13
	v_and_b32_e32 v0, 0xff, v14
	v_dual_mov_b32 v2, 0 :: v_dual_mov_b32 v8, 0
	s_mov_b32 s13, exec_lo
	s_delay_alu instid0(VALU_DEP_2)
	v_cmpx_ne_u16_e32 0, v0
	s_cbranch_execz .LBB6_2098
; %bb.2093:                             ;   in Loop: Header=BB6_356 Depth=4
	v_bfrev_b32_e32 v8, 1
	s_mov_b32 s73, exec_lo
	v_cmpx_ne_u16_e32 0x80, v0
	s_cbranch_execz .LBB6_2097
; %bb.2094:                             ;   in Loop: Header=BB6_356 Depth=4
	v_and_b32_e32 v0, 0x7f, v14
	v_mov_b32_e32 v8, 0x7f800001
	s_mov_b32 s74, exec_lo
	s_delay_alu instid0(VALU_DEP_2)
	v_cmpx_ne_u32_e32 0x7f, v0
	s_cbranch_execz .LBB6_2096
; %bb.2095:                             ;   in Loop: Header=BB6_356 Depth=4
	v_dual_lshrrev_b32 v9, 3, v0 :: v_dual_bitop2_b32 v8, 7, v14 bitop3:0x40
	v_cmp_gt_u32_e32 vcc_lo, 8, v0
	s_delay_alu instid0(VALU_DEP_2) | instskip(NEXT) | instid1(VALU_DEP_1)
	v_clz_i32_u32_e32 v0, v8
	v_min_u32_e32 v0, 32, v0
	s_delay_alu instid0(VALU_DEP_1) | instskip(SKIP_1) | instid1(VALU_DEP_2)
	v_subrev_nc_u32_e32 v8, 28, v0
	v_sub_nc_u32_e32 v0, 29, v0
	v_cndmask_b32_e32 v8, 0, v8, vcc_lo
	s_delay_alu instid0(VALU_DEP_2) | instskip(NEXT) | instid1(VALU_DEP_2)
	v_cndmask_b32_e32 v0, v9, v0, vcc_lo
	v_lshlrev_b64_e32 v[8:9], v8, v[14:15]
	v_lshlrev_b32_e32 v9, 24, v14
	s_delay_alu instid0(VALU_DEP_3) | instskip(NEXT) | instid1(VALU_DEP_2)
	v_lshl_add_u32 v0, v0, 23, 0x3c000000
	v_and_b32_e32 v9, 0x80000000, v9
	s_delay_alu instid0(VALU_DEP_4) | instskip(NEXT) | instid1(VALU_DEP_1)
	v_lshlrev_b32_e32 v8, 20, v8
	v_and_b32_e32 v8, 0x700000, v8
	s_delay_alu instid0(VALU_DEP_1)
	v_or3_b32 v8, v8, v9, v0
.LBB6_2096:                             ;   in Loop: Header=BB6_356 Depth=4
	s_or_b32 exec_lo, exec_lo, s74
.LBB6_2097:                             ;   in Loop: Header=BB6_356 Depth=4
	s_delay_alu instid0(SALU_CYCLE_1)
	s_or_b32 exec_lo, exec_lo, s73
.LBB6_2098:                             ;   in Loop: Header=BB6_356 Depth=4
	s_delay_alu instid0(SALU_CYCLE_1) | instskip(SKIP_2) | instid1(VALU_DEP_1)
	s_or_b32 exec_lo, exec_lo, s13
	v_and_b32_e32 v0, 0xff, v10
	s_mov_b32 s13, exec_lo
	v_cmpx_ne_u16_e32 0, v0
	s_cbranch_execz .LBB6_2104
; %bb.2099:                             ;   in Loop: Header=BB6_356 Depth=4
	v_bfrev_b32_e32 v2, 1
	s_mov_b32 s73, exec_lo
	v_cmpx_ne_u16_e32 0x80, v0
	s_cbranch_execz .LBB6_2103
; %bb.2100:                             ;   in Loop: Header=BB6_356 Depth=4
	v_and_b32_e32 v0, 0x7f, v10
	v_mov_b32_e32 v2, 0x7f800001
	s_mov_b32 s74, exec_lo
	s_delay_alu instid0(VALU_DEP_2)
	v_cmpx_ne_u32_e32 0x7f, v0
	s_cbranch_execz .LBB6_2102
; %bb.2101:                             ;   in Loop: Header=BB6_356 Depth=4
	v_dual_lshrrev_b32 v9, 3, v0 :: v_dual_bitop2_b32 v2, 7, v10 bitop3:0x40
	v_cmp_gt_u32_e32 vcc_lo, 8, v0
	s_delay_alu instid0(VALU_DEP_2) | instskip(NEXT) | instid1(VALU_DEP_1)
	v_clz_i32_u32_e32 v0, v2
	v_min_u32_e32 v0, 32, v0
	s_delay_alu instid0(VALU_DEP_1) | instskip(NEXT) | instid1(VALU_DEP_1)
	v_subrev_nc_u32_e32 v2, 28, v0
	v_dual_sub_nc_u32 v0, 29, v0 :: v_dual_cndmask_b32 v2, 0, v2, vcc_lo
	s_delay_alu instid0(VALU_DEP_1) | instskip(NEXT) | instid1(VALU_DEP_2)
	v_dual_cndmask_b32 v0, v9, v0 :: v_dual_lshlrev_b32 v9, 24, v10
	v_lshlrev_b64_e32 v[12:13], v2, v[10:11]
	s_delay_alu instid0(VALU_DEP_2) | instskip(NEXT) | instid1(VALU_DEP_3)
	v_lshl_add_u32 v0, v0, 23, 0x3c000000
	v_and_b32_e32 v9, 0x80000000, v9
	s_delay_alu instid0(VALU_DEP_3) | instskip(NEXT) | instid1(VALU_DEP_1)
	v_lshlrev_b32_e32 v2, 20, v12
	v_and_b32_e32 v2, 0x700000, v2
	s_delay_alu instid0(VALU_DEP_1)
	v_or3_b32 v2, v2, v9, v0
.LBB6_2102:                             ;   in Loop: Header=BB6_356 Depth=4
	s_or_b32 exec_lo, exec_lo, s74
.LBB6_2103:                             ;   in Loop: Header=BB6_356 Depth=4
	s_delay_alu instid0(SALU_CYCLE_1)
	s_or_b32 exec_lo, exec_lo, s73
.LBB6_2104:                             ;   in Loop: Header=BB6_356 Depth=4
	s_delay_alu instid0(SALU_CYCLE_1) | instskip(NEXT) | instid1(VALU_DEP_1)
	s_or_b32 exec_lo, exec_lo, s13
	v_add_f32_e32 v0, v8, v2
                                        ; implicit-def: $vgpr18
	s_mov_b32 s13, exec_lo
	s_delay_alu instid0(VALU_DEP_1) | instskip(SKIP_1) | instid1(VALU_DEP_2)
	v_and_b32_e32 v2, 0x7f800000, v0
	v_lshrrev_b32_e32 v8, 24, v0
	v_cmpx_ne_u64_e32 0x7f800000, v[2:3]
	s_xor_b32 s73, exec_lo, s13
	s_cbranch_execz .LBB6_2118
; %bb.2105:                             ;   in Loop: Header=BB6_356 Depth=4
	v_and_b32_e32 v2, 0x7fffffff, v0
	v_and_b32_e32 v19, 0x80, v8
                                        ; implicit-def: $vgpr18
	s_mov_b32 s13, exec_lo
	s_delay_alu instid0(VALU_DEP_2)
	v_cmpx_gt_u64_e32 0x43e00001, v[2:3]
	s_xor_b32 s74, exec_lo, s13
	s_cbranch_execz .LBB6_2115
; %bb.2106:                             ;   in Loop: Header=BB6_356 Depth=4
	v_mov_b32_e32 v18, 0
	s_mov_b32 s75, exec_lo
	v_cmpx_ne_u32_e32 0, v0
	s_cbranch_execz .LBB6_2114
; %bb.2107:                             ;   in Loop: Header=BB6_356 Depth=4
	v_bfe_u32 v18, v0, 23, 8
	v_and_b32_e32 v2, 0x7fffff, v0
	s_delay_alu instid0(VALU_DEP_2) | instskip(SKIP_2) | instid1(VALU_DEP_4)
	v_cmp_gt_u32_e64 s13, 0x7a, v18
	v_sub_nc_u32_e32 v0, 0x79, v18
	v_cmp_eq_u32_e32 vcc_lo, 0, v18
	v_or_b32_e32 v8, 0x800000, v2
	s_delay_alu instid0(VALU_DEP_1) | instskip(NEXT) | instid1(VALU_DEP_1)
	v_dual_cndmask_b32 v0, 0, v0, s13 :: v_dual_cndmask_b32 v2, v8, v2, vcc_lo
	v_cndmask_b32_e64 v0, v0, 0x78, vcc_lo
	s_delay_alu instid0(VALU_DEP_1) | instskip(NEXT) | instid1(VALU_DEP_1)
	v_dual_add_nc_u32 v8, 20, v0 :: v_dual_add_nc_u32 v12, 19, v0
	v_lshlrev_b64_e64 v[8:9], v8, -1
	s_delay_alu instid0(VALU_DEP_2) | instskip(NEXT) | instid1(VALU_DEP_2)
	v_lshlrev_b64_e64 v[12:13], v12, 1
	v_bfi_b32 v9, v9, 0, 0
	s_delay_alu instid0(VALU_DEP_3) | instskip(NEXT) | instid1(VALU_DEP_1)
	v_bfi_b32 v8, v8, 0, v2
	v_cmp_eq_u64_e64 s13, v[8:9], v[12:13]
	v_lshrrev_b64 v[8:9], v0, v[2:3]
	s_delay_alu instid0(VALU_DEP_1)
	v_mov_b64_e32 v[12:13], v[8:9]
	s_and_saveexec_b32 s76, s13
; %bb.2108:                             ;   in Loop: Header=BB6_356 Depth=4
	v_bfe_u32 v2, v8, 20, 1
	s_delay_alu instid0(VALU_DEP_1) | instskip(NEXT) | instid1(VALU_DEP_1)
	v_add_nc_u64_e32 v[12:13], v[8:9], v[2:3]
	v_add_nc_u64_e32 v[12:13], -1, v[12:13]
; %bb.2109:                             ;   in Loop: Header=BB6_356 Depth=4
	s_or_b32 exec_lo, exec_lo, s76
	v_add_nc_u32_e32 v2, 0xffffff81, v18
	v_lshrrev_b32_e32 v9, 23, v8
	s_mov_b32 s13, exec_lo
	s_delay_alu instid0(VALU_DEP_2) | instskip(NEXT) | instid1(VALU_DEP_1)
	v_cndmask_b32_e64 v2, v2, 0xffffff82, vcc_lo
	v_add3_u32 v13, v0, v2, v9
	v_and_b32_e32 v0, 0xfffff, v12
	s_delay_alu instid0(VALU_DEP_1) | instskip(NEXT) | instid1(VALU_DEP_1)
	v_dual_add_nc_u32 v12, 6, v13 :: v_dual_add_nc_u32 v2, v0, v8
                                        ; implicit-def: $vgpr8_vgpr9
                                        ; implicit-def: $vgpr0
	v_cmpx_ne_u32_e32 0, v12
	s_xor_b32 s13, exec_lo, s13
; %bb.2110:                             ;   in Loop: Header=BB6_356 Depth=4
	s_delay_alu instid0(VALU_DEP_2) | instskip(SKIP_2) | instid1(VALU_DEP_2)
	v_cmp_lt_u64_e32 vcc_lo, 0xffffff, v[2:3]
	v_add_nc_u32_e32 v0, 7, v13
	v_cndmask_b32_e64 v8, 0, 1, vcc_lo
	v_cndmask_b32_e32 v0, v12, v0, vcc_lo
	s_delay_alu instid0(VALU_DEP_2)
	v_lshrrev_b64 v[8:9], v8, v[2:3]
; %bb.2111:                             ;   in Loop: Header=BB6_356 Depth=4
	s_and_not1_saveexec_b32 s13, s13
; %bb.2112:                             ;   in Loop: Header=BB6_356 Depth=4
	v_mov_b64_e32 v[8:9], v[2:3]
	v_bfe_u32 v0, v2, 23, 1
; %bb.2113:                             ;   in Loop: Header=BB6_356 Depth=4
	s_or_b32 exec_lo, exec_lo, s13
	s_delay_alu instid0(VALU_DEP_2) | instskip(NEXT) | instid1(VALU_DEP_2)
	v_lshrrev_b64 v[8:9], 20, v[8:9]
	v_cmp_gt_i32_e32 vcc_lo, 16, v0
	v_min_i32_e32 v2, 15, v0
	v_cmp_eq_u32_e64 s13, 0, v0
	s_delay_alu instid0(VALU_DEP_2) | instskip(SKIP_1) | instid1(VALU_DEP_2)
	v_dual_cndmask_b32 v9, 0, v9 :: v_dual_lshlrev_b32 v2, 3, v2
	v_cndmask_b32_e32 v8, 7, v8, vcc_lo
	v_and_b32_e32 v2, 0xf8, v2
	s_delay_alu instid0(VALU_DEP_2) | instskip(NEXT) | instid1(VALU_DEP_2)
	v_cmp_eq_u64_e32 vcc_lo, 0, v[8:9]
	v_and_or_b32 v0, v8, 7, v2
	s_and_b32 s13, s13, vcc_lo
	s_delay_alu instid0(VALU_DEP_1) | instid1(SALU_CYCLE_1)
	v_cndmask_b32_e64 v0, v0, 0, s13
	s_delay_alu instid0(VALU_DEP_1)
	v_or_b32_e32 v18, v0, v19
.LBB6_2114:                             ;   in Loop: Header=BB6_356 Depth=4
	s_or_b32 exec_lo, exec_lo, s75
                                        ; implicit-def: $vgpr19
.LBB6_2115:                             ;   in Loop: Header=BB6_356 Depth=4
	s_and_not1_saveexec_b32 s13, s74
; %bb.2116:                             ;   in Loop: Header=BB6_356 Depth=4
	v_or_b32_e32 v18, 0x7e, v19
; %bb.2117:                             ;   in Loop: Header=BB6_356 Depth=4
	s_or_b32 exec_lo, exec_lo, s13
                                        ; implicit-def: $vgpr8
.LBB6_2118:                             ;   in Loop: Header=BB6_356 Depth=4
	s_and_not1_saveexec_b32 s13, s73
; %bb.2119:                             ;   in Loop: Header=BB6_356 Depth=4
	v_or_b32_e32 v18, 0x7f, v8
; %bb.2120:                             ;   in Loop: Header=BB6_356 Depth=4
	s_or_b32 exec_lo, exec_lo, s13
	v_lshrrev_b16 v0, 8, v14
	v_dual_mov_b32 v8, 0 :: v_dual_mov_b32 v9, 0
	s_mov_b32 s13, exec_lo
	s_delay_alu instid0(VALU_DEP_2)
	v_cmpx_ne_u16_e32 0, v0
	s_cbranch_execz .LBB6_2128
; %bb.2121:                             ;   in Loop: Header=BB6_356 Depth=4
	v_bfrev_b32_e32 v9, 1
	s_mov_b32 s73, exec_lo
	v_cmpx_ne_u16_e32 0x80, v0
	s_cbranch_execz .LBB6_2127
; %bb.2122:                             ;   in Loop: Header=BB6_356 Depth=4
	v_and_b32_e32 v0, 0xffff, v0
	v_mov_b32_e32 v9, 0x7f800001
	s_mov_b32 s74, exec_lo
	s_delay_alu instid0(VALU_DEP_2) | instskip(NEXT) | instid1(VALU_DEP_1)
	v_and_b32_e32 v12, 0x7f, v0
	v_cmpx_ne_u32_e32 0x7f, v12
	s_cbranch_execz .LBB6_2126
; %bb.2123:                             ;   in Loop: Header=BB6_356 Depth=4
	v_and_b32_e32 v2, 7, v0
	v_lshrrev_b32_e32 v0, 3, v12
	s_mov_b32 s75, exec_lo
	v_cmpx_gt_u32_e32 8, v12
; %bb.2124:                             ;   in Loop: Header=BB6_356 Depth=4
	s_delay_alu instid0(VALU_DEP_3) | instskip(NEXT) | instid1(VALU_DEP_1)
	v_clz_i32_u32_e32 v0, v2
	v_min_u32_e32 v0, 32, v0
	s_delay_alu instid0(VALU_DEP_1) | instskip(SKIP_1) | instid1(VALU_DEP_2)
	v_subrev_nc_u32_e32 v9, 28, v0
	v_sub_nc_u32_e32 v0, 29, v0
	v_lshlrev_b64_e32 v[12:13], v9, v[2:3]
	s_delay_alu instid0(VALU_DEP_1)
	v_and_b32_e32 v2, 7, v12
; %bb.2125:                             ;   in Loop: Header=BB6_356 Depth=4
	s_or_b32 exec_lo, exec_lo, s75
	v_lshlrev_b32_e32 v9, 16, v14
	s_delay_alu instid0(VALU_DEP_2) | instskip(SKIP_1) | instid1(VALU_DEP_3)
	v_lshlrev_b32_e32 v2, 20, v2
	v_lshl_add_u32 v0, v0, 23, 0x3c000000
	v_and_b32_e32 v9, 0x80000000, v9
	s_delay_alu instid0(VALU_DEP_1)
	v_or3_b32 v9, v2, v9, v0
.LBB6_2126:                             ;   in Loop: Header=BB6_356 Depth=4
	s_or_b32 exec_lo, exec_lo, s74
.LBB6_2127:                             ;   in Loop: Header=BB6_356 Depth=4
	s_delay_alu instid0(SALU_CYCLE_1)
	s_or_b32 exec_lo, exec_lo, s73
.LBB6_2128:                             ;   in Loop: Header=BB6_356 Depth=4
	s_delay_alu instid0(SALU_CYCLE_1) | instskip(SKIP_2) | instid1(VALU_DEP_1)
	s_or_b32 exec_lo, exec_lo, s13
	v_lshrrev_b16 v0, 8, v10
	s_mov_b32 s13, exec_lo
	v_cmpx_ne_u16_e32 0, v0
	s_cbranch_execz .LBB6_2136
; %bb.2129:                             ;   in Loop: Header=BB6_356 Depth=4
	v_bfrev_b32_e32 v8, 1
	s_mov_b32 s73, exec_lo
	v_cmpx_ne_u16_e32 0x80, v0
	s_cbranch_execz .LBB6_2135
; %bb.2130:                             ;   in Loop: Header=BB6_356 Depth=4
	v_and_b32_e32 v0, 0xffff, v0
	v_mov_b32_e32 v8, 0x7f800001
	s_mov_b32 s74, exec_lo
	s_delay_alu instid0(VALU_DEP_2) | instskip(NEXT) | instid1(VALU_DEP_1)
	v_and_b32_e32 v12, 0x7f, v0
	v_cmpx_ne_u32_e32 0x7f, v12
	s_cbranch_execz .LBB6_2134
; %bb.2131:                             ;   in Loop: Header=BB6_356 Depth=4
	v_and_b32_e32 v2, 7, v0
	v_lshrrev_b32_e32 v0, 3, v12
	s_mov_b32 s75, exec_lo
	v_cmpx_gt_u32_e32 8, v12
; %bb.2132:                             ;   in Loop: Header=BB6_356 Depth=4
	s_delay_alu instid0(VALU_DEP_3) | instskip(NEXT) | instid1(VALU_DEP_1)
	v_clz_i32_u32_e32 v0, v2
	v_min_u32_e32 v0, 32, v0
	s_delay_alu instid0(VALU_DEP_1) | instskip(SKIP_1) | instid1(VALU_DEP_2)
	v_subrev_nc_u32_e32 v8, 28, v0
	v_sub_nc_u32_e32 v0, 29, v0
	v_lshlrev_b64_e32 v[12:13], v8, v[2:3]
	s_delay_alu instid0(VALU_DEP_1)
	v_and_b32_e32 v2, 7, v12
; %bb.2133:                             ;   in Loop: Header=BB6_356 Depth=4
	s_or_b32 exec_lo, exec_lo, s75
	v_lshlrev_b32_e32 v8, 16, v10
	s_delay_alu instid0(VALU_DEP_2) | instskip(SKIP_1) | instid1(VALU_DEP_3)
	v_lshlrev_b32_e32 v2, 20, v2
	v_lshl_add_u32 v0, v0, 23, 0x3c000000
	v_and_b32_e32 v8, 0x80000000, v8
	s_delay_alu instid0(VALU_DEP_1)
	v_or3_b32 v8, v2, v8, v0
.LBB6_2134:                             ;   in Loop: Header=BB6_356 Depth=4
	s_or_b32 exec_lo, exec_lo, s74
.LBB6_2135:                             ;   in Loop: Header=BB6_356 Depth=4
	s_delay_alu instid0(SALU_CYCLE_1)
	s_or_b32 exec_lo, exec_lo, s73
.LBB6_2136:                             ;   in Loop: Header=BB6_356 Depth=4
	s_delay_alu instid0(SALU_CYCLE_1) | instskip(NEXT) | instid1(VALU_DEP_1)
	s_or_b32 exec_lo, exec_lo, s13
	v_add_f32_e32 v0, v9, v8
                                        ; implicit-def: $vgpr19
	s_mov_b32 s13, exec_lo
	s_delay_alu instid0(VALU_DEP_1) | instskip(SKIP_1) | instid1(VALU_DEP_2)
	v_and_b32_e32 v2, 0x7f800000, v0
	v_lshrrev_b32_e32 v8, 24, v0
	v_cmpx_ne_u64_e32 0x7f800000, v[2:3]
	s_xor_b32 s73, exec_lo, s13
	s_cbranch_execz .LBB6_2150
; %bb.2137:                             ;   in Loop: Header=BB6_356 Depth=4
	v_and_b32_e32 v2, 0x7fffffff, v0
	v_and_b32_e32 v66, 0x80, v8
                                        ; implicit-def: $vgpr19
	s_mov_b32 s13, exec_lo
	s_delay_alu instid0(VALU_DEP_2)
	v_cmpx_gt_u64_e32 0x43e00001, v[2:3]
	s_xor_b32 s74, exec_lo, s13
	s_cbranch_execz .LBB6_2147
; %bb.2138:                             ;   in Loop: Header=BB6_356 Depth=4
	v_mov_b32_e32 v19, 0
	s_mov_b32 s75, exec_lo
	v_cmpx_ne_u32_e32 0, v0
	s_cbranch_execz .LBB6_2146
; %bb.2139:                             ;   in Loop: Header=BB6_356 Depth=4
	v_bfe_u32 v19, v0, 23, 8
	v_and_b32_e32 v2, 0x7fffff, v0
	s_delay_alu instid0(VALU_DEP_2) | instskip(SKIP_2) | instid1(VALU_DEP_4)
	v_cmp_gt_u32_e64 s13, 0x7a, v19
	v_sub_nc_u32_e32 v0, 0x79, v19
	v_cmp_eq_u32_e32 vcc_lo, 0, v19
	v_or_b32_e32 v8, 0x800000, v2
	s_delay_alu instid0(VALU_DEP_1) | instskip(NEXT) | instid1(VALU_DEP_1)
	v_dual_cndmask_b32 v0, 0, v0, s13 :: v_dual_cndmask_b32 v2, v8, v2, vcc_lo
	v_cndmask_b32_e64 v0, v0, 0x78, vcc_lo
	s_delay_alu instid0(VALU_DEP_1) | instskip(NEXT) | instid1(VALU_DEP_1)
	v_dual_add_nc_u32 v8, 20, v0 :: v_dual_add_nc_u32 v12, 19, v0
	v_lshlrev_b64_e64 v[8:9], v8, -1
	s_delay_alu instid0(VALU_DEP_2) | instskip(NEXT) | instid1(VALU_DEP_2)
	v_lshlrev_b64_e64 v[12:13], v12, 1
	v_bfi_b32 v9, v9, 0, 0
	s_delay_alu instid0(VALU_DEP_3) | instskip(NEXT) | instid1(VALU_DEP_1)
	v_bfi_b32 v8, v8, 0, v2
	v_cmp_eq_u64_e64 s13, v[8:9], v[12:13]
	v_lshrrev_b64 v[8:9], v0, v[2:3]
	s_delay_alu instid0(VALU_DEP_1)
	v_mov_b64_e32 v[12:13], v[8:9]
	s_and_saveexec_b32 s76, s13
; %bb.2140:                             ;   in Loop: Header=BB6_356 Depth=4
	v_bfe_u32 v2, v8, 20, 1
	s_delay_alu instid0(VALU_DEP_1) | instskip(NEXT) | instid1(VALU_DEP_1)
	v_add_nc_u64_e32 v[12:13], v[8:9], v[2:3]
	v_add_nc_u64_e32 v[12:13], -1, v[12:13]
; %bb.2141:                             ;   in Loop: Header=BB6_356 Depth=4
	s_or_b32 exec_lo, exec_lo, s76
	v_add_nc_u32_e32 v2, 0xffffff81, v19
	v_lshrrev_b32_e32 v9, 23, v8
	s_mov_b32 s13, exec_lo
	s_delay_alu instid0(VALU_DEP_2) | instskip(NEXT) | instid1(VALU_DEP_1)
	v_cndmask_b32_e64 v2, v2, 0xffffff82, vcc_lo
	v_add3_u32 v13, v0, v2, v9
	v_and_b32_e32 v0, 0xfffff, v12
	s_delay_alu instid0(VALU_DEP_1) | instskip(NEXT) | instid1(VALU_DEP_1)
	v_dual_add_nc_u32 v12, 6, v13 :: v_dual_add_nc_u32 v2, v0, v8
                                        ; implicit-def: $vgpr8_vgpr9
                                        ; implicit-def: $vgpr0
	v_cmpx_ne_u32_e32 0, v12
	s_xor_b32 s13, exec_lo, s13
; %bb.2142:                             ;   in Loop: Header=BB6_356 Depth=4
	s_delay_alu instid0(VALU_DEP_2) | instskip(SKIP_2) | instid1(VALU_DEP_2)
	v_cmp_lt_u64_e32 vcc_lo, 0xffffff, v[2:3]
	v_add_nc_u32_e32 v0, 7, v13
	v_cndmask_b32_e64 v8, 0, 1, vcc_lo
	v_cndmask_b32_e32 v0, v12, v0, vcc_lo
	s_delay_alu instid0(VALU_DEP_2)
	v_lshrrev_b64 v[8:9], v8, v[2:3]
; %bb.2143:                             ;   in Loop: Header=BB6_356 Depth=4
	s_and_not1_saveexec_b32 s13, s13
; %bb.2144:                             ;   in Loop: Header=BB6_356 Depth=4
	v_mov_b64_e32 v[8:9], v[2:3]
	v_bfe_u32 v0, v2, 23, 1
; %bb.2145:                             ;   in Loop: Header=BB6_356 Depth=4
	s_or_b32 exec_lo, exec_lo, s13
	s_delay_alu instid0(VALU_DEP_2) | instskip(NEXT) | instid1(VALU_DEP_2)
	v_lshrrev_b64 v[8:9], 20, v[8:9]
	v_cmp_gt_i32_e32 vcc_lo, 16, v0
	v_min_i32_e32 v2, 15, v0
	v_cmp_eq_u32_e64 s13, 0, v0
	s_delay_alu instid0(VALU_DEP_2) | instskip(SKIP_1) | instid1(VALU_DEP_2)
	v_dual_cndmask_b32 v9, 0, v9 :: v_dual_lshlrev_b32 v2, 3, v2
	v_cndmask_b32_e32 v8, 7, v8, vcc_lo
	v_and_b32_e32 v2, 0xf8, v2
	s_delay_alu instid0(VALU_DEP_2) | instskip(NEXT) | instid1(VALU_DEP_2)
	v_cmp_eq_u64_e32 vcc_lo, 0, v[8:9]
	v_and_or_b32 v0, v8, 7, v2
	s_and_b32 s13, s13, vcc_lo
	s_delay_alu instid0(VALU_DEP_1) | instid1(SALU_CYCLE_1)
	v_cndmask_b32_e64 v0, v0, 0, s13
	s_delay_alu instid0(VALU_DEP_1)
	v_or_b32_e32 v19, v0, v66
.LBB6_2146:                             ;   in Loop: Header=BB6_356 Depth=4
	s_or_b32 exec_lo, exec_lo, s75
                                        ; implicit-def: $vgpr66
.LBB6_2147:                             ;   in Loop: Header=BB6_356 Depth=4
	s_and_not1_saveexec_b32 s13, s74
; %bb.2148:                             ;   in Loop: Header=BB6_356 Depth=4
	v_or_b32_e32 v19, 0x7e, v66
; %bb.2149:                             ;   in Loop: Header=BB6_356 Depth=4
	s_or_b32 exec_lo, exec_lo, s13
                                        ; implicit-def: $vgpr8
.LBB6_2150:                             ;   in Loop: Header=BB6_356 Depth=4
	s_and_not1_saveexec_b32 s13, s73
; %bb.2151:                             ;   in Loop: Header=BB6_356 Depth=4
	v_or_b32_e32 v19, 0x7f, v8
; %bb.2152:                             ;   in Loop: Header=BB6_356 Depth=4
	s_or_b32 exec_lo, exec_lo, s13
	v_dual_lshrrev_b32 v0, 16, v14 :: v_dual_mov_b32 v8, 0
	v_mov_b32_e32 v9, 0
	s_mov_b32 s13, exec_lo
	s_delay_alu instid0(VALU_DEP_2) | instskip(NEXT) | instid1(VALU_DEP_1)
	v_and_b32_e32 v2, 0xff, v0
	v_cmpx_ne_u16_e32 0, v2
	s_cbranch_execz .LBB6_2160
; %bb.2153:                             ;   in Loop: Header=BB6_356 Depth=4
	v_bfrev_b32_e32 v9, 1
	s_mov_b32 s73, exec_lo
	v_cmpx_ne_u16_e32 0x80, v2
	s_cbranch_execz .LBB6_2159
; %bb.2154:                             ;   in Loop: Header=BB6_356 Depth=4
	v_bfe_u32 v12, v14, 16, 7
	v_mov_b32_e32 v9, 0x7f800001
	s_mov_b32 s74, exec_lo
	s_delay_alu instid0(VALU_DEP_2)
	v_cmpx_ne_u32_e32 0x7f, v12
	s_cbranch_execz .LBB6_2158
; %bb.2155:                             ;   in Loop: Header=BB6_356 Depth=4
	v_and_b32_e32 v2, 7, v0
	v_lshrrev_b32_e32 v9, 3, v12
	s_mov_b32 s75, exec_lo
	v_cmpx_gt_u32_e32 8, v12
; %bb.2156:                             ;   in Loop: Header=BB6_356 Depth=4
	s_delay_alu instid0(VALU_DEP_3) | instskip(NEXT) | instid1(VALU_DEP_1)
	v_clz_i32_u32_e32 v9, v2
	v_min_u32_e32 v9, 32, v9
	s_delay_alu instid0(VALU_DEP_1) | instskip(NEXT) | instid1(VALU_DEP_1)
	v_subrev_nc_u32_e32 v12, 28, v9
	v_lshlrev_b64_e32 v[12:13], v12, v[2:3]
	s_delay_alu instid0(VALU_DEP_1)
	v_dual_sub_nc_u32 v9, 29, v9 :: v_dual_bitop2_b32 v2, 7, v12 bitop3:0x40
; %bb.2157:                             ;   in Loop: Header=BB6_356 Depth=4
	s_or_b32 exec_lo, exec_lo, s75
	s_delay_alu instid0(VALU_DEP_1) | instskip(NEXT) | instid1(VALU_DEP_2)
	v_dual_lshlrev_b32 v0, 24, v0 :: v_dual_lshlrev_b32 v2, 20, v2
	v_lshl_add_u32 v9, v9, 23, 0x3c000000
	s_delay_alu instid0(VALU_DEP_2) | instskip(NEXT) | instid1(VALU_DEP_1)
	v_and_b32_e32 v0, 0x80000000, v0
	v_or3_b32 v9, v2, v0, v9
.LBB6_2158:                             ;   in Loop: Header=BB6_356 Depth=4
	s_or_b32 exec_lo, exec_lo, s74
.LBB6_2159:                             ;   in Loop: Header=BB6_356 Depth=4
	s_delay_alu instid0(SALU_CYCLE_1)
	s_or_b32 exec_lo, exec_lo, s73
.LBB6_2160:                             ;   in Loop: Header=BB6_356 Depth=4
	s_delay_alu instid0(SALU_CYCLE_1) | instskip(SKIP_2) | instid1(VALU_DEP_1)
	s_or_b32 exec_lo, exec_lo, s13
	v_lshrrev_b32_e32 v0, 16, v10
	s_mov_b32 s13, exec_lo
	v_and_b32_e32 v2, 0xff, v0
	s_delay_alu instid0(VALU_DEP_1)
	v_cmpx_ne_u16_e32 0, v2
	s_cbranch_execz .LBB6_2168
; %bb.2161:                             ;   in Loop: Header=BB6_356 Depth=4
	v_bfrev_b32_e32 v8, 1
	s_mov_b32 s73, exec_lo
	v_cmpx_ne_u16_e32 0x80, v2
	s_cbranch_execz .LBB6_2167
; %bb.2162:                             ;   in Loop: Header=BB6_356 Depth=4
	v_bfe_u32 v12, v10, 16, 7
	v_mov_b32_e32 v8, 0x7f800001
	s_mov_b32 s74, exec_lo
	s_delay_alu instid0(VALU_DEP_2)
	v_cmpx_ne_u32_e32 0x7f, v12
	s_cbranch_execz .LBB6_2166
; %bb.2163:                             ;   in Loop: Header=BB6_356 Depth=4
	v_and_b32_e32 v2, 7, v0
	v_lshrrev_b32_e32 v0, 3, v12
	s_mov_b32 s75, exec_lo
	v_cmpx_gt_u32_e32 8, v12
; %bb.2164:                             ;   in Loop: Header=BB6_356 Depth=4
	s_delay_alu instid0(VALU_DEP_3) | instskip(NEXT) | instid1(VALU_DEP_1)
	v_clz_i32_u32_e32 v0, v2
	v_min_u32_e32 v0, 32, v0
	s_delay_alu instid0(VALU_DEP_1) | instskip(SKIP_1) | instid1(VALU_DEP_2)
	v_subrev_nc_u32_e32 v8, 28, v0
	v_sub_nc_u32_e32 v0, 29, v0
	v_lshlrev_b64_e32 v[12:13], v8, v[2:3]
	s_delay_alu instid0(VALU_DEP_1)
	v_and_b32_e32 v2, 7, v12
; %bb.2165:                             ;   in Loop: Header=BB6_356 Depth=4
	s_or_b32 exec_lo, exec_lo, s75
	v_lshlrev_b32_e32 v8, 8, v10
	s_delay_alu instid0(VALU_DEP_2) | instskip(SKIP_1) | instid1(VALU_DEP_3)
	v_lshlrev_b32_e32 v2, 20, v2
	v_lshl_add_u32 v0, v0, 23, 0x3c000000
	v_and_b32_e32 v8, 0x80000000, v8
	s_delay_alu instid0(VALU_DEP_1)
	v_or3_b32 v8, v2, v8, v0
.LBB6_2166:                             ;   in Loop: Header=BB6_356 Depth=4
	s_or_b32 exec_lo, exec_lo, s74
.LBB6_2167:                             ;   in Loop: Header=BB6_356 Depth=4
	s_delay_alu instid0(SALU_CYCLE_1)
	s_or_b32 exec_lo, exec_lo, s73
.LBB6_2168:                             ;   in Loop: Header=BB6_356 Depth=4
	s_delay_alu instid0(SALU_CYCLE_1) | instskip(NEXT) | instid1(VALU_DEP_1)
	s_or_b32 exec_lo, exec_lo, s13
	v_add_f32_e32 v0, v9, v8
                                        ; implicit-def: $vgpr42
	s_mov_b32 s13, exec_lo
	s_delay_alu instid0(VALU_DEP_1) | instskip(SKIP_1) | instid1(VALU_DEP_2)
	v_and_b32_e32 v2, 0x7f800000, v0
	v_lshrrev_b32_e32 v8, 24, v0
	v_cmpx_ne_u64_e32 0x7f800000, v[2:3]
	s_xor_b32 s73, exec_lo, s13
	s_cbranch_execz .LBB6_2182
; %bb.2169:                             ;   in Loop: Header=BB6_356 Depth=4
	v_and_b32_e32 v2, 0x7fffffff, v0
	v_and_b32_e32 v66, 0x80, v8
                                        ; implicit-def: $vgpr42
	s_mov_b32 s13, exec_lo
	s_delay_alu instid0(VALU_DEP_2)
	v_cmpx_gt_u64_e32 0x43e00001, v[2:3]
	s_xor_b32 s74, exec_lo, s13
	s_cbranch_execz .LBB6_2179
; %bb.2170:                             ;   in Loop: Header=BB6_356 Depth=4
	v_mov_b32_e32 v42, 0
	s_mov_b32 s75, exec_lo
	v_cmpx_ne_u32_e32 0, v0
	s_cbranch_execz .LBB6_2178
; %bb.2171:                             ;   in Loop: Header=BB6_356 Depth=4
	v_bfe_u32 v67, v0, 23, 8
	v_and_b32_e32 v2, 0x7fffff, v0
	s_delay_alu instid0(VALU_DEP_2) | instskip(SKIP_2) | instid1(VALU_DEP_4)
	v_cmp_gt_u32_e64 s13, 0x7a, v67
	v_sub_nc_u32_e32 v0, 0x79, v67
	v_cmp_eq_u32_e32 vcc_lo, 0, v67
	v_or_b32_e32 v8, 0x800000, v2
	s_delay_alu instid0(VALU_DEP_1) | instskip(NEXT) | instid1(VALU_DEP_1)
	v_dual_cndmask_b32 v0, 0, v0, s13 :: v_dual_cndmask_b32 v2, v8, v2, vcc_lo
	v_cndmask_b32_e64 v0, v0, 0x78, vcc_lo
	s_delay_alu instid0(VALU_DEP_1) | instskip(NEXT) | instid1(VALU_DEP_1)
	v_dual_add_nc_u32 v8, 20, v0 :: v_dual_add_nc_u32 v12, 19, v0
	v_lshlrev_b64_e64 v[8:9], v8, -1
	s_delay_alu instid0(VALU_DEP_2) | instskip(NEXT) | instid1(VALU_DEP_2)
	v_lshlrev_b64_e64 v[12:13], v12, 1
	v_bfi_b32 v9, v9, 0, 0
	s_delay_alu instid0(VALU_DEP_3) | instskip(NEXT) | instid1(VALU_DEP_1)
	v_bfi_b32 v8, v8, 0, v2
	v_cmp_eq_u64_e64 s13, v[8:9], v[12:13]
	v_lshrrev_b64 v[8:9], v0, v[2:3]
	s_delay_alu instid0(VALU_DEP_1)
	v_mov_b64_e32 v[12:13], v[8:9]
	s_and_saveexec_b32 s76, s13
; %bb.2172:                             ;   in Loop: Header=BB6_356 Depth=4
	v_bfe_u32 v2, v8, 20, 1
	s_delay_alu instid0(VALU_DEP_1) | instskip(NEXT) | instid1(VALU_DEP_1)
	v_add_nc_u64_e32 v[12:13], v[8:9], v[2:3]
	v_add_nc_u64_e32 v[12:13], -1, v[12:13]
; %bb.2173:                             ;   in Loop: Header=BB6_356 Depth=4
	s_or_b32 exec_lo, exec_lo, s76
	v_add_nc_u32_e32 v2, 0xffffff81, v67
	v_lshrrev_b32_e32 v9, 23, v8
	s_mov_b32 s13, exec_lo
	s_delay_alu instid0(VALU_DEP_2) | instskip(NEXT) | instid1(VALU_DEP_1)
	v_cndmask_b32_e64 v2, v2, 0xffffff82, vcc_lo
	v_add3_u32 v13, v0, v2, v9
	v_and_b32_e32 v0, 0xfffff, v12
	s_delay_alu instid0(VALU_DEP_1) | instskip(NEXT) | instid1(VALU_DEP_1)
	v_dual_add_nc_u32 v12, 6, v13 :: v_dual_add_nc_u32 v2, v0, v8
                                        ; implicit-def: $vgpr8_vgpr9
                                        ; implicit-def: $vgpr0
	v_cmpx_ne_u32_e32 0, v12
	s_xor_b32 s13, exec_lo, s13
; %bb.2174:                             ;   in Loop: Header=BB6_356 Depth=4
	s_delay_alu instid0(VALU_DEP_2) | instskip(SKIP_2) | instid1(VALU_DEP_2)
	v_cmp_lt_u64_e32 vcc_lo, 0xffffff, v[2:3]
	v_add_nc_u32_e32 v0, 7, v13
	v_cndmask_b32_e64 v8, 0, 1, vcc_lo
	v_cndmask_b32_e32 v0, v12, v0, vcc_lo
	s_delay_alu instid0(VALU_DEP_2)
	v_lshrrev_b64 v[8:9], v8, v[2:3]
; %bb.2175:                             ;   in Loop: Header=BB6_356 Depth=4
	s_and_not1_saveexec_b32 s13, s13
; %bb.2176:                             ;   in Loop: Header=BB6_356 Depth=4
	v_mov_b64_e32 v[8:9], v[2:3]
	v_bfe_u32 v0, v2, 23, 1
; %bb.2177:                             ;   in Loop: Header=BB6_356 Depth=4
	s_or_b32 exec_lo, exec_lo, s13
	s_delay_alu instid0(VALU_DEP_2) | instskip(NEXT) | instid1(VALU_DEP_2)
	v_lshrrev_b64 v[8:9], 20, v[8:9]
	v_cmp_gt_i32_e32 vcc_lo, 16, v0
	v_min_i32_e32 v2, 15, v0
	v_cmp_eq_u32_e64 s13, 0, v0
	s_delay_alu instid0(VALU_DEP_2) | instskip(SKIP_1) | instid1(VALU_DEP_2)
	v_dual_cndmask_b32 v9, 0, v9 :: v_dual_lshlrev_b32 v2, 3, v2
	v_cndmask_b32_e32 v8, 7, v8, vcc_lo
	v_and_b32_e32 v2, 0xf8, v2
	s_delay_alu instid0(VALU_DEP_2) | instskip(NEXT) | instid1(VALU_DEP_2)
	v_cmp_eq_u64_e32 vcc_lo, 0, v[8:9]
	v_and_or_b32 v0, v8, 7, v2
	s_and_b32 s13, s13, vcc_lo
	s_delay_alu instid0(VALU_DEP_1) | instid1(SALU_CYCLE_1)
	v_cndmask_b32_e64 v0, v0, 0, s13
	s_delay_alu instid0(VALU_DEP_1)
	v_or_b32_e32 v42, v0, v66
.LBB6_2178:                             ;   in Loop: Header=BB6_356 Depth=4
	s_or_b32 exec_lo, exec_lo, s75
                                        ; implicit-def: $vgpr66
.LBB6_2179:                             ;   in Loop: Header=BB6_356 Depth=4
	s_and_not1_saveexec_b32 s13, s74
; %bb.2180:                             ;   in Loop: Header=BB6_356 Depth=4
	v_or_b32_e32 v42, 0x7e, v66
; %bb.2181:                             ;   in Loop: Header=BB6_356 Depth=4
	s_or_b32 exec_lo, exec_lo, s13
                                        ; implicit-def: $vgpr8
.LBB6_2182:                             ;   in Loop: Header=BB6_356 Depth=4
	s_and_not1_saveexec_b32 s13, s73
; %bb.2183:                             ;   in Loop: Header=BB6_356 Depth=4
	v_or_b32_e32 v42, 0x7f, v8
; %bb.2184:                             ;   in Loop: Header=BB6_356 Depth=4
	s_or_b32 exec_lo, exec_lo, s13
	v_dual_mov_b32 v8, 0 :: v_dual_mov_b32 v9, 0
	s_mov_b32 s13, exec_lo
	v_cmpx_lt_u32_e32 0xffffff, v14
	s_cbranch_execz .LBB6_2192
; %bb.2185:                             ;   in Loop: Header=BB6_356 Depth=4
	v_lshrrev_b32_e32 v0, 24, v14
	v_bfrev_b32_e32 v9, 1
	s_mov_b32 s73, exec_lo
	s_delay_alu instid0(VALU_DEP_2)
	v_cmpx_ne_u32_e32 0x80, v0
	s_cbranch_execz .LBB6_2191
; %bb.2186:                             ;   in Loop: Header=BB6_356 Depth=4
	v_bfe_u32 v12, v14, 24, 7
	v_mov_b32_e32 v9, 0x7f800001
	s_mov_b32 s74, exec_lo
	s_delay_alu instid0(VALU_DEP_2)
	v_cmpx_ne_u32_e32 0x7f, v12
	s_cbranch_execz .LBB6_2190
; %bb.2187:                             ;   in Loop: Header=BB6_356 Depth=4
	v_and_b32_e32 v2, 7, v0
	v_lshrrev_b32_e32 v9, 3, v12
	s_mov_b32 s75, exec_lo
	v_cmpx_gt_u32_e32 8, v12
; %bb.2188:                             ;   in Loop: Header=BB6_356 Depth=4
	s_delay_alu instid0(VALU_DEP_3) | instskip(NEXT) | instid1(VALU_DEP_1)
	v_clz_i32_u32_e32 v9, v2
	v_min_u32_e32 v9, 32, v9
	s_delay_alu instid0(VALU_DEP_1) | instskip(NEXT) | instid1(VALU_DEP_1)
	v_subrev_nc_u32_e32 v12, 28, v9
	v_lshlrev_b64_e32 v[12:13], v12, v[2:3]
	s_delay_alu instid0(VALU_DEP_1)
	v_dual_sub_nc_u32 v9, 29, v9 :: v_dual_bitop2_b32 v2, 7, v12 bitop3:0x40
; %bb.2189:                             ;   in Loop: Header=BB6_356 Depth=4
	s_or_b32 exec_lo, exec_lo, s75
	s_delay_alu instid0(VALU_DEP_1) | instskip(NEXT) | instid1(VALU_DEP_2)
	v_dual_lshlrev_b32 v0, 24, v0 :: v_dual_lshlrev_b32 v2, 20, v2
	v_lshl_add_u32 v9, v9, 23, 0x3c000000
	s_delay_alu instid0(VALU_DEP_2) | instskip(NEXT) | instid1(VALU_DEP_1)
	v_and_b32_e32 v0, 0x80000000, v0
	v_or3_b32 v9, v2, v0, v9
.LBB6_2190:                             ;   in Loop: Header=BB6_356 Depth=4
	s_or_b32 exec_lo, exec_lo, s74
.LBB6_2191:                             ;   in Loop: Header=BB6_356 Depth=4
	s_delay_alu instid0(SALU_CYCLE_1)
	s_or_b32 exec_lo, exec_lo, s73
.LBB6_2192:                             ;   in Loop: Header=BB6_356 Depth=4
	s_delay_alu instid0(SALU_CYCLE_1) | instskip(NEXT) | instid1(SALU_CYCLE_1)
	s_or_b32 exec_lo, exec_lo, s13
	s_mov_b32 s13, exec_lo
	v_cmpx_lt_u32_e32 0xffffff, v10
	s_cbranch_execz .LBB6_2200
; %bb.2193:                             ;   in Loop: Header=BB6_356 Depth=4
	v_lshrrev_b32_e32 v0, 24, v10
	v_bfrev_b32_e32 v8, 1
	s_mov_b32 s73, exec_lo
	s_delay_alu instid0(VALU_DEP_2)
	v_cmpx_ne_u32_e32 0x80, v0
	s_cbranch_execz .LBB6_2199
; %bb.2194:                             ;   in Loop: Header=BB6_356 Depth=4
	v_bfe_u32 v12, v10, 24, 7
	v_mov_b32_e32 v8, 0x7f800001
	s_mov_b32 s74, exec_lo
	s_delay_alu instid0(VALU_DEP_2)
	v_cmpx_ne_u32_e32 0x7f, v12
	s_cbranch_execz .LBB6_2198
; %bb.2195:                             ;   in Loop: Header=BB6_356 Depth=4
	v_and_b32_e32 v2, 7, v0
	v_lshrrev_b32_e32 v8, 3, v12
	s_mov_b32 s75, exec_lo
	v_cmpx_gt_u32_e32 8, v12
; %bb.2196:                             ;   in Loop: Header=BB6_356 Depth=4
	s_delay_alu instid0(VALU_DEP_3) | instskip(NEXT) | instid1(VALU_DEP_1)
	v_clz_i32_u32_e32 v8, v2
	v_min_u32_e32 v8, 32, v8
	s_delay_alu instid0(VALU_DEP_1) | instskip(SKIP_1) | instid1(VALU_DEP_2)
	v_subrev_nc_u32_e32 v12, 28, v8
	v_sub_nc_u32_e32 v8, 29, v8
	v_lshlrev_b64_e32 v[12:13], v12, v[2:3]
	s_delay_alu instid0(VALU_DEP_1)
	v_and_b32_e32 v2, 7, v12
; %bb.2197:                             ;   in Loop: Header=BB6_356 Depth=4
	s_or_b32 exec_lo, exec_lo, s75
	s_delay_alu instid0(VALU_DEP_1) | instskip(SKIP_1) | instid1(VALU_DEP_2)
	v_dual_lshlrev_b32 v0, 24, v0 :: v_dual_lshlrev_b32 v2, 20, v2
	v_lshl_add_u32 v8, v8, 23, 0x3c000000
	v_and_b32_e32 v0, 0x80000000, v0
	s_delay_alu instid0(VALU_DEP_1)
	v_or3_b32 v8, v2, v0, v8
.LBB6_2198:                             ;   in Loop: Header=BB6_356 Depth=4
	s_or_b32 exec_lo, exec_lo, s74
.LBB6_2199:                             ;   in Loop: Header=BB6_356 Depth=4
	s_delay_alu instid0(SALU_CYCLE_1)
	s_or_b32 exec_lo, exec_lo, s73
.LBB6_2200:                             ;   in Loop: Header=BB6_356 Depth=4
	s_delay_alu instid0(SALU_CYCLE_1) | instskip(NEXT) | instid1(VALU_DEP_1)
	s_or_b32 exec_lo, exec_lo, s13
	v_add_f32_e32 v0, v9, v8
                                        ; implicit-def: $vgpr43
	s_mov_b32 s13, exec_lo
	s_delay_alu instid0(VALU_DEP_1) | instskip(SKIP_1) | instid1(VALU_DEP_2)
	v_and_b32_e32 v2, 0x7f800000, v0
	v_lshrrev_b32_e32 v8, 24, v0
	v_cmpx_ne_u64_e32 0x7f800000, v[2:3]
	s_xor_b32 s73, exec_lo, s13
	s_cbranch_execz .LBB6_2214
; %bb.2201:                             ;   in Loop: Header=BB6_356 Depth=4
	v_and_b32_e32 v2, 0x7fffffff, v0
	v_and_b32_e32 v66, 0x80, v8
                                        ; implicit-def: $vgpr43
	s_mov_b32 s13, exec_lo
	s_delay_alu instid0(VALU_DEP_2)
	v_cmpx_gt_u64_e32 0x43e00001, v[2:3]
	s_xor_b32 s74, exec_lo, s13
	s_cbranch_execz .LBB6_2211
; %bb.2202:                             ;   in Loop: Header=BB6_356 Depth=4
	v_mov_b32_e32 v43, 0
	s_mov_b32 s75, exec_lo
	v_cmpx_ne_u32_e32 0, v0
	s_cbranch_execz .LBB6_2210
; %bb.2203:                             ;   in Loop: Header=BB6_356 Depth=4
	v_bfe_u32 v67, v0, 23, 8
	v_and_b32_e32 v2, 0x7fffff, v0
	s_delay_alu instid0(VALU_DEP_2) | instskip(SKIP_2) | instid1(VALU_DEP_4)
	v_cmp_gt_u32_e64 s13, 0x7a, v67
	v_sub_nc_u32_e32 v0, 0x79, v67
	v_cmp_eq_u32_e32 vcc_lo, 0, v67
	v_or_b32_e32 v8, 0x800000, v2
	s_delay_alu instid0(VALU_DEP_1) | instskip(NEXT) | instid1(VALU_DEP_1)
	v_dual_cndmask_b32 v0, 0, v0, s13 :: v_dual_cndmask_b32 v2, v8, v2, vcc_lo
	v_cndmask_b32_e64 v0, v0, 0x78, vcc_lo
	s_delay_alu instid0(VALU_DEP_1) | instskip(NEXT) | instid1(VALU_DEP_1)
	v_dual_add_nc_u32 v8, 20, v0 :: v_dual_add_nc_u32 v12, 19, v0
	v_lshlrev_b64_e64 v[8:9], v8, -1
	s_delay_alu instid0(VALU_DEP_2) | instskip(NEXT) | instid1(VALU_DEP_2)
	v_lshlrev_b64_e64 v[12:13], v12, 1
	v_bfi_b32 v9, v9, 0, 0
	s_delay_alu instid0(VALU_DEP_3) | instskip(NEXT) | instid1(VALU_DEP_1)
	v_bfi_b32 v8, v8, 0, v2
	v_cmp_eq_u64_e64 s13, v[8:9], v[12:13]
	v_lshrrev_b64 v[8:9], v0, v[2:3]
	s_delay_alu instid0(VALU_DEP_1)
	v_mov_b64_e32 v[12:13], v[8:9]
	s_and_saveexec_b32 s76, s13
; %bb.2204:                             ;   in Loop: Header=BB6_356 Depth=4
	v_bfe_u32 v2, v8, 20, 1
	s_delay_alu instid0(VALU_DEP_1) | instskip(NEXT) | instid1(VALU_DEP_1)
	v_add_nc_u64_e32 v[12:13], v[8:9], v[2:3]
	v_add_nc_u64_e32 v[12:13], -1, v[12:13]
; %bb.2205:                             ;   in Loop: Header=BB6_356 Depth=4
	s_or_b32 exec_lo, exec_lo, s76
	v_add_nc_u32_e32 v2, 0xffffff81, v67
	v_lshrrev_b32_e32 v9, 23, v8
	s_mov_b32 s13, exec_lo
	s_delay_alu instid0(VALU_DEP_2) | instskip(NEXT) | instid1(VALU_DEP_1)
	v_cndmask_b32_e64 v2, v2, 0xffffff82, vcc_lo
	v_add3_u32 v13, v0, v2, v9
	v_and_b32_e32 v0, 0xfffff, v12
	s_delay_alu instid0(VALU_DEP_1) | instskip(NEXT) | instid1(VALU_DEP_1)
	v_dual_add_nc_u32 v12, 6, v13 :: v_dual_add_nc_u32 v2, v0, v8
                                        ; implicit-def: $vgpr8_vgpr9
                                        ; implicit-def: $vgpr0
	v_cmpx_ne_u32_e32 0, v12
	s_xor_b32 s13, exec_lo, s13
; %bb.2206:                             ;   in Loop: Header=BB6_356 Depth=4
	s_delay_alu instid0(VALU_DEP_2) | instskip(SKIP_2) | instid1(VALU_DEP_2)
	v_cmp_lt_u64_e32 vcc_lo, 0xffffff, v[2:3]
	v_add_nc_u32_e32 v0, 7, v13
	v_cndmask_b32_e64 v8, 0, 1, vcc_lo
	v_cndmask_b32_e32 v0, v12, v0, vcc_lo
	s_delay_alu instid0(VALU_DEP_2)
	v_lshrrev_b64 v[8:9], v8, v[2:3]
; %bb.2207:                             ;   in Loop: Header=BB6_356 Depth=4
	s_and_not1_saveexec_b32 s13, s13
; %bb.2208:                             ;   in Loop: Header=BB6_356 Depth=4
	v_mov_b64_e32 v[8:9], v[2:3]
	v_bfe_u32 v0, v2, 23, 1
; %bb.2209:                             ;   in Loop: Header=BB6_356 Depth=4
	s_or_b32 exec_lo, exec_lo, s13
	s_delay_alu instid0(VALU_DEP_2) | instskip(NEXT) | instid1(VALU_DEP_2)
	v_lshrrev_b64 v[8:9], 20, v[8:9]
	v_cmp_gt_i32_e32 vcc_lo, 16, v0
	v_min_i32_e32 v2, 15, v0
	v_cmp_eq_u32_e64 s13, 0, v0
	s_delay_alu instid0(VALU_DEP_2) | instskip(SKIP_1) | instid1(VALU_DEP_2)
	v_dual_cndmask_b32 v9, 0, v9 :: v_dual_lshlrev_b32 v2, 3, v2
	v_cndmask_b32_e32 v8, 7, v8, vcc_lo
	v_and_b32_e32 v2, 0xf8, v2
	s_delay_alu instid0(VALU_DEP_2) | instskip(NEXT) | instid1(VALU_DEP_2)
	v_cmp_eq_u64_e32 vcc_lo, 0, v[8:9]
	v_and_or_b32 v0, v8, 7, v2
	s_and_b32 s13, s13, vcc_lo
	s_delay_alu instid0(VALU_DEP_1) | instid1(SALU_CYCLE_1)
	v_cndmask_b32_e64 v0, v0, 0, s13
	s_delay_alu instid0(VALU_DEP_1)
	v_or_b32_e32 v43, v0, v66
.LBB6_2210:                             ;   in Loop: Header=BB6_356 Depth=4
	s_or_b32 exec_lo, exec_lo, s75
                                        ; implicit-def: $vgpr66
.LBB6_2211:                             ;   in Loop: Header=BB6_356 Depth=4
	s_and_not1_saveexec_b32 s13, s74
; %bb.2212:                             ;   in Loop: Header=BB6_356 Depth=4
	v_or_b32_e32 v43, 0x7e, v66
; %bb.2213:                             ;   in Loop: Header=BB6_356 Depth=4
	s_or_b32 exec_lo, exec_lo, s13
                                        ; implicit-def: $vgpr8
.LBB6_2214:                             ;   in Loop: Header=BB6_356 Depth=4
	s_and_not1_saveexec_b32 s13, s73
; %bb.2215:                             ;   in Loop: Header=BB6_356 Depth=4
	v_or_b32_e32 v43, 0x7f, v8
; %bb.2216:                             ;   in Loop: Header=BB6_356 Depth=4
	s_or_b32 exec_lo, exec_lo, s13
	v_and_b32_e32 v0, 0xff, v15
	v_dual_mov_b32 v2, v15 :: v_dual_mov_b32 v8, 0
	v_mov_b32_e32 v9, 0
	s_mov_b32 s13, exec_lo
	s_delay_alu instid0(VALU_DEP_3)
	v_cmpx_ne_u16_e32 0, v0
	s_cbranch_execz .LBB6_2222
; %bb.2217:                             ;   in Loop: Header=BB6_356 Depth=4
	v_bfrev_b32_e32 v9, 1
	s_mov_b32 s73, exec_lo
	v_cmpx_ne_u16_e32 0x80, v0
	s_cbranch_execz .LBB6_2221
; %bb.2218:                             ;   in Loop: Header=BB6_356 Depth=4
	v_and_b32_e32 v0, 0x7f, v15
	v_mov_b32_e32 v9, 0x7f800001
	s_mov_b32 s74, exec_lo
	s_delay_alu instid0(VALU_DEP_2)
	v_cmpx_ne_u32_e32 0x7f, v0
	s_cbranch_execz .LBB6_2220
; %bb.2219:                             ;   in Loop: Header=BB6_356 Depth=4
	v_dual_lshrrev_b32 v12, 3, v0 :: v_dual_bitop2_b32 v9, 7, v15 bitop3:0x40
	v_cmp_gt_u32_e32 vcc_lo, 8, v0
	s_delay_alu instid0(VALU_DEP_2) | instskip(NEXT) | instid1(VALU_DEP_1)
	v_clz_i32_u32_e32 v0, v9
	v_min_u32_e32 v0, 32, v0
	s_delay_alu instid0(VALU_DEP_1) | instskip(NEXT) | instid1(VALU_DEP_1)
	v_subrev_nc_u32_e32 v9, 28, v0
	v_dual_cndmask_b32 v9, 0, v9 :: v_dual_sub_nc_u32 v0, 29, v0
	s_delay_alu instid0(VALU_DEP_1) | instskip(NEXT) | instid1(VALU_DEP_2)
	v_cndmask_b32_e32 v0, v12, v0, vcc_lo
	v_lshlrev_b64_e32 v[12:13], v9, v[2:3]
	s_delay_alu instid0(VALU_DEP_1) | instskip(NEXT) | instid1(VALU_DEP_3)
	v_dual_lshlrev_b32 v9, 20, v12 :: v_dual_lshlrev_b32 v12, 24, v2
	v_lshl_add_u32 v0, v0, 23, 0x3c000000
	s_delay_alu instid0(VALU_DEP_2) | instskip(NEXT) | instid1(VALU_DEP_3)
	v_and_b32_e32 v9, 0x700000, v9
	v_and_b32_e32 v12, 0x80000000, v12
	s_delay_alu instid0(VALU_DEP_1)
	v_or3_b32 v9, v9, v12, v0
.LBB6_2220:                             ;   in Loop: Header=BB6_356 Depth=4
	s_or_b32 exec_lo, exec_lo, s74
.LBB6_2221:                             ;   in Loop: Header=BB6_356 Depth=4
	s_delay_alu instid0(SALU_CYCLE_1)
	s_or_b32 exec_lo, exec_lo, s73
.LBB6_2222:                             ;   in Loop: Header=BB6_356 Depth=4
	s_delay_alu instid0(SALU_CYCLE_1) | instskip(SKIP_2) | instid1(VALU_DEP_1)
	s_or_b32 exec_lo, exec_lo, s13
	v_and_b32_e32 v0, 0xff, v11
	s_mov_b32 s13, exec_lo
	v_cmpx_ne_u16_e32 0, v0
	s_cbranch_execz .LBB6_2228
; %bb.2223:                             ;   in Loop: Header=BB6_356 Depth=4
	v_bfrev_b32_e32 v8, 1
	s_mov_b32 s73, exec_lo
	v_cmpx_ne_u16_e32 0x80, v0
	s_cbranch_execz .LBB6_2227
; %bb.2224:                             ;   in Loop: Header=BB6_356 Depth=4
	v_and_b32_e32 v0, 0x7f, v11
	v_mov_b32_e32 v8, 0x7f800001
	s_mov_b32 s74, exec_lo
	s_delay_alu instid0(VALU_DEP_2)
	v_cmpx_ne_u32_e32 0x7f, v0
	s_cbranch_execz .LBB6_2226
; %bb.2225:                             ;   in Loop: Header=BB6_356 Depth=4
	v_dual_lshrrev_b32 v52, 3, v0 :: v_dual_bitop2_b32 v8, 7, v11 bitop3:0x40
	v_cmp_gt_u32_e32 vcc_lo, 8, v0
	v_mov_b32_e32 v12, v11
	s_delay_alu instid0(VALU_DEP_3) | instskip(NEXT) | instid1(VALU_DEP_1)
	v_clz_i32_u32_e32 v8, v8
	v_min_u32_e32 v8, 32, v8
	s_delay_alu instid0(VALU_DEP_1) | instskip(SKIP_1) | instid1(VALU_DEP_1)
	v_subrev_nc_u32_e32 v0, 28, v8
	v_dual_mov_b32 v13, v3 :: v_dual_sub_nc_u32 v66, 29, v8
	v_dual_cndmask_b32 v0, 0, v0, vcc_lo :: v_dual_cndmask_b32 v8, v52, v66, vcc_lo
	s_delay_alu instid0(VALU_DEP_1) | instskip(SKIP_1) | instid1(VALU_DEP_3)
	v_lshlrev_b64_e32 v[66:67], v0, v[12:13]
	v_lshlrev_b32_e32 v0, 24, v12
	v_lshl_add_u32 v8, v8, 23, 0x3c000000
	s_delay_alu instid0(VALU_DEP_2) | instskip(NEXT) | instid1(VALU_DEP_4)
	v_and_b32_e32 v0, 0x80000000, v0
	v_lshlrev_b32_e32 v12, 20, v66
	s_delay_alu instid0(VALU_DEP_1) | instskip(NEXT) | instid1(VALU_DEP_1)
	v_and_b32_e32 v12, 0x700000, v12
	v_or3_b32 v8, v12, v0, v8
.LBB6_2226:                             ;   in Loop: Header=BB6_356 Depth=4
	s_or_b32 exec_lo, exec_lo, s74
.LBB6_2227:                             ;   in Loop: Header=BB6_356 Depth=4
	s_delay_alu instid0(SALU_CYCLE_1)
	s_or_b32 exec_lo, exec_lo, s73
.LBB6_2228:                             ;   in Loop: Header=BB6_356 Depth=4
	s_delay_alu instid0(SALU_CYCLE_1) | instskip(NEXT) | instid1(VALU_DEP_1)
	s_or_b32 exec_lo, exec_lo, s13
	v_dual_add_f32 v0, v9, v8 :: v_dual_mov_b32 v9, v3
                                        ; implicit-def: $vgpr66
	s_delay_alu instid0(VALU_DEP_1) | instskip(NEXT) | instid1(VALU_DEP_1)
	v_and_b32_e32 v8, 0x7f800000, v0
	v_cmp_ne_u64_e32 vcc_lo, 0x7f800000, v[8:9]
	v_lshrrev_b32_e32 v8, 24, v0
	s_and_saveexec_b32 s13, vcc_lo
	s_delay_alu instid0(SALU_CYCLE_1)
	s_xor_b32 s73, exec_lo, s13
	s_cbranch_execz .LBB6_2242
; %bb.2229:                             ;   in Loop: Header=BB6_356 Depth=4
	v_and_b32_e32 v12, 0x7fffffff, v0
	v_mov_b32_e32 v13, v3
	v_and_b32_e32 v67, 0x80, v8
                                        ; implicit-def: $vgpr66
	s_mov_b32 s13, exec_lo
	s_delay_alu instid0(VALU_DEP_2)
	v_cmpx_gt_u64_e32 0x43e00001, v[12:13]
	s_xor_b32 s74, exec_lo, s13
	s_cbranch_execz .LBB6_2239
; %bb.2230:                             ;   in Loop: Header=BB6_356 Depth=4
	v_mov_b32_e32 v66, 0
	s_mov_b32 s75, exec_lo
	v_cmpx_ne_u32_e32 0, v0
	s_cbranch_execz .LBB6_2238
; %bb.2231:                             ;   in Loop: Header=BB6_356 Depth=4
	v_and_b32_e32 v8, 0x7fffff, v0
	v_bfe_u32 v66, v0, 23, 8
	s_delay_alu instid0(VALU_DEP_2) | instskip(NEXT) | instid1(VALU_DEP_2)
	v_or_b32_e32 v9, 0x800000, v8
	v_cmp_eq_u32_e32 vcc_lo, 0, v66
	v_cmp_gt_u32_e64 s13, 0x7a, v66
	v_sub_nc_u32_e32 v0, 0x79, v66
	s_delay_alu instid0(VALU_DEP_4) | instskip(NEXT) | instid1(VALU_DEP_2)
	v_dual_cndmask_b32 v8, v9, v8 :: v_dual_mov_b32 v9, v3
	v_cndmask_b32_e64 v0, 0, v0, s13
	s_delay_alu instid0(VALU_DEP_1) | instskip(NEXT) | instid1(VALU_DEP_1)
	v_cndmask_b32_e64 v0, v0, 0x78, vcc_lo
	v_dual_add_nc_u32 v12, 20, v0 :: v_dual_add_nc_u32 v52, 19, v0
	s_delay_alu instid0(VALU_DEP_1) | instskip(NEXT) | instid1(VALU_DEP_2)
	v_lshlrev_b64_e64 v[12:13], v12, -1
	v_lshlrev_b64_e64 v[40:41], v52, 1
	s_delay_alu instid0(VALU_DEP_2) | instskip(SKIP_1) | instid1(VALU_DEP_4)
	v_bfi_b32 v12, v12, 0, v8
	v_lshrrev_b64 v[8:9], v0, v[8:9]
	v_bfi_b32 v13, v13, 0, 0
	s_delay_alu instid0(VALU_DEP_1) | instskip(NEXT) | instid1(VALU_DEP_3)
	v_cmp_eq_u64_e64 s13, v[12:13], v[40:41]
	v_mov_b64_e32 v[12:13], v[8:9]
	s_and_saveexec_b32 s76, s13
; %bb.2232:                             ;   in Loop: Header=BB6_356 Depth=4
	v_bfe_u32 v12, v8, 20, 1
	v_mov_b32_e32 v13, v3
	s_delay_alu instid0(VALU_DEP_1) | instskip(NEXT) | instid1(VALU_DEP_1)
	v_add_nc_u64_e32 v[12:13], v[8:9], v[12:13]
	v_add_nc_u64_e32 v[12:13], -1, v[12:13]
; %bb.2233:                             ;   in Loop: Header=BB6_356 Depth=4
	s_or_b32 exec_lo, exec_lo, s76
	v_add_nc_u32_e32 v9, 0xffffff81, v66
	v_lshrrev_b32_e32 v13, 23, v8
	s_mov_b32 s13, exec_lo
	s_delay_alu instid0(VALU_DEP_2) | instskip(NEXT) | instid1(VALU_DEP_1)
	v_cndmask_b32_e64 v9, v9, 0xffffff82, vcc_lo
	v_add3_u32 v13, v0, v9, v13
	v_and_b32_e32 v0, 0xfffff, v12
	s_delay_alu instid0(VALU_DEP_2) | instskip(NEXT) | instid1(VALU_DEP_2)
	v_dual_mov_b32 v9, v3 :: v_dual_add_nc_u32 v12, 6, v13
	v_add_nc_u32_e32 v8, v0, v8
                                        ; implicit-def: $vgpr0
	s_delay_alu instid0(VALU_DEP_2)
	v_cmpx_ne_u32_e32 0, v12
	s_xor_b32 s13, exec_lo, s13
; %bb.2234:                             ;   in Loop: Header=BB6_356 Depth=4
	s_delay_alu instid0(VALU_DEP_2) | instskip(SKIP_1) | instid1(VALU_DEP_1)
	v_cmp_lt_u64_e32 vcc_lo, 0xffffff, v[8:9]
	v_add_nc_u32_e32 v0, 7, v13
	v_cndmask_b32_e32 v0, v12, v0, vcc_lo
	v_cndmask_b32_e64 v12, 0, 1, vcc_lo
	s_delay_alu instid0(VALU_DEP_1)
	v_lshrrev_b64 v[8:9], v12, v[8:9]
; %bb.2235:                             ;   in Loop: Header=BB6_356 Depth=4
	s_and_not1_saveexec_b32 s13, s13
; %bb.2236:                             ;   in Loop: Header=BB6_356 Depth=4
	s_delay_alu instid0(VALU_DEP_1)
	v_bfe_u32 v0, v8, 23, 1
; %bb.2237:                             ;   in Loop: Header=BB6_356 Depth=4
	s_or_b32 exec_lo, exec_lo, s13
	s_delay_alu instid0(VALU_DEP_2) | instskip(NEXT) | instid1(VALU_DEP_2)
	v_lshrrev_b64 v[8:9], 20, v[8:9]
	v_cmp_gt_i32_e32 vcc_lo, 16, v0
	v_min_i32_e32 v12, 15, v0
	v_cmp_eq_u32_e64 s13, 0, v0
	s_delay_alu instid0(VALU_DEP_2) | instskip(SKIP_1) | instid1(VALU_DEP_2)
	v_dual_cndmask_b32 v9, 0, v9 :: v_dual_lshlrev_b32 v12, 3, v12
	v_cndmask_b32_e32 v8, 7, v8, vcc_lo
	v_and_b32_e32 v12, 0xf8, v12
	s_delay_alu instid0(VALU_DEP_2) | instskip(NEXT) | instid1(VALU_DEP_2)
	v_cmp_eq_u64_e32 vcc_lo, 0, v[8:9]
	v_and_or_b32 v0, v8, 7, v12
	s_and_b32 s13, s13, vcc_lo
	s_delay_alu instid0(VALU_DEP_1) | instid1(SALU_CYCLE_1)
	v_cndmask_b32_e64 v0, v0, 0, s13
	s_delay_alu instid0(VALU_DEP_1)
	v_or_b32_e32 v66, v0, v67
.LBB6_2238:                             ;   in Loop: Header=BB6_356 Depth=4
	s_or_b32 exec_lo, exec_lo, s75
                                        ; implicit-def: $vgpr67
.LBB6_2239:                             ;   in Loop: Header=BB6_356 Depth=4
	s_and_not1_saveexec_b32 s13, s74
; %bb.2240:                             ;   in Loop: Header=BB6_356 Depth=4
	v_or_b32_e32 v66, 0x7e, v67
; %bb.2241:                             ;   in Loop: Header=BB6_356 Depth=4
	s_or_b32 exec_lo, exec_lo, s13
                                        ; implicit-def: $vgpr8
.LBB6_2242:                             ;   in Loop: Header=BB6_356 Depth=4
	s_and_not1_saveexec_b32 s13, s73
; %bb.2243:                             ;   in Loop: Header=BB6_356 Depth=4
	v_or_b32_e32 v66, 0x7f, v8
; %bb.2244:                             ;   in Loop: Header=BB6_356 Depth=4
	s_or_b32 exec_lo, exec_lo, s13
	v_lshrrev_b16 v0, 8, v2
	v_dual_mov_b32 v12, 0 :: v_dual_mov_b32 v8, 0
	s_mov_b32 s13, exec_lo
	s_delay_alu instid0(VALU_DEP_2)
	v_cmpx_ne_u16_e32 0, v0
	s_cbranch_execz .LBB6_2252
; %bb.2245:                             ;   in Loop: Header=BB6_356 Depth=4
	v_bfrev_b32_e32 v8, 1
	s_mov_b32 s73, exec_lo
	v_cmpx_ne_u16_e32 0x80, v0
	s_cbranch_execz .LBB6_2251
; %bb.2246:                             ;   in Loop: Header=BB6_356 Depth=4
	v_and_b32_e32 v0, 0xffff, v0
	v_mov_b32_e32 v8, 0x7f800001
	s_mov_b32 s74, exec_lo
	s_delay_alu instid0(VALU_DEP_2) | instskip(NEXT) | instid1(VALU_DEP_1)
	v_and_b32_e32 v13, 0x7f, v0
	v_cmpx_ne_u32_e32 0x7f, v13
	s_cbranch_execz .LBB6_2250
; %bb.2247:                             ;   in Loop: Header=BB6_356 Depth=4
	v_dual_mov_b32 v9, v3 :: v_dual_bitop2_b32 v8, 7, v0 bitop3:0x40
	v_lshrrev_b32_e32 v0, 3, v13
	s_mov_b32 s75, exec_lo
	v_cmpx_gt_u32_e32 8, v13
; %bb.2248:                             ;   in Loop: Header=BB6_356 Depth=4
	s_delay_alu instid0(VALU_DEP_3) | instskip(NEXT) | instid1(VALU_DEP_1)
	v_clz_i32_u32_e32 v0, v8
	v_min_u32_e32 v0, 32, v0
	s_delay_alu instid0(VALU_DEP_1) | instskip(SKIP_1) | instid1(VALU_DEP_2)
	v_subrev_nc_u32_e32 v13, 28, v0
	v_sub_nc_u32_e32 v0, 29, v0
	v_lshlrev_b64_e32 v[8:9], v13, v[8:9]
	s_delay_alu instid0(VALU_DEP_1)
	v_and_b32_e32 v8, 7, v8
; %bb.2249:                             ;   in Loop: Header=BB6_356 Depth=4
	s_or_b32 exec_lo, exec_lo, s75
	s_delay_alu instid0(VALU_DEP_1) | instskip(SKIP_1) | instid1(VALU_DEP_2)
	v_dual_lshlrev_b32 v2, 16, v2 :: v_dual_lshlrev_b32 v8, 20, v8
	v_lshl_add_u32 v0, v0, 23, 0x3c000000
	v_and_b32_e32 v2, 0x80000000, v2
	s_delay_alu instid0(VALU_DEP_1)
	v_or3_b32 v8, v8, v2, v0
.LBB6_2250:                             ;   in Loop: Header=BB6_356 Depth=4
	s_or_b32 exec_lo, exec_lo, s74
.LBB6_2251:                             ;   in Loop: Header=BB6_356 Depth=4
	s_delay_alu instid0(SALU_CYCLE_1)
	s_or_b32 exec_lo, exec_lo, s73
.LBB6_2252:                             ;   in Loop: Header=BB6_356 Depth=4
	s_delay_alu instid0(SALU_CYCLE_1) | instskip(SKIP_2) | instid1(VALU_DEP_1)
	s_or_b32 exec_lo, exec_lo, s13
	v_lshrrev_b16 v0, 8, v11
	s_mov_b32 s13, exec_lo
	v_cmpx_ne_u16_e32 0, v0
	s_cbranch_execz .LBB6_2260
; %bb.2253:                             ;   in Loop: Header=BB6_356 Depth=4
	v_bfrev_b32_e32 v12, 1
	s_mov_b32 s73, exec_lo
	v_cmpx_ne_u16_e32 0x80, v0
	s_cbranch_execz .LBB6_2259
; %bb.2254:                             ;   in Loop: Header=BB6_356 Depth=4
	v_and_b32_e32 v0, 0xffff, v0
	v_mov_b32_e32 v12, 0x7f800001
	s_mov_b32 s74, exec_lo
	s_delay_alu instid0(VALU_DEP_2) | instskip(NEXT) | instid1(VALU_DEP_1)
	v_and_b32_e32 v9, 0x7f, v0
	v_cmpx_ne_u32_e32 0x7f, v9
	s_cbranch_execz .LBB6_2258
; %bb.2255:                             ;   in Loop: Header=BB6_356 Depth=4
	v_dual_lshrrev_b32 v0, 3, v9 :: v_dual_bitop2_b32 v2, 7, v0 bitop3:0x40
	s_mov_b32 s75, exec_lo
	v_cmpx_gt_u32_e32 8, v9
; %bb.2256:                             ;   in Loop: Header=BB6_356 Depth=4
	s_delay_alu instid0(VALU_DEP_2) | instskip(NEXT) | instid1(VALU_DEP_1)
	v_clz_i32_u32_e32 v0, v2
	v_min_u32_e32 v0, 32, v0
	s_delay_alu instid0(VALU_DEP_1) | instskip(SKIP_1) | instid1(VALU_DEP_2)
	v_subrev_nc_u32_e32 v9, 28, v0
	v_sub_nc_u32_e32 v0, 29, v0
	v_lshlrev_b64_e32 v[12:13], v9, v[2:3]
	s_delay_alu instid0(VALU_DEP_1)
	v_and_b32_e32 v2, 7, v12
; %bb.2257:                             ;   in Loop: Header=BB6_356 Depth=4
	s_or_b32 exec_lo, exec_lo, s75
	s_delay_alu instid0(VALU_DEP_1) | instskip(SKIP_1) | instid1(VALU_DEP_2)
	v_dual_lshlrev_b32 v9, 16, v11 :: v_dual_lshlrev_b32 v2, 20, v2
	v_lshl_add_u32 v0, v0, 23, 0x3c000000
	v_and_b32_e32 v9, 0x80000000, v9
	s_delay_alu instid0(VALU_DEP_1)
	v_or3_b32 v12, v2, v9, v0
.LBB6_2258:                             ;   in Loop: Header=BB6_356 Depth=4
	s_or_b32 exec_lo, exec_lo, s74
.LBB6_2259:                             ;   in Loop: Header=BB6_356 Depth=4
	s_delay_alu instid0(SALU_CYCLE_1)
	s_or_b32 exec_lo, exec_lo, s73
.LBB6_2260:                             ;   in Loop: Header=BB6_356 Depth=4
	s_delay_alu instid0(SALU_CYCLE_1) | instskip(NEXT) | instid1(VALU_DEP_1)
	s_or_b32 exec_lo, exec_lo, s13
	v_add_f32_e32 v0, v8, v12
                                        ; implicit-def: $vgpr67
	s_mov_b32 s13, exec_lo
	s_delay_alu instid0(VALU_DEP_1) | instskip(SKIP_1) | instid1(VALU_DEP_2)
	v_and_b32_e32 v2, 0x7f800000, v0
	v_lshrrev_b32_e32 v8, 24, v0
	v_cmpx_ne_u64_e32 0x7f800000, v[2:3]
	s_xor_b32 s73, exec_lo, s13
	s_cbranch_execz .LBB6_2274
; %bb.2261:                             ;   in Loop: Header=BB6_356 Depth=4
	v_and_b32_e32 v2, 0x7fffffff, v0
	v_and_b32_e32 v123, 0x80, v8
                                        ; implicit-def: $vgpr67
	s_mov_b32 s13, exec_lo
	s_delay_alu instid0(VALU_DEP_2)
	v_cmpx_gt_u64_e32 0x43e00001, v[2:3]
	s_xor_b32 s74, exec_lo, s13
	s_cbranch_execz .LBB6_2271
; %bb.2262:                             ;   in Loop: Header=BB6_356 Depth=4
	v_mov_b32_e32 v67, 0
	s_mov_b32 s75, exec_lo
	v_cmpx_ne_u32_e32 0, v0
	s_cbranch_execz .LBB6_2270
; %bb.2263:                             ;   in Loop: Header=BB6_356 Depth=4
	v_bfe_u32 v67, v0, 23, 8
	v_and_b32_e32 v2, 0x7fffff, v0
	s_delay_alu instid0(VALU_DEP_2) | instskip(SKIP_2) | instid1(VALU_DEP_4)
	v_cmp_gt_u32_e64 s13, 0x7a, v67
	v_sub_nc_u32_e32 v0, 0x79, v67
	v_cmp_eq_u32_e32 vcc_lo, 0, v67
	v_or_b32_e32 v8, 0x800000, v2
	s_delay_alu instid0(VALU_DEP_1) | instskip(NEXT) | instid1(VALU_DEP_1)
	v_dual_cndmask_b32 v0, 0, v0, s13 :: v_dual_cndmask_b32 v2, v8, v2, vcc_lo
	v_cndmask_b32_e64 v0, v0, 0x78, vcc_lo
	s_delay_alu instid0(VALU_DEP_1) | instskip(NEXT) | instid1(VALU_DEP_1)
	v_dual_add_nc_u32 v8, 20, v0 :: v_dual_add_nc_u32 v12, 19, v0
	v_lshlrev_b64_e64 v[8:9], v8, -1
	s_delay_alu instid0(VALU_DEP_2) | instskip(NEXT) | instid1(VALU_DEP_2)
	v_lshlrev_b64_e64 v[12:13], v12, 1
	v_bfi_b32 v9, v9, 0, 0
	s_delay_alu instid0(VALU_DEP_3) | instskip(NEXT) | instid1(VALU_DEP_1)
	v_bfi_b32 v8, v8, 0, v2
	v_cmp_eq_u64_e64 s13, v[8:9], v[12:13]
	v_lshrrev_b64 v[8:9], v0, v[2:3]
	s_delay_alu instid0(VALU_DEP_1)
	v_mov_b64_e32 v[12:13], v[8:9]
	s_and_saveexec_b32 s76, s13
; %bb.2264:                             ;   in Loop: Header=BB6_356 Depth=4
	v_bfe_u32 v2, v8, 20, 1
	s_delay_alu instid0(VALU_DEP_1) | instskip(NEXT) | instid1(VALU_DEP_1)
	v_add_nc_u64_e32 v[12:13], v[8:9], v[2:3]
	v_add_nc_u64_e32 v[12:13], -1, v[12:13]
; %bb.2265:                             ;   in Loop: Header=BB6_356 Depth=4
	s_or_b32 exec_lo, exec_lo, s76
	v_add_nc_u32_e32 v2, 0xffffff81, v67
	v_lshrrev_b32_e32 v9, 23, v8
	s_mov_b32 s13, exec_lo
	s_delay_alu instid0(VALU_DEP_2) | instskip(NEXT) | instid1(VALU_DEP_1)
	v_cndmask_b32_e64 v2, v2, 0xffffff82, vcc_lo
	v_add3_u32 v13, v0, v2, v9
	v_and_b32_e32 v0, 0xfffff, v12
	s_delay_alu instid0(VALU_DEP_1) | instskip(NEXT) | instid1(VALU_DEP_1)
	v_dual_add_nc_u32 v12, 6, v13 :: v_dual_add_nc_u32 v2, v0, v8
                                        ; implicit-def: $vgpr8_vgpr9
                                        ; implicit-def: $vgpr0
	v_cmpx_ne_u32_e32 0, v12
	s_xor_b32 s13, exec_lo, s13
; %bb.2266:                             ;   in Loop: Header=BB6_356 Depth=4
	s_delay_alu instid0(VALU_DEP_2) | instskip(SKIP_2) | instid1(VALU_DEP_2)
	v_cmp_lt_u64_e32 vcc_lo, 0xffffff, v[2:3]
	v_add_nc_u32_e32 v0, 7, v13
	v_cndmask_b32_e64 v8, 0, 1, vcc_lo
	v_cndmask_b32_e32 v0, v12, v0, vcc_lo
	s_delay_alu instid0(VALU_DEP_2)
	v_lshrrev_b64 v[8:9], v8, v[2:3]
; %bb.2267:                             ;   in Loop: Header=BB6_356 Depth=4
	s_and_not1_saveexec_b32 s13, s13
; %bb.2268:                             ;   in Loop: Header=BB6_356 Depth=4
	v_mov_b64_e32 v[8:9], v[2:3]
	v_bfe_u32 v0, v2, 23, 1
; %bb.2269:                             ;   in Loop: Header=BB6_356 Depth=4
	s_or_b32 exec_lo, exec_lo, s13
	s_delay_alu instid0(VALU_DEP_2) | instskip(NEXT) | instid1(VALU_DEP_2)
	v_lshrrev_b64 v[8:9], 20, v[8:9]
	v_cmp_gt_i32_e32 vcc_lo, 16, v0
	v_min_i32_e32 v2, 15, v0
	v_cmp_eq_u32_e64 s13, 0, v0
	s_delay_alu instid0(VALU_DEP_2) | instskip(SKIP_1) | instid1(VALU_DEP_2)
	v_dual_cndmask_b32 v9, 0, v9 :: v_dual_lshlrev_b32 v2, 3, v2
	v_cndmask_b32_e32 v8, 7, v8, vcc_lo
	v_and_b32_e32 v2, 0xf8, v2
	s_delay_alu instid0(VALU_DEP_2) | instskip(NEXT) | instid1(VALU_DEP_2)
	v_cmp_eq_u64_e32 vcc_lo, 0, v[8:9]
	v_and_or_b32 v0, v8, 7, v2
	s_and_b32 s13, s13, vcc_lo
	s_delay_alu instid0(VALU_DEP_1) | instid1(SALU_CYCLE_1)
	v_cndmask_b32_e64 v0, v0, 0, s13
	s_delay_alu instid0(VALU_DEP_1)
	v_or_b32_e32 v67, v0, v123
.LBB6_2270:                             ;   in Loop: Header=BB6_356 Depth=4
	s_or_b32 exec_lo, exec_lo, s75
                                        ; implicit-def: $vgpr123
.LBB6_2271:                             ;   in Loop: Header=BB6_356 Depth=4
	s_and_not1_saveexec_b32 s13, s74
; %bb.2272:                             ;   in Loop: Header=BB6_356 Depth=4
	v_or_b32_e32 v67, 0x7e, v123
; %bb.2273:                             ;   in Loop: Header=BB6_356 Depth=4
	s_or_b32 exec_lo, exec_lo, s13
                                        ; implicit-def: $vgpr8
.LBB6_2274:                             ;   in Loop: Header=BB6_356 Depth=4
	s_and_not1_saveexec_b32 s13, s73
; %bb.2275:                             ;   in Loop: Header=BB6_356 Depth=4
	v_or_b32_e32 v67, 0x7f, v8
; %bb.2276:                             ;   in Loop: Header=BB6_356 Depth=4
	s_or_b32 exec_lo, exec_lo, s13
	v_dual_lshrrev_b32 v0, 16, v15 :: v_dual_mov_b32 v8, 0
	v_mov_b32_e32 v9, 0
	s_mov_b32 s13, exec_lo
	s_delay_alu instid0(VALU_DEP_2) | instskip(NEXT) | instid1(VALU_DEP_1)
	v_and_b32_e32 v2, 0xff, v0
	v_cmpx_ne_u16_e32 0, v2
	s_cbranch_execz .LBB6_2284
; %bb.2277:                             ;   in Loop: Header=BB6_356 Depth=4
	v_bfrev_b32_e32 v9, 1
	s_mov_b32 s73, exec_lo
	v_cmpx_ne_u16_e32 0x80, v2
	s_cbranch_execz .LBB6_2283
; %bb.2278:                             ;   in Loop: Header=BB6_356 Depth=4
	v_bfe_u32 v12, v15, 16, 7
	v_mov_b32_e32 v9, 0x7f800001
	s_mov_b32 s74, exec_lo
	s_delay_alu instid0(VALU_DEP_2)
	v_cmpx_ne_u32_e32 0x7f, v12
	s_cbranch_execz .LBB6_2282
; %bb.2279:                             ;   in Loop: Header=BB6_356 Depth=4
	v_and_b32_e32 v2, 7, v0
	v_lshrrev_b32_e32 v9, 3, v12
	s_mov_b32 s75, exec_lo
	v_cmpx_gt_u32_e32 8, v12
; %bb.2280:                             ;   in Loop: Header=BB6_356 Depth=4
	s_delay_alu instid0(VALU_DEP_3) | instskip(NEXT) | instid1(VALU_DEP_1)
	v_clz_i32_u32_e32 v9, v2
	v_min_u32_e32 v9, 32, v9
	s_delay_alu instid0(VALU_DEP_1) | instskip(NEXT) | instid1(VALU_DEP_1)
	v_subrev_nc_u32_e32 v12, 28, v9
	v_lshlrev_b64_e32 v[12:13], v12, v[2:3]
	s_delay_alu instid0(VALU_DEP_1)
	v_dual_sub_nc_u32 v9, 29, v9 :: v_dual_bitop2_b32 v2, 7, v12 bitop3:0x40
; %bb.2281:                             ;   in Loop: Header=BB6_356 Depth=4
	s_or_b32 exec_lo, exec_lo, s75
	s_delay_alu instid0(VALU_DEP_1) | instskip(NEXT) | instid1(VALU_DEP_2)
	v_dual_lshlrev_b32 v0, 24, v0 :: v_dual_lshlrev_b32 v2, 20, v2
	v_lshl_add_u32 v9, v9, 23, 0x3c000000
	s_delay_alu instid0(VALU_DEP_2) | instskip(NEXT) | instid1(VALU_DEP_1)
	v_and_b32_e32 v0, 0x80000000, v0
	v_or3_b32 v9, v2, v0, v9
.LBB6_2282:                             ;   in Loop: Header=BB6_356 Depth=4
	s_or_b32 exec_lo, exec_lo, s74
.LBB6_2283:                             ;   in Loop: Header=BB6_356 Depth=4
	s_delay_alu instid0(SALU_CYCLE_1)
	s_or_b32 exec_lo, exec_lo, s73
.LBB6_2284:                             ;   in Loop: Header=BB6_356 Depth=4
	s_delay_alu instid0(SALU_CYCLE_1) | instskip(SKIP_2) | instid1(VALU_DEP_1)
	s_or_b32 exec_lo, exec_lo, s13
	v_lshrrev_b32_e32 v0, 16, v11
	s_mov_b32 s13, exec_lo
	v_and_b32_e32 v2, 0xff, v0
	s_delay_alu instid0(VALU_DEP_1)
	v_cmpx_ne_u16_e32 0, v2
	s_cbranch_execz .LBB6_2292
; %bb.2285:                             ;   in Loop: Header=BB6_356 Depth=4
	v_bfrev_b32_e32 v8, 1
	s_mov_b32 s73, exec_lo
	v_cmpx_ne_u16_e32 0x80, v2
	s_cbranch_execz .LBB6_2291
; %bb.2286:                             ;   in Loop: Header=BB6_356 Depth=4
	v_bfe_u32 v12, v11, 16, 7
	v_mov_b32_e32 v8, 0x7f800001
	s_mov_b32 s74, exec_lo
	s_delay_alu instid0(VALU_DEP_2)
	v_cmpx_ne_u32_e32 0x7f, v12
	s_cbranch_execz .LBB6_2290
; %bb.2287:                             ;   in Loop: Header=BB6_356 Depth=4
	v_and_b32_e32 v2, 7, v0
	v_lshrrev_b32_e32 v0, 3, v12
	s_mov_b32 s75, exec_lo
	v_cmpx_gt_u32_e32 8, v12
; %bb.2288:                             ;   in Loop: Header=BB6_356 Depth=4
	s_delay_alu instid0(VALU_DEP_3) | instskip(NEXT) | instid1(VALU_DEP_1)
	v_clz_i32_u32_e32 v0, v2
	v_min_u32_e32 v0, 32, v0
	s_delay_alu instid0(VALU_DEP_1) | instskip(SKIP_1) | instid1(VALU_DEP_2)
	v_subrev_nc_u32_e32 v8, 28, v0
	v_sub_nc_u32_e32 v0, 29, v0
	v_lshlrev_b64_e32 v[12:13], v8, v[2:3]
	s_delay_alu instid0(VALU_DEP_1)
	v_and_b32_e32 v2, 7, v12
; %bb.2289:                             ;   in Loop: Header=BB6_356 Depth=4
	s_or_b32 exec_lo, exec_lo, s75
	s_delay_alu instid0(VALU_DEP_1) | instskip(SKIP_1) | instid1(VALU_DEP_2)
	v_dual_lshlrev_b32 v8, 8, v11 :: v_dual_lshlrev_b32 v2, 20, v2
	v_lshl_add_u32 v0, v0, 23, 0x3c000000
	v_and_b32_e32 v8, 0x80000000, v8
	s_delay_alu instid0(VALU_DEP_1)
	v_or3_b32 v8, v2, v8, v0
.LBB6_2290:                             ;   in Loop: Header=BB6_356 Depth=4
	s_or_b32 exec_lo, exec_lo, s74
.LBB6_2291:                             ;   in Loop: Header=BB6_356 Depth=4
	s_delay_alu instid0(SALU_CYCLE_1)
	s_or_b32 exec_lo, exec_lo, s73
.LBB6_2292:                             ;   in Loop: Header=BB6_356 Depth=4
	s_delay_alu instid0(SALU_CYCLE_1) | instskip(NEXT) | instid1(VALU_DEP_1)
	s_or_b32 exec_lo, exec_lo, s13
	v_add_f32_e32 v0, v9, v8
                                        ; implicit-def: $vgpr12
	s_mov_b32 s13, exec_lo
	s_delay_alu instid0(VALU_DEP_1) | instskip(SKIP_1) | instid1(VALU_DEP_2)
	v_and_b32_e32 v2, 0x7f800000, v0
	v_lshrrev_b32_e32 v8, 24, v0
	v_cmpx_ne_u64_e32 0x7f800000, v[2:3]
	s_xor_b32 s73, exec_lo, s13
	s_cbranch_execz .LBB6_2306
; %bb.2293:                             ;   in Loop: Header=BB6_356 Depth=4
	v_and_b32_e32 v2, 0x7fffffff, v0
	v_and_b32_e32 v123, 0x80, v8
                                        ; implicit-def: $vgpr12
	s_mov_b32 s13, exec_lo
	s_delay_alu instid0(VALU_DEP_2)
	v_cmpx_gt_u64_e32 0x43e00001, v[2:3]
	s_xor_b32 s74, exec_lo, s13
	s_cbranch_execz .LBB6_2303
; %bb.2294:                             ;   in Loop: Header=BB6_356 Depth=4
	v_mov_b32_e32 v12, 0
	s_mov_b32 s75, exec_lo
	v_cmpx_ne_u32_e32 0, v0
	s_cbranch_execz .LBB6_2302
; %bb.2295:                             ;   in Loop: Header=BB6_356 Depth=4
	v_and_b32_e32 v2, 0x7fffff, v0
	v_bfe_u32 v0, v0, 23, 8
	s_delay_alu instid0(VALU_DEP_2) | instskip(NEXT) | instid1(VALU_DEP_2)
	v_or_b32_e32 v9, 0x800000, v2
	v_cmp_gt_u32_e64 s13, 0x7a, v0
	v_sub_nc_u32_e32 v8, 0x79, v0
	v_cmp_eq_u32_e32 vcc_lo, 0, v0
	s_delay_alu instid0(VALU_DEP_2) | instskip(NEXT) | instid1(VALU_DEP_1)
	v_dual_cndmask_b32 v8, 0, v8, s13 :: v_dual_cndmask_b32 v2, v9, v2, vcc_lo
	v_cndmask_b32_e64 v52, v8, 0x78, vcc_lo
	s_delay_alu instid0(VALU_DEP_1) | instskip(NEXT) | instid1(VALU_DEP_1)
	v_dual_add_nc_u32 v8, 20, v52 :: v_dual_add_nc_u32 v12, 19, v52
	v_lshlrev_b64_e64 v[8:9], v8, -1
	s_delay_alu instid0(VALU_DEP_2) | instskip(NEXT) | instid1(VALU_DEP_2)
	v_lshlrev_b64_e64 v[12:13], v12, 1
	v_bfi_b32 v9, v9, 0, 0
	s_delay_alu instid0(VALU_DEP_3) | instskip(NEXT) | instid1(VALU_DEP_1)
	v_bfi_b32 v8, v8, 0, v2
	v_cmp_eq_u64_e64 s13, v[8:9], v[12:13]
	v_lshrrev_b64 v[8:9], v52, v[2:3]
	s_delay_alu instid0(VALU_DEP_1)
	v_mov_b64_e32 v[12:13], v[8:9]
	s_and_saveexec_b32 s76, s13
; %bb.2296:                             ;   in Loop: Header=BB6_356 Depth=4
	v_bfe_u32 v2, v8, 20, 1
	s_delay_alu instid0(VALU_DEP_1) | instskip(NEXT) | instid1(VALU_DEP_1)
	v_add_nc_u64_e32 v[12:13], v[8:9], v[2:3]
	v_add_nc_u64_e32 v[12:13], -1, v[12:13]
; %bb.2297:                             ;   in Loop: Header=BB6_356 Depth=4
	s_or_b32 exec_lo, exec_lo, s76
	v_add_nc_u32_e32 v0, 0xffffff81, v0
	v_lshrrev_b32_e32 v2, 23, v8
	s_mov_b32 s13, exec_lo
	s_delay_alu instid0(VALU_DEP_2) | instskip(NEXT) | instid1(VALU_DEP_1)
	v_cndmask_b32_e64 v0, v0, 0xffffff82, vcc_lo
	v_add3_u32 v13, v52, v0, v2
	v_and_b32_e32 v0, 0xfffff, v12
	s_delay_alu instid0(VALU_DEP_1) | instskip(NEXT) | instid1(VALU_DEP_1)
	v_dual_add_nc_u32 v12, 6, v13 :: v_dual_add_nc_u32 v2, v0, v8
                                        ; implicit-def: $vgpr8_vgpr9
                                        ; implicit-def: $vgpr0
	v_cmpx_ne_u32_e32 0, v12
	s_xor_b32 s13, exec_lo, s13
; %bb.2298:                             ;   in Loop: Header=BB6_356 Depth=4
	s_delay_alu instid0(VALU_DEP_2) | instskip(SKIP_2) | instid1(VALU_DEP_2)
	v_cmp_lt_u64_e32 vcc_lo, 0xffffff, v[2:3]
	v_add_nc_u32_e32 v0, 7, v13
	v_cndmask_b32_e64 v8, 0, 1, vcc_lo
	v_cndmask_b32_e32 v0, v12, v0, vcc_lo
	s_delay_alu instid0(VALU_DEP_2)
	v_lshrrev_b64 v[8:9], v8, v[2:3]
; %bb.2299:                             ;   in Loop: Header=BB6_356 Depth=4
	s_and_not1_saveexec_b32 s13, s13
; %bb.2300:                             ;   in Loop: Header=BB6_356 Depth=4
	v_mov_b64_e32 v[8:9], v[2:3]
	v_bfe_u32 v0, v2, 23, 1
; %bb.2301:                             ;   in Loop: Header=BB6_356 Depth=4
	s_or_b32 exec_lo, exec_lo, s13
	s_delay_alu instid0(VALU_DEP_2) | instskip(NEXT) | instid1(VALU_DEP_2)
	v_lshrrev_b64 v[8:9], 20, v[8:9]
	v_cmp_gt_i32_e32 vcc_lo, 16, v0
	v_min_i32_e32 v2, 15, v0
	v_cmp_eq_u32_e64 s13, 0, v0
	s_delay_alu instid0(VALU_DEP_2) | instskip(SKIP_1) | instid1(VALU_DEP_2)
	v_dual_cndmask_b32 v9, 0, v9 :: v_dual_lshlrev_b32 v2, 3, v2
	v_cndmask_b32_e32 v8, 7, v8, vcc_lo
	v_and_b32_e32 v2, 0xf8, v2
	s_delay_alu instid0(VALU_DEP_2) | instskip(NEXT) | instid1(VALU_DEP_2)
	v_cmp_eq_u64_e32 vcc_lo, 0, v[8:9]
	v_and_or_b32 v0, v8, 7, v2
	s_and_b32 s13, s13, vcc_lo
	s_delay_alu instid0(VALU_DEP_1) | instid1(SALU_CYCLE_1)
	v_cndmask_b32_e64 v0, v0, 0, s13
	s_delay_alu instid0(VALU_DEP_1)
	v_or_b32_e32 v12, v0, v123
.LBB6_2302:                             ;   in Loop: Header=BB6_356 Depth=4
	s_or_b32 exec_lo, exec_lo, s75
                                        ; implicit-def: $vgpr123
.LBB6_2303:                             ;   in Loop: Header=BB6_356 Depth=4
	s_and_not1_saveexec_b32 s13, s74
; %bb.2304:                             ;   in Loop: Header=BB6_356 Depth=4
	v_or_b32_e32 v12, 0x7e, v123
; %bb.2305:                             ;   in Loop: Header=BB6_356 Depth=4
	s_or_b32 exec_lo, exec_lo, s13
                                        ; implicit-def: $vgpr8
.LBB6_2306:                             ;   in Loop: Header=BB6_356 Depth=4
	s_and_not1_saveexec_b32 s13, s73
; %bb.2307:                             ;   in Loop: Header=BB6_356 Depth=4
	v_or_b32_e32 v12, 0x7f, v8
; %bb.2308:                             ;   in Loop: Header=BB6_356 Depth=4
	s_or_b32 exec_lo, exec_lo, s13
	v_dual_mov_b32 v8, 0 :: v_dual_mov_b32 v9, 0
	s_mov_b32 s13, exec_lo
	v_cmpx_lt_u64_e64 s[22:23], v[14:15]
	s_cbranch_execz .LBB6_2316
; %bb.2309:                             ;   in Loop: Header=BB6_356 Depth=4
	v_lshrrev_b32_e32 v0, 24, v15
	v_bfrev_b32_e32 v9, 1
	s_mov_b32 s73, exec_lo
	s_delay_alu instid0(VALU_DEP_2)
	v_cmpx_ne_u32_e32 0x80, v0
	s_cbranch_execz .LBB6_2315
; %bb.2310:                             ;   in Loop: Header=BB6_356 Depth=4
	v_bfe_u32 v13, v15, 24, 7
	v_mov_b32_e32 v9, 0x7f800001
	s_mov_b32 s74, exec_lo
	s_delay_alu instid0(VALU_DEP_2)
	v_cmpx_ne_u32_e32 0x7f, v13
	s_cbranch_execz .LBB6_2314
; %bb.2311:                             ;   in Loop: Header=BB6_356 Depth=4
	v_dual_lshrrev_b32 v9, 3, v13 :: v_dual_bitop2_b32 v2, 7, v0 bitop3:0x40
	s_mov_b32 s75, exec_lo
	v_cmpx_gt_u32_e32 8, v13
; %bb.2312:                             ;   in Loop: Header=BB6_356 Depth=4
	s_delay_alu instid0(VALU_DEP_2) | instskip(NEXT) | instid1(VALU_DEP_1)
	v_clz_i32_u32_e32 v9, v2
	v_min_u32_e32 v9, 32, v9
	s_delay_alu instid0(VALU_DEP_1) | instskip(NEXT) | instid1(VALU_DEP_1)
	v_subrev_nc_u32_e32 v13, 28, v9
	v_lshlrev_b64_e32 v[14:15], v13, v[2:3]
	s_delay_alu instid0(VALU_DEP_1)
	v_dual_sub_nc_u32 v9, 29, v9 :: v_dual_bitop2_b32 v2, 7, v14 bitop3:0x40
; %bb.2313:                             ;   in Loop: Header=BB6_356 Depth=4
	s_or_b32 exec_lo, exec_lo, s75
	s_delay_alu instid0(VALU_DEP_1) | instskip(NEXT) | instid1(VALU_DEP_2)
	v_dual_lshlrev_b32 v0, 24, v0 :: v_dual_lshlrev_b32 v2, 20, v2
	v_lshl_add_u32 v9, v9, 23, 0x3c000000
	s_delay_alu instid0(VALU_DEP_2) | instskip(NEXT) | instid1(VALU_DEP_1)
	v_and_b32_e32 v0, 0x80000000, v0
	v_or3_b32 v9, v2, v0, v9
.LBB6_2314:                             ;   in Loop: Header=BB6_356 Depth=4
	s_or_b32 exec_lo, exec_lo, s74
.LBB6_2315:                             ;   in Loop: Header=BB6_356 Depth=4
	s_delay_alu instid0(SALU_CYCLE_1)
	s_or_b32 exec_lo, exec_lo, s73
.LBB6_2316:                             ;   in Loop: Header=BB6_356 Depth=4
	s_delay_alu instid0(SALU_CYCLE_1) | instskip(NEXT) | instid1(SALU_CYCLE_1)
	s_or_b32 exec_lo, exec_lo, s13
	s_mov_b32 s13, exec_lo
	v_cmpx_lt_u64_e64 s[22:23], v[10:11]
	s_cbranch_execz .LBB6_2324
; %bb.2317:                             ;   in Loop: Header=BB6_356 Depth=4
	v_lshrrev_b32_e32 v0, 24, v11
	v_bfrev_b32_e32 v8, 1
	s_mov_b32 s73, exec_lo
	s_delay_alu instid0(VALU_DEP_2)
	v_cmpx_ne_u32_e32 0x80, v0
	s_cbranch_execz .LBB6_2323
; %bb.2318:                             ;   in Loop: Header=BB6_356 Depth=4
	v_bfe_u32 v10, v11, 24, 7
	v_mov_b32_e32 v8, 0x7f800001
	s_mov_b32 s74, exec_lo
	s_delay_alu instid0(VALU_DEP_2)
	v_cmpx_ne_u32_e32 0x7f, v10
	s_cbranch_execz .LBB6_2322
; %bb.2319:                             ;   in Loop: Header=BB6_356 Depth=4
	v_dual_lshrrev_b32 v8, 3, v10 :: v_dual_bitop2_b32 v2, 7, v0 bitop3:0x40
	s_mov_b32 s75, exec_lo
	v_cmpx_gt_u32_e32 8, v10
; %bb.2320:                             ;   in Loop: Header=BB6_356 Depth=4
	s_delay_alu instid0(VALU_DEP_2) | instskip(NEXT) | instid1(VALU_DEP_1)
	v_clz_i32_u32_e32 v8, v2
	v_min_u32_e32 v8, 32, v8
	s_delay_alu instid0(VALU_DEP_1) | instskip(NEXT) | instid1(VALU_DEP_1)
	v_subrev_nc_u32_e32 v10, 28, v8
	v_lshlrev_b64_e32 v[10:11], v10, v[2:3]
	s_delay_alu instid0(VALU_DEP_1)
	v_dual_sub_nc_u32 v8, 29, v8 :: v_dual_bitop2_b32 v2, 7, v10 bitop3:0x40
; %bb.2321:                             ;   in Loop: Header=BB6_356 Depth=4
	s_or_b32 exec_lo, exec_lo, s75
	s_delay_alu instid0(VALU_DEP_1) | instskip(NEXT) | instid1(VALU_DEP_2)
	v_dual_lshlrev_b32 v0, 24, v0 :: v_dual_lshlrev_b32 v2, 20, v2
	v_lshl_add_u32 v8, v8, 23, 0x3c000000
	s_delay_alu instid0(VALU_DEP_2) | instskip(NEXT) | instid1(VALU_DEP_1)
	v_and_b32_e32 v0, 0x80000000, v0
	v_or3_b32 v8, v2, v0, v8
.LBB6_2322:                             ;   in Loop: Header=BB6_356 Depth=4
	s_or_b32 exec_lo, exec_lo, s74
.LBB6_2323:                             ;   in Loop: Header=BB6_356 Depth=4
	s_delay_alu instid0(SALU_CYCLE_1)
	s_or_b32 exec_lo, exec_lo, s73
.LBB6_2324:                             ;   in Loop: Header=BB6_356 Depth=4
	s_delay_alu instid0(SALU_CYCLE_1) | instskip(NEXT) | instid1(VALU_DEP_1)
	s_or_b32 exec_lo, exec_lo, s13
	v_add_f32_e32 v0, v9, v8
	s_delay_alu instid0(VALU_DEP_1) | instskip(SKIP_1) | instid1(VALU_DEP_2)
	v_and_b32_e32 v2, 0x7f800000, v0
	v_lshrrev_b32_e32 v8, 24, v0
	v_cmp_ne_u64_e32 vcc_lo, 0x7f800000, v[2:3]
                                        ; implicit-def: $vgpr2
	s_and_saveexec_b32 s13, vcc_lo
	s_delay_alu instid0(SALU_CYCLE_1)
	s_xor_b32 s73, exec_lo, s13
	s_cbranch_execz .LBB6_2338
; %bb.2325:                             ;   in Loop: Header=BB6_356 Depth=4
	v_and_b32_e32 v2, 0x7fffffff, v0
	v_and_b32_e32 v13, 0x80, v8
	s_delay_alu instid0(VALU_DEP_2) | instskip(SKIP_1) | instid1(SALU_CYCLE_1)
	v_cmp_gt_u64_e32 vcc_lo, 0x43e00001, v[2:3]
                                        ; implicit-def: $vgpr2
	s_and_saveexec_b32 s13, vcc_lo
	s_xor_b32 s74, exec_lo, s13
	s_cbranch_execz .LBB6_2335
; %bb.2326:                             ;   in Loop: Header=BB6_356 Depth=4
	v_mov_b32_e32 v2, 0
	s_mov_b32 s75, exec_lo
	v_cmpx_ne_u32_e32 0, v0
	s_cbranch_execz .LBB6_2334
; %bb.2327:                             ;   in Loop: Header=BB6_356 Depth=4
	v_and_b32_e32 v2, 0x7fffff, v0
	v_bfe_u32 v0, v0, 23, 8
	s_delay_alu instid0(VALU_DEP_2) | instskip(NEXT) | instid1(VALU_DEP_2)
	v_or_b32_e32 v9, 0x800000, v2
	v_cmp_gt_u32_e64 s13, 0x7a, v0
	v_sub_nc_u32_e32 v8, 0x79, v0
	v_cmp_eq_u32_e32 vcc_lo, 0, v0
	s_delay_alu instid0(VALU_DEP_2) | instskip(NEXT) | instid1(VALU_DEP_1)
	v_dual_cndmask_b32 v8, 0, v8, s13 :: v_dual_cndmask_b32 v2, v9, v2, vcc_lo
	v_cndmask_b32_e64 v14, v8, 0x78, vcc_lo
	s_delay_alu instid0(VALU_DEP_1) | instskip(NEXT) | instid1(VALU_DEP_1)
	v_dual_add_nc_u32 v8, 20, v14 :: v_dual_add_nc_u32 v10, 19, v14
	v_lshlrev_b64_e64 v[8:9], v8, -1
	s_delay_alu instid0(VALU_DEP_2) | instskip(NEXT) | instid1(VALU_DEP_2)
	v_lshlrev_b64_e64 v[10:11], v10, 1
	v_bfi_b32 v9, v9, 0, 0
	s_delay_alu instid0(VALU_DEP_3) | instskip(NEXT) | instid1(VALU_DEP_1)
	v_bfi_b32 v8, v8, 0, v2
	v_cmp_eq_u64_e64 s13, v[8:9], v[10:11]
	v_lshrrev_b64 v[8:9], v14, v[2:3]
	s_delay_alu instid0(VALU_DEP_1)
	v_mov_b64_e32 v[10:11], v[8:9]
	s_and_saveexec_b32 s76, s13
; %bb.2328:                             ;   in Loop: Header=BB6_356 Depth=4
	v_bfe_u32 v2, v8, 20, 1
	s_delay_alu instid0(VALU_DEP_1) | instskip(NEXT) | instid1(VALU_DEP_1)
	v_add_nc_u64_e32 v[10:11], v[8:9], v[2:3]
	v_add_nc_u64_e32 v[10:11], -1, v[10:11]
; %bb.2329:                             ;   in Loop: Header=BB6_356 Depth=4
	s_or_b32 exec_lo, exec_lo, s76
	v_add_nc_u32_e32 v0, 0xffffff81, v0
	v_lshrrev_b32_e32 v2, 23, v8
	s_mov_b32 s13, exec_lo
	s_delay_alu instid0(VALU_DEP_2) | instskip(NEXT) | instid1(VALU_DEP_1)
	v_cndmask_b32_e64 v0, v0, 0xffffff82, vcc_lo
	v_add3_u32 v11, v14, v0, v2
	v_and_b32_e32 v0, 0xfffff, v10
	s_delay_alu instid0(VALU_DEP_1) | instskip(NEXT) | instid1(VALU_DEP_1)
	v_dual_add_nc_u32 v10, 6, v11 :: v_dual_add_nc_u32 v2, v0, v8
                                        ; implicit-def: $vgpr8_vgpr9
                                        ; implicit-def: $vgpr0
	v_cmpx_ne_u32_e32 0, v10
	s_xor_b32 s13, exec_lo, s13
; %bb.2330:                             ;   in Loop: Header=BB6_356 Depth=4
	s_delay_alu instid0(VALU_DEP_2) | instskip(SKIP_2) | instid1(VALU_DEP_2)
	v_cmp_lt_u64_e32 vcc_lo, 0xffffff, v[2:3]
	v_add_nc_u32_e32 v0, 7, v11
	v_cndmask_b32_e64 v8, 0, 1, vcc_lo
	v_cndmask_b32_e32 v0, v10, v0, vcc_lo
	s_delay_alu instid0(VALU_DEP_2)
	v_lshrrev_b64 v[8:9], v8, v[2:3]
; %bb.2331:                             ;   in Loop: Header=BB6_356 Depth=4
	s_and_not1_saveexec_b32 s13, s13
; %bb.2332:                             ;   in Loop: Header=BB6_356 Depth=4
	v_mov_b64_e32 v[8:9], v[2:3]
	v_bfe_u32 v0, v2, 23, 1
; %bb.2333:                             ;   in Loop: Header=BB6_356 Depth=4
	s_or_b32 exec_lo, exec_lo, s13
	s_delay_alu instid0(VALU_DEP_2) | instskip(NEXT) | instid1(VALU_DEP_2)
	v_lshrrev_b64 v[8:9], 20, v[8:9]
	v_cmp_gt_i32_e32 vcc_lo, 16, v0
	v_min_i32_e32 v2, 15, v0
	v_cmp_eq_u32_e64 s13, 0, v0
	s_delay_alu instid0(VALU_DEP_2) | instskip(SKIP_1) | instid1(VALU_DEP_2)
	v_dual_cndmask_b32 v9, 0, v9 :: v_dual_lshlrev_b32 v2, 3, v2
	v_cndmask_b32_e32 v8, 7, v8, vcc_lo
	v_and_b32_e32 v2, 0xf8, v2
	s_delay_alu instid0(VALU_DEP_2) | instskip(NEXT) | instid1(VALU_DEP_2)
	v_cmp_eq_u64_e32 vcc_lo, 0, v[8:9]
	v_and_or_b32 v0, v8, 7, v2
	s_and_b32 s13, s13, vcc_lo
	s_delay_alu instid0(VALU_DEP_1) | instid1(SALU_CYCLE_1)
	v_cndmask_b32_e64 v0, v0, 0, s13
	s_delay_alu instid0(VALU_DEP_1)
	v_or_b32_e32 v2, v0, v13
.LBB6_2334:                             ;   in Loop: Header=BB6_356 Depth=4
	s_or_b32 exec_lo, exec_lo, s75
                                        ; implicit-def: $vgpr13
.LBB6_2335:                             ;   in Loop: Header=BB6_356 Depth=4
	s_and_not1_saveexec_b32 s13, s74
; %bb.2336:                             ;   in Loop: Header=BB6_356 Depth=4
	v_or_b32_e32 v2, 0x7e, v13
; %bb.2337:                             ;   in Loop: Header=BB6_356 Depth=4
	s_or_b32 exec_lo, exec_lo, s13
                                        ; implicit-def: $vgpr8
.LBB6_2338:                             ;   in Loop: Header=BB6_356 Depth=4
	s_and_not1_saveexec_b32 s13, s73
	s_cbranch_execz .LBB6_355
; %bb.2339:                             ;   in Loop: Header=BB6_356 Depth=4
	v_or_b32_e32 v2, 0x7f, v8
	s_branch .LBB6_355
.LBB6_2340:                             ;   in Loop: Header=BB6_274 Depth=3
	s_or_b32 exec_lo, exec_lo, s15
	s_clause 0x1
	scratch_load_b32 v42, off, s33 offset:212
	scratch_load_b32 v95, off, s33 offset:216
	v_dual_mov_b32 v43, 1 :: v_dual_mov_b32 v94, 0x90
.LBB6_2341:                             ;   in Loop: Header=BB6_274 Depth=3
	s_wait_xcnt 0x0
	s_or_b32 exec_lo, exec_lo, s14
	v_dual_mov_b32 v1, 0 :: v_dual_lshlrev_b32 v28, 11, v54
	s_mov_b32 s13, 0
	s_mov_b32 s73, exec_lo
                                        ; implicit-def: $vgpr4
                                        ; implicit-def: $vgpr5
                                        ; implicit-def: $vgpr2
	s_delay_alu instid0(VALU_DEP_1)
	v_cmpx_ne_u32_e64 v75, v28
	s_cbranch_execz .LBB6_2845
; %bb.2342:                             ;   in Loop: Header=BB6_274 Depth=3
	scratch_load_b32 v1, off, s33 offset:220 ; 4-byte Folded Reload
	v_dual_lshlrev_b32 v0, 5, v77 :: v_dual_sub_nc_u32 v2, v75, v28
	s_mov_b32 s74, exec_lo
	s_delay_alu instid0(VALU_DEP_1) | instskip(NEXT) | instid1(VALU_DEP_1)
	v_ashrrev_i32_e32 v4, 31, v2
	v_lshrrev_b32_e32 v4, 23, v4
	s_wait_loadcnt 0x0
	v_sub_nc_u32_e32 v0, v1, v0
	s_delay_alu instid0(VALU_DEP_1) | instskip(NEXT) | instid1(VALU_DEP_1)
	v_ashrrev_i32_e32 v1, 31, v0
	v_lshrrev_b32_e32 v1, 27, v1
	s_delay_alu instid0(VALU_DEP_1) | instskip(NEXT) | instid1(VALU_DEP_1)
	v_add_nc_u32_e32 v1, v0, v1
	v_and_b32_e32 v5, 0xffffffe0, v1
	s_delay_alu instid0(VALU_DEP_1) | instskip(NEXT) | instid1(VALU_DEP_1)
	v_dual_add_nc_u32 v4, v2, v4 :: v_dual_sub_nc_u32 v31, v0, v5
	v_and_b32_e32 v29, 0xfffffe00, v4
	v_dual_ashrrev_i32 v5, 5, v1 :: v_dual_ashrrev_i32 v1, 9, v4
	s_delay_alu instid0(VALU_DEP_2) | instskip(NEXT) | instid1(VALU_DEP_1)
	v_dual_lshlrev_b32 v0, 4, v31 :: v_dual_sub_nc_u32 v32, v2, v29
	v_lshl_add_u32 v0, v5, 9, v0
	s_delay_alu instid0(VALU_DEP_2) | instskip(NEXT) | instid1(VALU_DEP_4)
	v_cmp_lt_i32_e32 vcc_lo, 15, v32
	v_add_co_ci_u32_e64 v4, null, 0, v1, vcc_lo
	s_delay_alu instid0(VALU_DEP_1) | instskip(SKIP_1) | instid1(VALU_DEP_1)
	v_dual_sub_nc_u32 v1, v2, v0 :: v_dual_sub_nc_u32 v33, v4, v5
	s_wait_xcnt 0x0
	v_cmpx_lt_i32_e32 15, v1
	s_cbranch_execz .LBB6_2842
; %bb.2343:                             ;   in Loop: Header=BB6_274 Depth=3
	s_trap 2
	ds_load_b64 v[4:5], v0
	v_add_nc_u32_e32 v8, v0, v28
	s_mov_b32 s75, 0
	s_delay_alu instid0(VALU_DEP_1) | instskip(NEXT) | instid1(VALU_DEP_1)
	v_ashrrev_i32_e32 v9, 31, v8
	v_add_nc_u64_e32 v[16:17], v[8:9], v[88:89]
	v_add_nc_u64_e32 v[20:21], v[8:9], v[90:91]
	s_wait_dscnt 0x0
	v_add_nc_u64_e32 v[18:19], v[4:5], v[8:9]
	s_branch .LBB6_2345
.LBB6_2344:                             ;   in Loop: Header=BB6_2345 Depth=4
	s_or_b32 exec_lo, exec_lo, s13
	v_lshl_or_b32 v2, v27, 8, v26
	v_dual_lshlrev_b32 v8, 16, v24 :: v_dual_lshlrev_b32 v9, 24, v25
	v_lshl_or_b32 v4, v5, 8, v4
	v_dual_lshlrev_b32 v5, 16, v34 :: v_dual_lshlrev_b32 v10, 24, v35
	;; [unrolled: 2-line block ×3, first 2 shown]
	v_lshlrev_b32_e32 v0, 24, v0
	v_lshlrev_b32_e32 v12, 16, v12
	v_lshl_or_b32 v15, v23, 8, v22
	v_or3_b32 v9, v2, v8, v9
	v_or3_b32 v8, v4, v5, v10
	;; [unrolled: 1-line block ×3, first 2 shown]
	v_sub_nc_u32_e32 v1, v1, v112
	v_or3_b32 v11, v15, v12, v0
	v_add_nc_u64_e32 v[16:17], v[16:17], v[112:113]
	v_add_nc_u64_e32 v[18:19], v[18:19], v[112:113]
	v_sub_nc_u32_e32 v33, v33, v84
	v_cmp_gt_i32_e64 s13, 16, v1
	global_store_b128 v[20:21], v[8:11], off th:TH_STORE_NT
	s_wait_xcnt 0x0
	v_add_nc_u64_e32 v[20:21], v[20:21], v[112:113]
	s_or_b32 s75, s13, s75
	s_delay_alu instid0(SALU_CYCLE_1)
	s_and_not1_b32 exec_lo, exec_lo, s75
	s_cbranch_execz .LBB6_2841
.LBB6_2345:                             ;   Parent Loop BB6_47 Depth=1
                                        ;     Parent Loop BB6_271 Depth=2
                                        ;       Parent Loop BB6_274 Depth=3
                                        ; =>      This Inner Loop Header: Depth=4
	global_load_b128 v[12:15], v[16:17], off th:TH_LOAD_NT
	global_load_b128 v[8:11], v[18:19], off th:TH_LOAD_NT
	v_mov_b32_e32 v2, 0
	s_mov_b32 s14, exec_lo
	s_wait_loadcnt 0x1
	v_and_b32_e32 v0, 0xff, v12
	s_wait_xcnt 0x0
	s_delay_alu instid0(VALU_DEP_1)
	v_cmpx_ne_u16_e32 0, v0
	s_cbranch_execz .LBB6_2351
; %bb.2346:                             ;   in Loop: Header=BB6_2345 Depth=4
	v_bfrev_b32_e32 v2, 1
	s_mov_b32 s15, exec_lo
	v_cmpx_ne_u16_e32 0x80, v0
	s_cbranch_execz .LBB6_2350
; %bb.2347:                             ;   in Loop: Header=BB6_2345 Depth=4
	v_and_b32_e32 v0, 0x7f, v12
	v_mov_b32_e32 v2, 0x7f800001
	s_mov_b32 s76, exec_lo
	s_delay_alu instid0(VALU_DEP_2)
	v_cmpx_ne_u32_e32 0x7f, v0
	s_cbranch_execz .LBB6_2349
; %bb.2348:                             ;   in Loop: Header=BB6_2345 Depth=4
	v_and_b32_e32 v2, 7, v12
	v_cmp_gt_u32_e64 s13, 8, v0
	s_delay_alu instid0(VALU_DEP_2) | instskip(NEXT) | instid1(VALU_DEP_1)
	v_clz_i32_u32_e32 v2, v2
	v_min_u32_e32 v2, 32, v2
	v_lshrrev_b32_e32 v4, 3, v0
	s_delay_alu instid0(VALU_DEP_2) | instskip(SKIP_1) | instid1(VALU_DEP_1)
	v_subrev_nc_u32_e32 v5, 28, v2
	v_sub_nc_u32_e32 v2, 29, v2
	v_dual_cndmask_b32 v0, v4, v2, s13 :: v_dual_cndmask_b32 v2, 0, v5, s13
	s_delay_alu instid0(VALU_DEP_1) | instskip(NEXT) | instid1(VALU_DEP_2)
	v_lshl_add_u32 v0, v0, 23, 0x3c000000
	v_lshlrev_b64_e32 v[4:5], v2, v[12:13]
	v_lshlrev_b32_e32 v2, 24, v12
	s_delay_alu instid0(VALU_DEP_1) | instskip(NEXT) | instid1(VALU_DEP_3)
	v_and_b32_e32 v2, 0x80000000, v2
	v_lshlrev_b32_e32 v4, 20, v4
	s_delay_alu instid0(VALU_DEP_1) | instskip(NEXT) | instid1(VALU_DEP_1)
	v_and_b32_e32 v4, 0x700000, v4
	v_or3_b32 v2, v4, v2, v0
.LBB6_2349:                             ;   in Loop: Header=BB6_2345 Depth=4
	s_or_b32 exec_lo, exec_lo, s76
.LBB6_2350:                             ;   in Loop: Header=BB6_2345 Depth=4
	s_delay_alu instid0(SALU_CYCLE_1)
	s_or_b32 exec_lo, exec_lo, s15
.LBB6_2351:                             ;   in Loop: Header=BB6_2345 Depth=4
	s_delay_alu instid0(SALU_CYCLE_1) | instskip(SKIP_4) | instid1(VALU_DEP_1)
	s_or_b32 exec_lo, exec_lo, s14
	s_wait_loadcnt 0x0
	v_and_b32_e32 v4, 0xff, v8
	s_mov_b32 s14, 0
	s_mov_b32 s15, exec_lo
	v_cmpx_lt_i16_e32 0x7f, v4
	s_xor_b32 s15, exec_lo, s15
	s_cbranch_execz .LBB6_2386
; %bb.2352:                             ;   in Loop: Header=BB6_2345 Depth=4
	s_mov_b32 s14, -1
	s_mov_b32 s76, exec_lo
	v_cmpx_eq_u16_e32 0x80, v4
; %bb.2353:                             ;   in Loop: Header=BB6_2345 Depth=4
	s_xor_b32 s14, exec_lo, -1
; %bb.2354:                             ;   in Loop: Header=BB6_2345 Depth=4
	s_or_b32 exec_lo, exec_lo, s76
	s_delay_alu instid0(SALU_CYCLE_1)
	s_and_b32 s14, s14, exec_lo
                                        ; implicit-def: $vgpr4
	s_or_saveexec_b32 s15, s15
	v_bfrev_b32_e32 v0, 1
	s_xor_b32 exec_lo, exec_lo, s15
	s_cbranch_execnz .LBB6_2387
.LBB6_2355:                             ;   in Loop: Header=BB6_2345 Depth=4
	s_or_b32 exec_lo, exec_lo, s15
	s_and_saveexec_b32 s15, s14
	s_cbranch_execz .LBB6_2357
.LBB6_2356:                             ;   in Loop: Header=BB6_2345 Depth=4
	v_and_b32_e32 v22, 0x7f, v8
	v_bfe_u32 v4, v8, 3, 4
	s_delay_alu instid0(VALU_DEP_2) | instskip(SKIP_1) | instid1(VALU_DEP_1)
	v_cmp_gt_u32_e64 s13, 8, v22
	v_and_b32_e32 v0, 7, v8
	v_clz_i32_u32_e32 v0, v0
	s_delay_alu instid0(VALU_DEP_1) | instskip(NEXT) | instid1(VALU_DEP_1)
	v_min_u32_e32 v0, 32, v0
	v_subrev_nc_u32_e32 v5, 28, v0
	v_sub_nc_u32_e32 v0, 29, v0
	s_delay_alu instid0(VALU_DEP_1) | instskip(SKIP_1) | instid1(VALU_DEP_2)
	v_dual_cndmask_b32 v0, v4, v0, s13 :: v_dual_cndmask_b32 v4, 0, v5, s13
	v_cmp_ne_u32_e64 s13, 0x7f, v22
	v_lshl_add_u32 v0, v0, 23, 0x3c000000
	s_delay_alu instid0(VALU_DEP_3) | instskip(SKIP_1) | instid1(VALU_DEP_1)
	v_lshlrev_b64_e32 v[4:5], v4, v[8:9]
	v_lshlrev_b32_e32 v5, 24, v8
	v_and_b32_e32 v5, 0x80000000, v5
	s_delay_alu instid0(VALU_DEP_3) | instskip(NEXT) | instid1(VALU_DEP_1)
	v_lshlrev_b32_e32 v4, 20, v4
	v_and_b32_e32 v4, 0x700000, v4
	s_delay_alu instid0(VALU_DEP_1) | instskip(NEXT) | instid1(VALU_DEP_1)
	v_or3_b32 v0, v4, v5, v0
	v_cndmask_b32_e64 v0, 0x7f800001, v0, s13
.LBB6_2357:                             ;   in Loop: Header=BB6_2345 Depth=4
	s_or_b32 exec_lo, exec_lo, s15
	s_delay_alu instid0(VALU_DEP_1) | instskip(SKIP_1) | instid1(VALU_DEP_1)
	v_add_f32_e32 v0, v2, v0
                                        ; implicit-def: $vgpr4
	s_mov_b32 s14, exec_lo
	v_and_b32_e32 v2, 0x7f800000, v0
	v_lshrrev_b32_e32 v5, 24, v0
	s_delay_alu instid0(VALU_DEP_2)
	v_cmpx_ne_u64_e32 0x7f800000, v[2:3]
	s_xor_b32 s15, exec_lo, s14
	s_cbranch_execz .LBB6_2371
; %bb.2358:                             ;   in Loop: Header=BB6_2345 Depth=4
	v_and_b32_e32 v2, 0x7fffffff, v0
	v_and_b32_e32 v5, 0x80, v5
                                        ; implicit-def: $vgpr4
	s_mov_b32 s14, exec_lo
	s_delay_alu instid0(VALU_DEP_2)
	v_cmpx_gt_u64_e32 0x43e00001, v[2:3]
	s_xor_b32 s76, exec_lo, s14
	s_cbranch_execz .LBB6_2368
; %bb.2359:                             ;   in Loop: Header=BB6_2345 Depth=4
	v_mov_b32_e32 v4, 0
	s_mov_b32 s77, exec_lo
	v_cmpx_ne_u32_e32 0, v0
	s_cbranch_execz .LBB6_2367
; %bb.2360:                             ;   in Loop: Header=BB6_2345 Depth=4
	v_bfe_u32 v4, v0, 23, 8
	v_and_b32_e32 v0, 0x7fffff, v0
	s_delay_alu instid0(VALU_DEP_2) | instskip(SKIP_1) | instid1(VALU_DEP_3)
	v_sub_nc_u32_e32 v2, 0x79, v4
	v_cmp_gt_u32_e64 s13, 0x7a, v4
	v_or_b32_e32 v24, 0x800000, v0
	s_delay_alu instid0(VALU_DEP_2) | instskip(SKIP_1) | instid1(VALU_DEP_1)
	v_cndmask_b32_e64 v2, 0, v2, s13
	v_cmp_eq_u32_e64 s13, 0, v4
	v_cndmask_b32_e64 v26, v2, 0x78, s13
	s_delay_alu instid0(VALU_DEP_1) | instskip(NEXT) | instid1(VALU_DEP_1)
	v_dual_add_nc_u32 v2, 20, v26 :: v_dual_add_nc_u32 v25, 19, v26
	v_lshlrev_b64_e64 v[22:23], v2, -1
	v_cndmask_b32_e64 v2, v24, v0, s13
	s_delay_alu instid0(VALU_DEP_3) | instskip(NEXT) | instid1(VALU_DEP_3)
	v_lshlrev_b64_e64 v[24:25], v25, 1
	v_bfi_b32 v35, v23, 0, 0
	s_delay_alu instid0(VALU_DEP_3) | instskip(SKIP_1) | instid1(VALU_DEP_2)
	v_bfi_b32 v34, v22, 0, v2
	v_lshrrev_b64 v[22:23], v26, v[2:3]
	v_cmp_eq_u64_e64 s14, v[34:35], v[24:25]
	s_delay_alu instid0(VALU_DEP_2)
	v_mov_b64_e32 v[24:25], v[22:23]
	s_and_saveexec_b32 s78, s14
; %bb.2361:                             ;   in Loop: Header=BB6_2345 Depth=4
	v_bfe_u32 v2, v22, 20, 1
	s_delay_alu instid0(VALU_DEP_1) | instskip(NEXT) | instid1(VALU_DEP_1)
	v_add_nc_u64_e32 v[24:25], v[22:23], v[2:3]
	v_add_nc_u64_e32 v[24:25], -1, v[24:25]
; %bb.2362:                             ;   in Loop: Header=BB6_2345 Depth=4
	s_or_b32 exec_lo, exec_lo, s78
	v_add_nc_u32_e32 v0, 0xffffff81, v4
	v_lshrrev_b32_e32 v2, 23, v22
	s_mov_b32 s14, exec_lo
	s_delay_alu instid0(VALU_DEP_2) | instskip(NEXT) | instid1(VALU_DEP_1)
	v_cndmask_b32_e64 v0, v0, 0xffffff82, s13
	v_add3_u32 v4, v26, v0, v2
	v_and_b32_e32 v0, 0xfffff, v24
	s_delay_alu instid0(VALU_DEP_1) | instskip(NEXT) | instid1(VALU_DEP_1)
	v_dual_add_nc_u32 v24, 6, v4 :: v_dual_add_nc_u32 v2, v0, v22
                                        ; implicit-def: $vgpr22_vgpr23
                                        ; implicit-def: $vgpr0
	v_cmpx_ne_u32_e32 0, v24
	s_xor_b32 s14, exec_lo, s14
; %bb.2363:                             ;   in Loop: Header=BB6_2345 Depth=4
	s_delay_alu instid0(VALU_DEP_2) | instskip(SKIP_1) | instid1(VALU_DEP_2)
	v_cmp_lt_u64_e64 s13, 0xffffff, v[2:3]
	v_add_nc_u32_e32 v0, 7, v4
	v_cndmask_b32_e64 v4, 0, 1, s13
	s_delay_alu instid0(VALU_DEP_2) | instskip(NEXT) | instid1(VALU_DEP_2)
	v_cndmask_b32_e64 v0, v24, v0, s13
	v_lshrrev_b64 v[22:23], v4, v[2:3]
; %bb.2364:                             ;   in Loop: Header=BB6_2345 Depth=4
	s_and_not1_saveexec_b32 s13, s14
; %bb.2365:                             ;   in Loop: Header=BB6_2345 Depth=4
	v_mov_b64_e32 v[22:23], v[2:3]
	v_bfe_u32 v0, v2, 23, 1
; %bb.2366:                             ;   in Loop: Header=BB6_2345 Depth=4
	s_or_b32 exec_lo, exec_lo, s13
	s_delay_alu instid0(VALU_DEP_2) | instskip(NEXT) | instid1(VALU_DEP_2)
	v_lshrrev_b64 v[22:23], 20, v[22:23]
	v_cmp_gt_i32_e64 s13, 16, v0
	v_min_i32_e32 v2, 15, v0
	v_cmp_eq_u32_e64 s14, 0, v0
	s_delay_alu instid0(VALU_DEP_2) | instskip(SKIP_1) | instid1(VALU_DEP_2)
	v_dual_cndmask_b32 v23, 0, v23, s13 :: v_dual_lshlrev_b32 v2, 3, v2
	v_cndmask_b32_e64 v22, 7, v22, s13
	v_and_b32_e32 v2, 0xf8, v2
	s_delay_alu instid0(VALU_DEP_2) | instskip(NEXT) | instid1(VALU_DEP_2)
	v_cmp_eq_u64_e64 s13, 0, v[22:23]
	v_and_or_b32 v0, v22, 7, v2
	s_and_b32 s13, s14, s13
	s_delay_alu instid0(VALU_DEP_1) | instid1(SALU_CYCLE_1)
	v_cndmask_b32_e64 v0, v0, 0, s13
	s_delay_alu instid0(VALU_DEP_1)
	v_or_b32_e32 v4, v0, v5
.LBB6_2367:                             ;   in Loop: Header=BB6_2345 Depth=4
	s_or_b32 exec_lo, exec_lo, s77
                                        ; implicit-def: $vgpr5
.LBB6_2368:                             ;   in Loop: Header=BB6_2345 Depth=4
	s_and_not1_saveexec_b32 s13, s76
; %bb.2369:                             ;   in Loop: Header=BB6_2345 Depth=4
	v_or_b32_e32 v4, 0x7e, v5
; %bb.2370:                             ;   in Loop: Header=BB6_2345 Depth=4
	s_or_b32 exec_lo, exec_lo, s13
                                        ; implicit-def: $vgpr5
.LBB6_2371:                             ;   in Loop: Header=BB6_2345 Depth=4
	s_and_not1_saveexec_b32 s13, s15
; %bb.2372:                             ;   in Loop: Header=BB6_2345 Depth=4
	v_or_b32_e32 v4, 0x7f, v5
; %bb.2373:                             ;   in Loop: Header=BB6_2345 Depth=4
	s_or_b32 exec_lo, exec_lo, s13
	v_lshrrev_b16 v0, 8, v12
	v_mov_b32_e32 v5, 0
	s_mov_b32 s14, exec_lo
	s_delay_alu instid0(VALU_DEP_2)
	v_cmpx_ne_u16_e32 0, v0
	s_cbranch_execz .LBB6_2381
; %bb.2374:                             ;   in Loop: Header=BB6_2345 Depth=4
	v_bfrev_b32_e32 v5, 1
	s_mov_b32 s15, exec_lo
	v_cmpx_ne_u16_e32 0x80, v0
	s_cbranch_execz .LBB6_2380
; %bb.2375:                             ;   in Loop: Header=BB6_2345 Depth=4
	v_and_b32_e32 v0, 0xffff, v0
	v_mov_b32_e32 v5, 0x7f800001
	s_mov_b32 s76, exec_lo
	s_delay_alu instid0(VALU_DEP_2) | instskip(NEXT) | instid1(VALU_DEP_1)
	v_and_b32_e32 v22, 0x7f, v0
	v_cmpx_ne_u32_e32 0x7f, v22
	s_cbranch_execz .LBB6_2379
; %bb.2376:                             ;   in Loop: Header=BB6_2345 Depth=4
	v_dual_lshrrev_b32 v0, 3, v22 :: v_dual_bitop2_b32 v2, 7, v0 bitop3:0x40
	s_mov_b32 s77, exec_lo
	v_cmpx_gt_u32_e32 8, v22
; %bb.2377:                             ;   in Loop: Header=BB6_2345 Depth=4
	s_delay_alu instid0(VALU_DEP_2) | instskip(NEXT) | instid1(VALU_DEP_1)
	v_clz_i32_u32_e32 v0, v2
	v_min_u32_e32 v0, 32, v0
	s_delay_alu instid0(VALU_DEP_1) | instskip(NEXT) | instid1(VALU_DEP_1)
	v_subrev_nc_u32_e32 v5, 28, v0
	v_lshlrev_b64_e32 v[22:23], v5, v[2:3]
	s_delay_alu instid0(VALU_DEP_1)
	v_dual_sub_nc_u32 v0, 29, v0 :: v_dual_bitop2_b32 v2, 7, v22 bitop3:0x40
; %bb.2378:                             ;   in Loop: Header=BB6_2345 Depth=4
	s_or_b32 exec_lo, exec_lo, s77
	s_delay_alu instid0(VALU_DEP_1) | instskip(NEXT) | instid1(VALU_DEP_2)
	v_dual_lshlrev_b32 v5, 16, v12 :: v_dual_lshlrev_b32 v2, 20, v2
	v_lshl_add_u32 v0, v0, 23, 0x3c000000
	s_delay_alu instid0(VALU_DEP_2) | instskip(NEXT) | instid1(VALU_DEP_1)
	v_and_b32_e32 v5, 0x80000000, v5
	v_or3_b32 v5, v2, v5, v0
.LBB6_2379:                             ;   in Loop: Header=BB6_2345 Depth=4
	s_or_b32 exec_lo, exec_lo, s76
.LBB6_2380:                             ;   in Loop: Header=BB6_2345 Depth=4
	s_delay_alu instid0(SALU_CYCLE_1)
	s_or_b32 exec_lo, exec_lo, s15
.LBB6_2381:                             ;   in Loop: Header=BB6_2345 Depth=4
	s_delay_alu instid0(SALU_CYCLE_1) | instskip(SKIP_3) | instid1(VALU_DEP_1)
	s_or_b32 exec_lo, exec_lo, s14
	v_lshrrev_b16 v22, 8, v8
	s_mov_b32 s15, 0
	s_mov_b32 s14, exec_lo
	v_cmpx_lt_i16_e32 0x7f, v22
	s_xor_b32 s14, exec_lo, s14
	s_cbranch_execz .LBB6_2388
; %bb.2382:                             ;   in Loop: Header=BB6_2345 Depth=4
	s_mov_b32 s15, -1
	s_mov_b32 s76, exec_lo
	v_cmpx_eq_u16_e32 0x80, v22
; %bb.2383:                             ;   in Loop: Header=BB6_2345 Depth=4
	s_xor_b32 s15, exec_lo, -1
; %bb.2384:                             ;   in Loop: Header=BB6_2345 Depth=4
	s_or_b32 exec_lo, exec_lo, s76
	s_delay_alu instid0(SALU_CYCLE_1)
	s_and_b32 s15, s15, exec_lo
	s_or_saveexec_b32 s14, s14
	v_bfrev_b32_e32 v0, 1
	s_xor_b32 exec_lo, exec_lo, s14
	s_cbranch_execnz .LBB6_2389
.LBB6_2385:                             ;   in Loop: Header=BB6_2345 Depth=4
	s_or_b32 exec_lo, exec_lo, s14
	s_and_saveexec_b32 s14, s15
	s_cbranch_execnz .LBB6_2390
	s_branch .LBB6_2393
.LBB6_2386:                             ;   in Loop: Header=BB6_2345 Depth=4
	s_or_saveexec_b32 s15, s15
	v_bfrev_b32_e32 v0, 1
	s_xor_b32 exec_lo, exec_lo, s15
	s_cbranch_execz .LBB6_2355
.LBB6_2387:                             ;   in Loop: Header=BB6_2345 Depth=4
	v_cmp_ne_u16_e64 s13, 0, v4
	v_mov_b32_e32 v0, 0
	s_and_not1_b32 s14, s14, exec_lo
	s_and_b32 s13, s13, exec_lo
	s_delay_alu instid0(SALU_CYCLE_1)
	s_or_b32 s14, s14, s13
	s_or_b32 exec_lo, exec_lo, s15
	s_and_saveexec_b32 s15, s14
	s_cbranch_execnz .LBB6_2356
	s_branch .LBB6_2357
.LBB6_2388:                             ;   in Loop: Header=BB6_2345 Depth=4
	s_or_saveexec_b32 s14, s14
	v_bfrev_b32_e32 v0, 1
	s_xor_b32 exec_lo, exec_lo, s14
	s_cbranch_execz .LBB6_2385
.LBB6_2389:                             ;   in Loop: Header=BB6_2345 Depth=4
	v_cmp_ne_u16_e64 s13, 0, v22
	v_mov_b32_e32 v0, 0
	s_and_not1_b32 s15, s15, exec_lo
	s_and_b32 s13, s13, exec_lo
	s_delay_alu instid0(SALU_CYCLE_1)
	s_or_b32 s15, s15, s13
	s_or_b32 exec_lo, exec_lo, s14
	s_and_saveexec_b32 s14, s15
	s_cbranch_execz .LBB6_2393
.LBB6_2390:                             ;   in Loop: Header=BB6_2345 Depth=4
	v_and_b32_e32 v2, 0xffff, v22
	v_mov_b32_e32 v0, 0x7f800001
	s_mov_b32 s15, exec_lo
	s_delay_alu instid0(VALU_DEP_2) | instskip(NEXT) | instid1(VALU_DEP_1)
	v_and_b32_e32 v23, 0x7f, v2
	v_cmpx_ne_u32_e32 0x7f, v23
	s_cbranch_execz .LBB6_2392
; %bb.2391:                             ;   in Loop: Header=BB6_2345 Depth=4
	v_and_b32_e32 v0, 7, v2
	v_cmp_gt_u32_e64 s13, 8, v23
	s_delay_alu instid0(VALU_DEP_2) | instskip(NEXT) | instid1(VALU_DEP_1)
	v_clz_i32_u32_e32 v24, v0
	v_min_u32_e32 v26, 32, v24
	s_delay_alu instid0(VALU_DEP_1) | instskip(NEXT) | instid1(VALU_DEP_1)
	v_subrev_nc_u32_e32 v24, 28, v26
	v_lshlrev_b64_e32 v[24:25], v24, v[2:3]
	v_dual_lshrrev_b32 v2, 3, v23 :: v_dual_sub_nc_u32 v25, 29, v26
	s_delay_alu instid0(VALU_DEP_2) | instskip(NEXT) | instid1(VALU_DEP_1)
	v_dual_lshlrev_b32 v22, 24, v22 :: v_dual_bitop2_b32 v23, 7, v24 bitop3:0x40
	v_dual_cndmask_b32 v2, v2, v25, s13 :: v_dual_cndmask_b32 v0, v0, v23, s13
	s_delay_alu instid0(VALU_DEP_2) | instskip(NEXT) | instid1(VALU_DEP_2)
	v_and_b32_e32 v22, 0x80000000, v22
	v_lshl_add_u32 v2, v2, 23, 0x3c000000
	s_delay_alu instid0(VALU_DEP_3) | instskip(NEXT) | instid1(VALU_DEP_1)
	v_lshlrev_b32_e32 v0, 20, v0
	v_or3_b32 v0, v0, v22, v2
.LBB6_2392:                             ;   in Loop: Header=BB6_2345 Depth=4
	s_or_b32 exec_lo, exec_lo, s15
.LBB6_2393:                             ;   in Loop: Header=BB6_2345 Depth=4
	s_delay_alu instid0(SALU_CYCLE_1) | instskip(NEXT) | instid1(VALU_DEP_1)
	s_or_b32 exec_lo, exec_lo, s14
	v_add_f32_e32 v0, v5, v0
                                        ; implicit-def: $vgpr5
	s_mov_b32 s14, exec_lo
	s_delay_alu instid0(VALU_DEP_1) | instskip(SKIP_1) | instid1(VALU_DEP_2)
	v_and_b32_e32 v2, 0x7f800000, v0
	v_lshrrev_b32_e32 v22, 24, v0
	v_cmpx_ne_u64_e32 0x7f800000, v[2:3]
	s_xor_b32 s15, exec_lo, s14
	s_cbranch_execz .LBB6_2407
; %bb.2394:                             ;   in Loop: Header=BB6_2345 Depth=4
	v_and_b32_e32 v2, 0x7fffffff, v0
	v_and_b32_e32 v26, 0x80, v22
                                        ; implicit-def: $vgpr5
	s_mov_b32 s14, exec_lo
	s_delay_alu instid0(VALU_DEP_2)
	v_cmpx_gt_u64_e32 0x43e00001, v[2:3]
	s_xor_b32 s76, exec_lo, s14
	s_cbranch_execz .LBB6_2404
; %bb.2395:                             ;   in Loop: Header=BB6_2345 Depth=4
	v_mov_b32_e32 v5, 0
	s_mov_b32 s77, exec_lo
	v_cmpx_ne_u32_e32 0, v0
	s_cbranch_execz .LBB6_2403
; %bb.2396:                             ;   in Loop: Header=BB6_2345 Depth=4
	v_bfe_u32 v5, v0, 23, 8
	v_and_b32_e32 v0, 0x7fffff, v0
	s_delay_alu instid0(VALU_DEP_2) | instskip(SKIP_1) | instid1(VALU_DEP_3)
	v_sub_nc_u32_e32 v2, 0x79, v5
	v_cmp_gt_u32_e64 s13, 0x7a, v5
	v_or_b32_e32 v24, 0x800000, v0
	s_delay_alu instid0(VALU_DEP_2) | instskip(SKIP_1) | instid1(VALU_DEP_1)
	v_cndmask_b32_e64 v2, 0, v2, s13
	v_cmp_eq_u32_e64 s13, 0, v5
	v_cndmask_b32_e64 v27, v2, 0x78, s13
	s_delay_alu instid0(VALU_DEP_1) | instskip(NEXT) | instid1(VALU_DEP_1)
	v_dual_add_nc_u32 v2, 20, v27 :: v_dual_add_nc_u32 v25, 19, v27
	v_lshlrev_b64_e64 v[22:23], v2, -1
	v_cndmask_b32_e64 v2, v24, v0, s13
	s_delay_alu instid0(VALU_DEP_3) | instskip(NEXT) | instid1(VALU_DEP_3)
	v_lshlrev_b64_e64 v[24:25], v25, 1
	v_bfi_b32 v35, v23, 0, 0
	s_delay_alu instid0(VALU_DEP_3) | instskip(SKIP_1) | instid1(VALU_DEP_2)
	v_bfi_b32 v34, v22, 0, v2
	v_lshrrev_b64 v[22:23], v27, v[2:3]
	v_cmp_eq_u64_e64 s14, v[34:35], v[24:25]
	s_delay_alu instid0(VALU_DEP_2)
	v_mov_b64_e32 v[24:25], v[22:23]
	s_and_saveexec_b32 s78, s14
; %bb.2397:                             ;   in Loop: Header=BB6_2345 Depth=4
	v_bfe_u32 v2, v22, 20, 1
	s_delay_alu instid0(VALU_DEP_1) | instskip(NEXT) | instid1(VALU_DEP_1)
	v_add_nc_u64_e32 v[24:25], v[22:23], v[2:3]
	v_add_nc_u64_e32 v[24:25], -1, v[24:25]
; %bb.2398:                             ;   in Loop: Header=BB6_2345 Depth=4
	s_or_b32 exec_lo, exec_lo, s78
	v_add_nc_u32_e32 v0, 0xffffff81, v5
	v_lshrrev_b32_e32 v2, 23, v22
	s_mov_b32 s14, exec_lo
	s_delay_alu instid0(VALU_DEP_2) | instskip(NEXT) | instid1(VALU_DEP_1)
	v_cndmask_b32_e64 v0, v0, 0xffffff82, s13
	v_add3_u32 v5, v27, v0, v2
	v_and_b32_e32 v0, 0xfffff, v24
	s_delay_alu instid0(VALU_DEP_1) | instskip(NEXT) | instid1(VALU_DEP_1)
	v_dual_add_nc_u32 v24, 6, v5 :: v_dual_add_nc_u32 v2, v0, v22
                                        ; implicit-def: $vgpr22_vgpr23
                                        ; implicit-def: $vgpr0
	v_cmpx_ne_u32_e32 0, v24
	s_xor_b32 s14, exec_lo, s14
; %bb.2399:                             ;   in Loop: Header=BB6_2345 Depth=4
	s_delay_alu instid0(VALU_DEP_2) | instskip(SKIP_1) | instid1(VALU_DEP_2)
	v_cmp_lt_u64_e64 s13, 0xffffff, v[2:3]
	v_add_nc_u32_e32 v0, 7, v5
	v_cndmask_b32_e64 v5, 0, 1, s13
	s_delay_alu instid0(VALU_DEP_2) | instskip(NEXT) | instid1(VALU_DEP_2)
	v_cndmask_b32_e64 v0, v24, v0, s13
	v_lshrrev_b64 v[22:23], v5, v[2:3]
; %bb.2400:                             ;   in Loop: Header=BB6_2345 Depth=4
	s_and_not1_saveexec_b32 s13, s14
; %bb.2401:                             ;   in Loop: Header=BB6_2345 Depth=4
	v_mov_b64_e32 v[22:23], v[2:3]
	v_bfe_u32 v0, v2, 23, 1
; %bb.2402:                             ;   in Loop: Header=BB6_2345 Depth=4
	s_or_b32 exec_lo, exec_lo, s13
	s_delay_alu instid0(VALU_DEP_2) | instskip(NEXT) | instid1(VALU_DEP_2)
	v_lshrrev_b64 v[22:23], 20, v[22:23]
	v_cmp_gt_i32_e64 s13, 16, v0
	v_min_i32_e32 v2, 15, v0
	v_cmp_eq_u32_e64 s14, 0, v0
	s_delay_alu instid0(VALU_DEP_2) | instskip(SKIP_1) | instid1(VALU_DEP_2)
	v_dual_cndmask_b32 v23, 0, v23, s13 :: v_dual_lshlrev_b32 v2, 3, v2
	v_cndmask_b32_e64 v22, 7, v22, s13
	v_and_b32_e32 v2, 0xf8, v2
	s_delay_alu instid0(VALU_DEP_2) | instskip(NEXT) | instid1(VALU_DEP_2)
	v_cmp_eq_u64_e64 s13, 0, v[22:23]
	v_and_or_b32 v0, v22, 7, v2
	s_and_b32 s13, s14, s13
	s_delay_alu instid0(VALU_DEP_1) | instid1(SALU_CYCLE_1)
	v_cndmask_b32_e64 v0, v0, 0, s13
	s_delay_alu instid0(VALU_DEP_1)
	v_or_b32_e32 v5, v0, v26
.LBB6_2403:                             ;   in Loop: Header=BB6_2345 Depth=4
	s_or_b32 exec_lo, exec_lo, s77
                                        ; implicit-def: $vgpr26
.LBB6_2404:                             ;   in Loop: Header=BB6_2345 Depth=4
	s_and_not1_saveexec_b32 s13, s76
; %bb.2405:                             ;   in Loop: Header=BB6_2345 Depth=4
	v_or_b32_e32 v5, 0x7e, v26
; %bb.2406:                             ;   in Loop: Header=BB6_2345 Depth=4
	s_or_b32 exec_lo, exec_lo, s13
                                        ; implicit-def: $vgpr22
.LBB6_2407:                             ;   in Loop: Header=BB6_2345 Depth=4
	s_and_not1_saveexec_b32 s13, s15
; %bb.2408:                             ;   in Loop: Header=BB6_2345 Depth=4
	v_or_b32_e32 v5, 0x7f, v22
; %bb.2409:                             ;   in Loop: Header=BB6_2345 Depth=4
	s_or_b32 exec_lo, exec_lo, s13
	v_dual_lshrrev_b32 v0, 16, v12 :: v_dual_mov_b32 v22, 0
	s_mov_b32 s14, exec_lo
	s_delay_alu instid0(VALU_DEP_1) | instskip(NEXT) | instid1(VALU_DEP_1)
	v_and_b32_e32 v2, 0xff, v0
	v_cmpx_ne_u16_e32 0, v2
	s_cbranch_execz .LBB6_2417
; %bb.2410:                             ;   in Loop: Header=BB6_2345 Depth=4
	v_bfrev_b32_e32 v22, 1
	s_mov_b32 s15, exec_lo
	v_cmpx_ne_u16_e32 0x80, v2
	s_cbranch_execz .LBB6_2416
; %bb.2411:                             ;   in Loop: Header=BB6_2345 Depth=4
	v_bfe_u32 v23, v12, 16, 7
	v_mov_b32_e32 v22, 0x7f800001
	s_mov_b32 s76, exec_lo
	s_delay_alu instid0(VALU_DEP_2)
	v_cmpx_ne_u32_e32 0x7f, v23
	s_cbranch_execz .LBB6_2415
; %bb.2412:                             ;   in Loop: Header=BB6_2345 Depth=4
	v_dual_lshrrev_b32 v22, 3, v23 :: v_dual_bitop2_b32 v2, 7, v0 bitop3:0x40
	s_mov_b32 s77, exec_lo
	v_cmpx_gt_u32_e32 8, v23
; %bb.2413:                             ;   in Loop: Header=BB6_2345 Depth=4
	s_delay_alu instid0(VALU_DEP_2) | instskip(NEXT) | instid1(VALU_DEP_1)
	v_clz_i32_u32_e32 v22, v2
	v_min_u32_e32 v22, 32, v22
	s_delay_alu instid0(VALU_DEP_1) | instskip(NEXT) | instid1(VALU_DEP_1)
	v_subrev_nc_u32_e32 v23, 28, v22
	v_lshlrev_b64_e32 v[24:25], v23, v[2:3]
	s_delay_alu instid0(VALU_DEP_1)
	v_dual_sub_nc_u32 v22, 29, v22 :: v_dual_bitop2_b32 v2, 7, v24 bitop3:0x40
; %bb.2414:                             ;   in Loop: Header=BB6_2345 Depth=4
	s_or_b32 exec_lo, exec_lo, s77
	s_delay_alu instid0(VALU_DEP_1) | instskip(NEXT) | instid1(VALU_DEP_2)
	v_dual_lshlrev_b32 v0, 24, v0 :: v_dual_lshlrev_b32 v2, 20, v2
	v_lshl_add_u32 v22, v22, 23, 0x3c000000
	s_delay_alu instid0(VALU_DEP_2) | instskip(NEXT) | instid1(VALU_DEP_1)
	v_and_b32_e32 v0, 0x80000000, v0
	v_or3_b32 v22, v2, v0, v22
.LBB6_2415:                             ;   in Loop: Header=BB6_2345 Depth=4
	s_or_b32 exec_lo, exec_lo, s76
.LBB6_2416:                             ;   in Loop: Header=BB6_2345 Depth=4
	s_delay_alu instid0(SALU_CYCLE_1)
	s_or_b32 exec_lo, exec_lo, s15
.LBB6_2417:                             ;   in Loop: Header=BB6_2345 Depth=4
	s_delay_alu instid0(SALU_CYCLE_1) | instskip(SKIP_3) | instid1(VALU_DEP_1)
	s_or_b32 exec_lo, exec_lo, s14
	v_lshrrev_b32_e32 v2, 16, v8
	s_mov_b32 s15, 0
	s_mov_b32 s14, exec_lo
	v_and_b32_e32 v23, 0xff, v2
	s_delay_alu instid0(VALU_DEP_1)
	v_cmpx_lt_i16_e32 0x7f, v23
	s_xor_b32 s14, exec_lo, s14
	s_cbranch_execz .LBB6_2422
; %bb.2418:                             ;   in Loop: Header=BB6_2345 Depth=4
	s_mov_b32 s15, -1
	s_mov_b32 s76, exec_lo
	v_cmpx_eq_u16_e32 0x80, v23
; %bb.2419:                             ;   in Loop: Header=BB6_2345 Depth=4
	s_xor_b32 s15, exec_lo, -1
; %bb.2420:                             ;   in Loop: Header=BB6_2345 Depth=4
	s_or_b32 exec_lo, exec_lo, s76
	s_delay_alu instid0(SALU_CYCLE_1)
	s_and_b32 s15, s15, exec_lo
                                        ; implicit-def: $vgpr23
	s_or_saveexec_b32 s14, s14
	v_bfrev_b32_e32 v0, 1
	s_xor_b32 exec_lo, exec_lo, s14
	s_cbranch_execnz .LBB6_2423
.LBB6_2421:                             ;   in Loop: Header=BB6_2345 Depth=4
	s_or_b32 exec_lo, exec_lo, s14
	s_and_saveexec_b32 s14, s15
	s_cbranch_execnz .LBB6_2424
	s_branch .LBB6_2427
.LBB6_2422:                             ;   in Loop: Header=BB6_2345 Depth=4
	s_or_saveexec_b32 s14, s14
	v_bfrev_b32_e32 v0, 1
	s_xor_b32 exec_lo, exec_lo, s14
	s_cbranch_execz .LBB6_2421
.LBB6_2423:                             ;   in Loop: Header=BB6_2345 Depth=4
	v_cmp_ne_u16_e64 s13, 0, v23
	v_mov_b32_e32 v0, 0
	s_and_not1_b32 s15, s15, exec_lo
	s_and_b32 s13, s13, exec_lo
	s_delay_alu instid0(SALU_CYCLE_1)
	s_or_b32 s15, s15, s13
	s_or_b32 exec_lo, exec_lo, s14
	s_and_saveexec_b32 s14, s15
	s_cbranch_execz .LBB6_2427
.LBB6_2424:                             ;   in Loop: Header=BB6_2345 Depth=4
	v_and_b32_e32 v23, 0x7f, v2
	v_mov_b32_e32 v0, 0x7f800001
	s_mov_b32 s15, exec_lo
	s_delay_alu instid0(VALU_DEP_2)
	v_cmpx_ne_u32_e32 0x7f, v23
	s_cbranch_execz .LBB6_2426
; %bb.2425:                             ;   in Loop: Header=BB6_2345 Depth=4
	v_and_b32_e32 v0, 7, v2
	v_cmp_gt_u32_e64 s13, 8, v23
	s_delay_alu instid0(VALU_DEP_2) | instskip(NEXT) | instid1(VALU_DEP_1)
	v_clz_i32_u32_e32 v24, v0
	v_min_u32_e32 v26, 32, v24
	s_delay_alu instid0(VALU_DEP_1) | instskip(NEXT) | instid1(VALU_DEP_1)
	v_subrev_nc_u32_e32 v24, 28, v26
	v_lshlrev_b64_e32 v[24:25], v24, v[2:3]
	v_dual_lshrrev_b32 v25, 3, v23 :: v_dual_sub_nc_u32 v26, 29, v26
	s_delay_alu instid0(VALU_DEP_2) | instskip(NEXT) | instid1(VALU_DEP_1)
	v_dual_lshlrev_b32 v2, 24, v2 :: v_dual_bitop2_b32 v23, 7, v24 bitop3:0x40
	v_dual_cndmask_b32 v0, v0, v23, s13 :: v_dual_cndmask_b32 v24, v25, v26, s13
	s_delay_alu instid0(VALU_DEP_2) | instskip(NEXT) | instid1(VALU_DEP_2)
	v_and_b32_e32 v2, 0x80000000, v2
	v_lshlrev_b32_e32 v0, 20, v0
	s_delay_alu instid0(VALU_DEP_3) | instskip(NEXT) | instid1(VALU_DEP_1)
	v_lshl_add_u32 v23, v24, 23, 0x3c000000
	v_or3_b32 v0, v0, v2, v23
.LBB6_2426:                             ;   in Loop: Header=BB6_2345 Depth=4
	s_or_b32 exec_lo, exec_lo, s15
.LBB6_2427:                             ;   in Loop: Header=BB6_2345 Depth=4
	s_delay_alu instid0(SALU_CYCLE_1) | instskip(NEXT) | instid1(VALU_DEP_1)
	s_or_b32 exec_lo, exec_lo, s14
	v_add_f32_e32 v0, v22, v0
                                        ; implicit-def: $vgpr34
	s_mov_b32 s14, exec_lo
	s_delay_alu instid0(VALU_DEP_1) | instskip(SKIP_1) | instid1(VALU_DEP_2)
	v_and_b32_e32 v2, 0x7f800000, v0
	v_lshrrev_b32_e32 v22, 24, v0
	v_cmpx_ne_u64_e32 0x7f800000, v[2:3]
	s_xor_b32 s15, exec_lo, s14
	s_cbranch_execz .LBB6_2441
; %bb.2428:                             ;   in Loop: Header=BB6_2345 Depth=4
	v_and_b32_e32 v2, 0x7fffffff, v0
	v_and_b32_e32 v26, 0x80, v22
                                        ; implicit-def: $vgpr34
	s_mov_b32 s14, exec_lo
	s_delay_alu instid0(VALU_DEP_2)
	v_cmpx_gt_u64_e32 0x43e00001, v[2:3]
	s_xor_b32 s76, exec_lo, s14
	s_cbranch_execz .LBB6_2438
; %bb.2429:                             ;   in Loop: Header=BB6_2345 Depth=4
	v_mov_b32_e32 v34, 0
	s_mov_b32 s77, exec_lo
	v_cmpx_ne_u32_e32 0, v0
	s_cbranch_execz .LBB6_2437
; %bb.2430:                             ;   in Loop: Header=BB6_2345 Depth=4
	v_bfe_u32 v27, v0, 23, 8
	v_and_b32_e32 v0, 0x7fffff, v0
	s_delay_alu instid0(VALU_DEP_2) | instskip(SKIP_1) | instid1(VALU_DEP_3)
	v_sub_nc_u32_e32 v2, 0x79, v27
	v_cmp_gt_u32_e64 s13, 0x7a, v27
	v_or_b32_e32 v24, 0x800000, v0
	s_delay_alu instid0(VALU_DEP_2) | instskip(SKIP_1) | instid1(VALU_DEP_1)
	v_cndmask_b32_e64 v2, 0, v2, s13
	v_cmp_eq_u32_e64 s13, 0, v27
	v_cndmask_b32_e64 v34, v2, 0x78, s13
	s_delay_alu instid0(VALU_DEP_1) | instskip(NEXT) | instid1(VALU_DEP_1)
	v_dual_add_nc_u32 v2, 20, v34 :: v_dual_add_nc_u32 v25, 19, v34
	v_lshlrev_b64_e64 v[22:23], v2, -1
	v_cndmask_b32_e64 v2, v24, v0, s13
	s_delay_alu instid0(VALU_DEP_3) | instskip(NEXT) | instid1(VALU_DEP_3)
	v_lshlrev_b64_e64 v[24:25], v25, 1
	v_bfi_b32 v37, v23, 0, 0
	s_delay_alu instid0(VALU_DEP_3) | instskip(SKIP_1) | instid1(VALU_DEP_2)
	v_bfi_b32 v36, v22, 0, v2
	v_lshrrev_b64 v[22:23], v34, v[2:3]
	v_cmp_eq_u64_e64 s14, v[36:37], v[24:25]
	s_delay_alu instid0(VALU_DEP_2)
	v_mov_b64_e32 v[24:25], v[22:23]
	s_and_saveexec_b32 s78, s14
; %bb.2431:                             ;   in Loop: Header=BB6_2345 Depth=4
	v_bfe_u32 v2, v22, 20, 1
	s_delay_alu instid0(VALU_DEP_1) | instskip(NEXT) | instid1(VALU_DEP_1)
	v_add_nc_u64_e32 v[24:25], v[22:23], v[2:3]
	v_add_nc_u64_e32 v[24:25], -1, v[24:25]
; %bb.2432:                             ;   in Loop: Header=BB6_2345 Depth=4
	s_or_b32 exec_lo, exec_lo, s78
	v_add_nc_u32_e32 v0, 0xffffff81, v27
	v_lshrrev_b32_e32 v2, 23, v22
	s_mov_b32 s14, exec_lo
	s_delay_alu instid0(VALU_DEP_2) | instskip(NEXT) | instid1(VALU_DEP_1)
	v_cndmask_b32_e64 v0, v0, 0xffffff82, s13
	v_add3_u32 v25, v34, v0, v2
	v_and_b32_e32 v0, 0xfffff, v24
	s_delay_alu instid0(VALU_DEP_1) | instskip(NEXT) | instid1(VALU_DEP_1)
	v_dual_add_nc_u32 v24, 6, v25 :: v_dual_add_nc_u32 v2, v0, v22
                                        ; implicit-def: $vgpr22_vgpr23
                                        ; implicit-def: $vgpr0
	v_cmpx_ne_u32_e32 0, v24
	s_xor_b32 s14, exec_lo, s14
; %bb.2433:                             ;   in Loop: Header=BB6_2345 Depth=4
	s_delay_alu instid0(VALU_DEP_2) | instskip(SKIP_1) | instid1(VALU_DEP_2)
	v_cmp_lt_u64_e64 s13, 0xffffff, v[2:3]
	v_add_nc_u32_e32 v0, 7, v25
	v_cndmask_b32_e64 v22, 0, 1, s13
	s_delay_alu instid0(VALU_DEP_2) | instskip(NEXT) | instid1(VALU_DEP_2)
	v_cndmask_b32_e64 v0, v24, v0, s13
	v_lshrrev_b64 v[22:23], v22, v[2:3]
; %bb.2434:                             ;   in Loop: Header=BB6_2345 Depth=4
	s_and_not1_saveexec_b32 s13, s14
; %bb.2435:                             ;   in Loop: Header=BB6_2345 Depth=4
	v_mov_b64_e32 v[22:23], v[2:3]
	v_bfe_u32 v0, v2, 23, 1
; %bb.2436:                             ;   in Loop: Header=BB6_2345 Depth=4
	s_or_b32 exec_lo, exec_lo, s13
	s_delay_alu instid0(VALU_DEP_2) | instskip(NEXT) | instid1(VALU_DEP_2)
	v_lshrrev_b64 v[22:23], 20, v[22:23]
	v_cmp_gt_i32_e64 s13, 16, v0
	v_min_i32_e32 v2, 15, v0
	v_cmp_eq_u32_e64 s14, 0, v0
	s_delay_alu instid0(VALU_DEP_2) | instskip(SKIP_1) | instid1(VALU_DEP_2)
	v_dual_cndmask_b32 v23, 0, v23, s13 :: v_dual_lshlrev_b32 v2, 3, v2
	v_cndmask_b32_e64 v22, 7, v22, s13
	v_and_b32_e32 v2, 0xf8, v2
	s_delay_alu instid0(VALU_DEP_2) | instskip(NEXT) | instid1(VALU_DEP_2)
	v_cmp_eq_u64_e64 s13, 0, v[22:23]
	v_and_or_b32 v0, v22, 7, v2
	s_and_b32 s13, s14, s13
	s_delay_alu instid0(VALU_DEP_1) | instid1(SALU_CYCLE_1)
	v_cndmask_b32_e64 v0, v0, 0, s13
	s_delay_alu instid0(VALU_DEP_1)
	v_or_b32_e32 v34, v0, v26
.LBB6_2437:                             ;   in Loop: Header=BB6_2345 Depth=4
	s_or_b32 exec_lo, exec_lo, s77
                                        ; implicit-def: $vgpr26
.LBB6_2438:                             ;   in Loop: Header=BB6_2345 Depth=4
	s_and_not1_saveexec_b32 s13, s76
; %bb.2439:                             ;   in Loop: Header=BB6_2345 Depth=4
	v_or_b32_e32 v34, 0x7e, v26
; %bb.2440:                             ;   in Loop: Header=BB6_2345 Depth=4
	s_or_b32 exec_lo, exec_lo, s13
                                        ; implicit-def: $vgpr22
.LBB6_2441:                             ;   in Loop: Header=BB6_2345 Depth=4
	s_and_not1_saveexec_b32 s13, s15
; %bb.2442:                             ;   in Loop: Header=BB6_2345 Depth=4
	v_or_b32_e32 v34, 0x7f, v22
; %bb.2443:                             ;   in Loop: Header=BB6_2345 Depth=4
	s_or_b32 exec_lo, exec_lo, s13
	v_mov_b32_e32 v0, 0
	s_mov_b32 s14, exec_lo
	v_cmpx_lt_u32_e32 0xffffff, v12
	s_cbranch_execz .LBB6_2451
; %bb.2444:                             ;   in Loop: Header=BB6_2345 Depth=4
	v_lshrrev_b32_e32 v22, 24, v12
	v_bfrev_b32_e32 v0, 1
	s_mov_b32 s15, exec_lo
	s_delay_alu instid0(VALU_DEP_2)
	v_cmpx_ne_u32_e32 0x80, v22
	s_cbranch_execz .LBB6_2450
; %bb.2445:                             ;   in Loop: Header=BB6_2345 Depth=4
	v_bfe_u32 v23, v12, 24, 7
	v_mov_b32_e32 v0, 0x7f800001
	s_mov_b32 s76, exec_lo
	s_delay_alu instid0(VALU_DEP_2)
	v_cmpx_ne_u32_e32 0x7f, v23
	s_cbranch_execz .LBB6_2449
; %bb.2446:                             ;   in Loop: Header=BB6_2345 Depth=4
	v_dual_lshrrev_b32 v0, 3, v23 :: v_dual_bitop2_b32 v2, 7, v22 bitop3:0x40
	s_mov_b32 s77, exec_lo
	v_cmpx_gt_u32_e32 8, v23
; %bb.2447:                             ;   in Loop: Header=BB6_2345 Depth=4
	s_delay_alu instid0(VALU_DEP_2) | instskip(NEXT) | instid1(VALU_DEP_1)
	v_clz_i32_u32_e32 v0, v2
	v_min_u32_e32 v0, 32, v0
	s_delay_alu instid0(VALU_DEP_1) | instskip(SKIP_1) | instid1(VALU_DEP_2)
	v_subrev_nc_u32_e32 v23, 28, v0
	v_sub_nc_u32_e32 v0, 29, v0
	v_lshlrev_b64_e32 v[24:25], v23, v[2:3]
	s_delay_alu instid0(VALU_DEP_1)
	v_and_b32_e32 v2, 7, v24
; %bb.2448:                             ;   in Loop: Header=BB6_2345 Depth=4
	s_or_b32 exec_lo, exec_lo, s77
	v_lshlrev_b32_e32 v22, 24, v22
	s_delay_alu instid0(VALU_DEP_2) | instskip(SKIP_1) | instid1(VALU_DEP_3)
	v_lshlrev_b32_e32 v2, 20, v2
	v_lshl_add_u32 v0, v0, 23, 0x3c000000
	v_and_b32_e32 v22, 0x80000000, v22
	s_delay_alu instid0(VALU_DEP_1)
	v_or3_b32 v0, v2, v22, v0
.LBB6_2449:                             ;   in Loop: Header=BB6_2345 Depth=4
	s_or_b32 exec_lo, exec_lo, s76
.LBB6_2450:                             ;   in Loop: Header=BB6_2345 Depth=4
	s_delay_alu instid0(SALU_CYCLE_1)
	s_or_b32 exec_lo, exec_lo, s15
.LBB6_2451:                             ;   in Loop: Header=BB6_2345 Depth=4
	s_delay_alu instid0(SALU_CYCLE_1) | instskip(SKIP_3) | instid1(VALU_DEP_3)
	s_or_b32 exec_lo, exec_lo, s14
	v_lshrrev_b32_e32 v2, 24, v8
	v_bfe_u32 v22, v8, 24, 7
	v_cmp_gt_u32_e64 s15, 0x1000000, v8
	v_cmp_eq_u32_e64 s13, 0x80, v2
	s_delay_alu instid0(VALU_DEP_3) | instskip(NEXT) | instid1(VALU_DEP_2)
	v_cmp_eq_u32_e64 s14, 0x7f, v22
	v_cndmask_b32_e64 v23, 0x7f800001, v125, s13
	s_or_b32 s13, s13, s14
	s_delay_alu instid0(SALU_CYCLE_1) | instskip(NEXT) | instid1(VALU_DEP_1)
	s_nor_b32 s13, s15, s13
	v_cndmask_b32_e64 v23, v23, 0, s15
	s_and_saveexec_b32 s14, s13
	s_cbranch_execz .LBB6_2453
; %bb.2452:                             ;   in Loop: Header=BB6_2345 Depth=4
	v_and_b32_e32 v23, 7, v2
	v_cmp_gt_u32_e64 s13, 8, v22
	s_delay_alu instid0(VALU_DEP_2) | instskip(NEXT) | instid1(VALU_DEP_1)
	v_clz_i32_u32_e32 v24, v23
	v_min_u32_e32 v26, 32, v24
	s_delay_alu instid0(VALU_DEP_1) | instskip(SKIP_1) | instid1(VALU_DEP_2)
	v_subrev_nc_u32_e32 v24, 28, v26
	v_sub_nc_u32_e32 v26, 29, v26
	v_lshlrev_b64_e32 v[24:25], v24, v[2:3]
	v_lshrrev_b32_e32 v25, 3, v22
	v_lshlrev_b32_e32 v2, 24, v2
	s_delay_alu instid0(VALU_DEP_1) | instskip(NEXT) | instid1(VALU_DEP_3)
	v_and_b32_e32 v2, 0x80000000, v2
	v_dual_cndmask_b32 v24, v25, v26, s13 :: v_dual_bitop2_b32 v22, 7, v24 bitop3:0x40
	s_delay_alu instid0(VALU_DEP_1) | instskip(NEXT) | instid1(VALU_DEP_2)
	v_cndmask_b32_e64 v22, v23, v22, s13
	v_lshl_add_u32 v23, v24, 23, 0x3c000000
	s_delay_alu instid0(VALU_DEP_2) | instskip(NEXT) | instid1(VALU_DEP_1)
	v_lshlrev_b32_e32 v22, 20, v22
	v_or3_b32 v23, v22, v2, v23
.LBB6_2453:                             ;   in Loop: Header=BB6_2345 Depth=4
	s_or_b32 exec_lo, exec_lo, s14
	s_delay_alu instid0(VALU_DEP_1) | instskip(SKIP_1) | instid1(VALU_DEP_1)
	v_add_f32_e32 v0, v0, v23
                                        ; implicit-def: $vgpr35
	s_mov_b32 s14, exec_lo
	v_and_b32_e32 v2, 0x7f800000, v0
	v_lshrrev_b32_e32 v22, 24, v0
	s_delay_alu instid0(VALU_DEP_2)
	v_cmpx_ne_u64_e32 0x7f800000, v[2:3]
	s_xor_b32 s15, exec_lo, s14
	s_cbranch_execz .LBB6_2467
; %bb.2454:                             ;   in Loop: Header=BB6_2345 Depth=4
	v_and_b32_e32 v2, 0x7fffffff, v0
	v_and_b32_e32 v26, 0x80, v22
                                        ; implicit-def: $vgpr35
	s_mov_b32 s14, exec_lo
	s_delay_alu instid0(VALU_DEP_2)
	v_cmpx_gt_u64_e32 0x43e00001, v[2:3]
	s_xor_b32 s76, exec_lo, s14
	s_cbranch_execz .LBB6_2464
; %bb.2455:                             ;   in Loop: Header=BB6_2345 Depth=4
	v_mov_b32_e32 v35, 0
	s_mov_b32 s77, exec_lo
	v_cmpx_ne_u32_e32 0, v0
	s_cbranch_execz .LBB6_2463
; %bb.2456:                             ;   in Loop: Header=BB6_2345 Depth=4
	v_bfe_u32 v27, v0, 23, 8
	v_and_b32_e32 v0, 0x7fffff, v0
	s_delay_alu instid0(VALU_DEP_2) | instskip(SKIP_1) | instid1(VALU_DEP_3)
	v_sub_nc_u32_e32 v2, 0x79, v27
	v_cmp_gt_u32_e64 s13, 0x7a, v27
	v_or_b32_e32 v24, 0x800000, v0
	s_delay_alu instid0(VALU_DEP_2) | instskip(SKIP_1) | instid1(VALU_DEP_1)
	v_cndmask_b32_e64 v2, 0, v2, s13
	v_cmp_eq_u32_e64 s13, 0, v27
	v_cndmask_b32_e64 v35, v2, 0x78, s13
	s_delay_alu instid0(VALU_DEP_1) | instskip(NEXT) | instid1(VALU_DEP_1)
	v_dual_add_nc_u32 v2, 20, v35 :: v_dual_add_nc_u32 v25, 19, v35
	v_lshlrev_b64_e64 v[22:23], v2, -1
	v_cndmask_b32_e64 v2, v24, v0, s13
	s_delay_alu instid0(VALU_DEP_3) | instskip(NEXT) | instid1(VALU_DEP_3)
	v_lshlrev_b64_e64 v[24:25], v25, 1
	v_bfi_b32 v37, v23, 0, 0
	s_delay_alu instid0(VALU_DEP_3) | instskip(SKIP_1) | instid1(VALU_DEP_2)
	v_bfi_b32 v36, v22, 0, v2
	v_lshrrev_b64 v[22:23], v35, v[2:3]
	v_cmp_eq_u64_e64 s14, v[36:37], v[24:25]
	s_delay_alu instid0(VALU_DEP_2)
	v_mov_b64_e32 v[24:25], v[22:23]
	s_and_saveexec_b32 s78, s14
; %bb.2457:                             ;   in Loop: Header=BB6_2345 Depth=4
	v_bfe_u32 v2, v22, 20, 1
	s_delay_alu instid0(VALU_DEP_1) | instskip(NEXT) | instid1(VALU_DEP_1)
	v_add_nc_u64_e32 v[24:25], v[22:23], v[2:3]
	v_add_nc_u64_e32 v[24:25], -1, v[24:25]
; %bb.2458:                             ;   in Loop: Header=BB6_2345 Depth=4
	s_or_b32 exec_lo, exec_lo, s78
	v_add_nc_u32_e32 v0, 0xffffff81, v27
	v_lshrrev_b32_e32 v2, 23, v22
	s_mov_b32 s14, exec_lo
	s_delay_alu instid0(VALU_DEP_2) | instskip(NEXT) | instid1(VALU_DEP_1)
	v_cndmask_b32_e64 v0, v0, 0xffffff82, s13
	v_add3_u32 v25, v35, v0, v2
	v_and_b32_e32 v0, 0xfffff, v24
	s_delay_alu instid0(VALU_DEP_1) | instskip(NEXT) | instid1(VALU_DEP_1)
	v_dual_add_nc_u32 v24, 6, v25 :: v_dual_add_nc_u32 v2, v0, v22
                                        ; implicit-def: $vgpr22_vgpr23
                                        ; implicit-def: $vgpr0
	v_cmpx_ne_u32_e32 0, v24
	s_xor_b32 s14, exec_lo, s14
; %bb.2459:                             ;   in Loop: Header=BB6_2345 Depth=4
	s_delay_alu instid0(VALU_DEP_2) | instskip(SKIP_1) | instid1(VALU_DEP_2)
	v_cmp_lt_u64_e64 s13, 0xffffff, v[2:3]
	v_add_nc_u32_e32 v0, 7, v25
	v_cndmask_b32_e64 v22, 0, 1, s13
	s_delay_alu instid0(VALU_DEP_2) | instskip(NEXT) | instid1(VALU_DEP_2)
	v_cndmask_b32_e64 v0, v24, v0, s13
	v_lshrrev_b64 v[22:23], v22, v[2:3]
; %bb.2460:                             ;   in Loop: Header=BB6_2345 Depth=4
	s_and_not1_saveexec_b32 s13, s14
; %bb.2461:                             ;   in Loop: Header=BB6_2345 Depth=4
	v_mov_b64_e32 v[22:23], v[2:3]
	v_bfe_u32 v0, v2, 23, 1
; %bb.2462:                             ;   in Loop: Header=BB6_2345 Depth=4
	s_or_b32 exec_lo, exec_lo, s13
	s_delay_alu instid0(VALU_DEP_2) | instskip(NEXT) | instid1(VALU_DEP_2)
	v_lshrrev_b64 v[22:23], 20, v[22:23]
	v_cmp_gt_i32_e64 s13, 16, v0
	v_min_i32_e32 v2, 15, v0
	v_cmp_eq_u32_e64 s14, 0, v0
	s_delay_alu instid0(VALU_DEP_2) | instskip(SKIP_1) | instid1(VALU_DEP_2)
	v_dual_cndmask_b32 v23, 0, v23, s13 :: v_dual_lshlrev_b32 v2, 3, v2
	v_cndmask_b32_e64 v22, 7, v22, s13
	v_and_b32_e32 v2, 0xf8, v2
	s_delay_alu instid0(VALU_DEP_2) | instskip(NEXT) | instid1(VALU_DEP_2)
	v_cmp_eq_u64_e64 s13, 0, v[22:23]
	v_and_or_b32 v0, v22, 7, v2
	s_and_b32 s13, s14, s13
	s_delay_alu instid0(VALU_DEP_1) | instid1(SALU_CYCLE_1)
	v_cndmask_b32_e64 v0, v0, 0, s13
	s_delay_alu instid0(VALU_DEP_1)
	v_or_b32_e32 v35, v0, v26
.LBB6_2463:                             ;   in Loop: Header=BB6_2345 Depth=4
	s_or_b32 exec_lo, exec_lo, s77
                                        ; implicit-def: $vgpr26
.LBB6_2464:                             ;   in Loop: Header=BB6_2345 Depth=4
	s_and_not1_saveexec_b32 s13, s76
; %bb.2465:                             ;   in Loop: Header=BB6_2345 Depth=4
	v_or_b32_e32 v35, 0x7e, v26
; %bb.2466:                             ;   in Loop: Header=BB6_2345 Depth=4
	s_or_b32 exec_lo, exec_lo, s13
                                        ; implicit-def: $vgpr22
.LBB6_2467:                             ;   in Loop: Header=BB6_2345 Depth=4
	s_and_not1_saveexec_b32 s13, s15
; %bb.2468:                             ;   in Loop: Header=BB6_2345 Depth=4
	v_or_b32_e32 v35, 0x7f, v22
; %bb.2469:                             ;   in Loop: Header=BB6_2345 Depth=4
	s_or_b32 exec_lo, exec_lo, s13
	v_and_b32_e32 v0, 0xff, v13
	v_dual_mov_b32 v2, v13 :: v_dual_mov_b32 v24, 0
	s_mov_b32 s14, exec_lo
	s_delay_alu instid0(VALU_DEP_2)
	v_cmpx_ne_u16_e32 0, v0
	s_cbranch_execz .LBB6_2475
; %bb.2470:                             ;   in Loop: Header=BB6_2345 Depth=4
	v_bfrev_b32_e32 v24, 1
	s_mov_b32 s15, exec_lo
	v_cmpx_ne_u16_e32 0x80, v0
	s_cbranch_execz .LBB6_2474
; %bb.2471:                             ;   in Loop: Header=BB6_2345 Depth=4
	v_and_b32_e32 v0, 0x7f, v13
	v_mov_b32_e32 v24, 0x7f800001
	s_mov_b32 s76, exec_lo
	s_delay_alu instid0(VALU_DEP_2)
	v_cmpx_ne_u32_e32 0x7f, v0
	s_cbranch_execz .LBB6_2473
; %bb.2472:                             ;   in Loop: Header=BB6_2345 Depth=4
	v_dual_lshrrev_b32 v23, 3, v0 :: v_dual_bitop2_b32 v22, 7, v13 bitop3:0x40
	v_cmp_gt_u32_e64 s13, 8, v0
	s_delay_alu instid0(VALU_DEP_2) | instskip(NEXT) | instid1(VALU_DEP_1)
	v_clz_i32_u32_e32 v22, v22
	v_min_u32_e32 v22, 32, v22
	s_delay_alu instid0(VALU_DEP_1) | instskip(SKIP_1) | instid1(VALU_DEP_1)
	v_subrev_nc_u32_e32 v24, 28, v22
	v_sub_nc_u32_e32 v22, 29, v22
	v_dual_cndmask_b32 v0, v23, v22, s13 :: v_dual_cndmask_b32 v22, 0, v24, s13
	s_delay_alu instid0(VALU_DEP_1) | instskip(NEXT) | instid1(VALU_DEP_2)
	v_lshl_add_u32 v0, v0, 23, 0x3c000000
	v_lshlrev_b64_e32 v[22:23], v22, v[2:3]
	v_lshlrev_b32_e32 v23, 24, v2
	s_delay_alu instid0(VALU_DEP_1) | instskip(NEXT) | instid1(VALU_DEP_3)
	v_and_b32_e32 v23, 0x80000000, v23
	v_lshlrev_b32_e32 v22, 20, v22
	s_delay_alu instid0(VALU_DEP_1) | instskip(NEXT) | instid1(VALU_DEP_1)
	v_and_b32_e32 v22, 0x700000, v22
	v_or3_b32 v24, v22, v23, v0
.LBB6_2473:                             ;   in Loop: Header=BB6_2345 Depth=4
	s_or_b32 exec_lo, exec_lo, s76
.LBB6_2474:                             ;   in Loop: Header=BB6_2345 Depth=4
	s_delay_alu instid0(SALU_CYCLE_1)
	s_or_b32 exec_lo, exec_lo, s15
.LBB6_2475:                             ;   in Loop: Header=BB6_2345 Depth=4
	s_delay_alu instid0(SALU_CYCLE_1) | instskip(SKIP_4) | instid1(VALU_DEP_2)
	s_or_b32 exec_lo, exec_lo, s14
	v_and_b32_e32 v23, 0xff, v9
	v_mov_b32_e32 v22, v9
	s_mov_b32 s14, 0
	s_mov_b32 s15, exec_lo
	v_cmpx_lt_i16_e32 0x7f, v23
	s_xor_b32 s15, exec_lo, s15
	s_cbranch_execz .LBB6_2510
; %bb.2476:                             ;   in Loop: Header=BB6_2345 Depth=4
	s_mov_b32 s14, -1
	s_mov_b32 s76, exec_lo
	v_cmpx_eq_u16_e32 0x80, v23
; %bb.2477:                             ;   in Loop: Header=BB6_2345 Depth=4
	s_xor_b32 s14, exec_lo, -1
; %bb.2478:                             ;   in Loop: Header=BB6_2345 Depth=4
	s_or_b32 exec_lo, exec_lo, s76
	s_delay_alu instid0(SALU_CYCLE_1)
	s_and_b32 s14, s14, exec_lo
                                        ; implicit-def: $vgpr23
	s_or_saveexec_b32 s15, s15
	v_bfrev_b32_e32 v0, 1
	s_xor_b32 exec_lo, exec_lo, s15
	s_cbranch_execnz .LBB6_2511
.LBB6_2479:                             ;   in Loop: Header=BB6_2345 Depth=4
	s_or_b32 exec_lo, exec_lo, s15
	v_mov_b32_e32 v23, v3
	s_and_saveexec_b32 s15, s14
	s_cbranch_execz .LBB6_2481
.LBB6_2480:                             ;   in Loop: Header=BB6_2345 Depth=4
	v_and_b32_e32 v25, 0x7f, v9
	v_bfe_u32 v26, v9, 3, 4
	s_delay_alu instid0(VALU_DEP_2) | instskip(SKIP_1) | instid1(VALU_DEP_1)
	v_cmp_gt_u32_e64 s13, 8, v25
	v_and_b32_e32 v0, 7, v9
	v_clz_i32_u32_e32 v0, v0
	s_delay_alu instid0(VALU_DEP_1) | instskip(NEXT) | instid1(VALU_DEP_1)
	v_min_u32_e32 v0, 32, v0
	v_subrev_nc_u32_e32 v27, 28, v0
	v_sub_nc_u32_e32 v0, 29, v0
	s_delay_alu instid0(VALU_DEP_1) | instskip(SKIP_1) | instid1(VALU_DEP_2)
	v_dual_cndmask_b32 v0, v26, v0, s13 :: v_dual_cndmask_b32 v26, 0, v27, s13
	v_cmp_ne_u32_e64 s13, 0x7f, v25
	v_lshlrev_b64_e32 v[26:27], v26, v[22:23]
	v_lshlrev_b32_e32 v23, 24, v22
	s_delay_alu instid0(VALU_DEP_1) | instskip(NEXT) | instid1(VALU_DEP_3)
	v_and_b32_e32 v23, 0x80000000, v23
	v_lshlrev_b32_e32 v26, 20, v26
	v_lshl_add_u32 v0, v0, 23, 0x3c000000
	s_delay_alu instid0(VALU_DEP_2) | instskip(NEXT) | instid1(VALU_DEP_1)
	v_and_b32_e32 v26, 0x700000, v26
	v_or3_b32 v0, v26, v23, v0
	s_delay_alu instid0(VALU_DEP_1)
	v_cndmask_b32_e64 v0, 0x7f800001, v0, s13
.LBB6_2481:                             ;   in Loop: Header=BB6_2345 Depth=4
	s_or_b32 exec_lo, exec_lo, s15
	s_delay_alu instid0(VALU_DEP_1) | instskip(SKIP_1) | instid1(VALU_DEP_1)
	v_dual_add_f32 v0, v24, v0 :: v_dual_mov_b32 v25, v3
                                        ; implicit-def: $vgpr26
	s_mov_b32 s14, exec_lo
	v_and_b32_e32 v24, 0x7f800000, v0
	v_lshrrev_b32_e32 v23, 24, v0
	s_delay_alu instid0(VALU_DEP_2)
	v_cmpx_ne_u64_e32 0x7f800000, v[24:25]
	s_xor_b32 s15, exec_lo, s14
	s_cbranch_execz .LBB6_2495
; %bb.2482:                             ;   in Loop: Header=BB6_2345 Depth=4
	v_and_b32_e32 v24, 0x7fffffff, v0
	v_mov_b32_e32 v25, v3
	v_and_b32_e32 v23, 0x80, v23
                                        ; implicit-def: $vgpr26
	s_mov_b32 s14, exec_lo
	s_delay_alu instid0(VALU_DEP_2)
	v_cmpx_gt_u64_e32 0x43e00001, v[24:25]
	s_xor_b32 s76, exec_lo, s14
	s_cbranch_execz .LBB6_2492
; %bb.2483:                             ;   in Loop: Header=BB6_2345 Depth=4
	v_mov_b32_e32 v26, 0
	s_mov_b32 s77, exec_lo
	v_cmpx_ne_u32_e32 0, v0
	s_cbranch_execz .LBB6_2491
; %bb.2484:                             ;   in Loop: Header=BB6_2345 Depth=4
	v_bfe_u32 v36, v0, 23, 8
	v_and_b32_e32 v0, 0x7fffff, v0
	s_mov_b32 s78, exec_lo
	s_delay_alu instid0(VALU_DEP_2) | instskip(SKIP_1) | instid1(VALU_DEP_3)
	v_dual_mov_b32 v27, v3 :: v_dual_sub_nc_u32 v24, 0x79, v36
	v_cmp_gt_u32_e64 s13, 0x7a, v36
	v_or_b32_e32 v26, 0x800000, v0
	s_delay_alu instid0(VALU_DEP_2) | instskip(SKIP_1) | instid1(VALU_DEP_1)
	v_cndmask_b32_e64 v24, 0, v24, s13
	v_cmp_eq_u32_e64 s13, 0, v36
	v_cndmask_b32_e64 v37, v24, 0x78, s13
	s_delay_alu instid0(VALU_DEP_1) | instskip(SKIP_1) | instid1(VALU_DEP_2)
	v_dual_cndmask_b32 v26, v26, v0, s13 :: v_dual_add_nc_u32 v24, 20, v37
	v_add_nc_u32_e32 v38, 19, v37
	v_lshlrev_b64_e64 v[24:25], v24, -1
	s_delay_alu instid0(VALU_DEP_2) | instskip(NEXT) | instid1(VALU_DEP_2)
	v_lshlrev_b64_e64 v[38:39], v38, 1
	v_bfi_b32 v49, v25, 0, 0
	s_delay_alu instid0(VALU_DEP_3) | instskip(SKIP_1) | instid1(VALU_DEP_1)
	v_bfi_b32 v48, v24, 0, v26
	v_lshrrev_b64 v[24:25], v37, v[26:27]
	v_mov_b64_e32 v[26:27], v[24:25]
	s_delay_alu instid0(VALU_DEP_3)
	v_cmpx_eq_u64_e64 v[48:49], v[38:39]
; %bb.2485:                             ;   in Loop: Header=BB6_2345 Depth=4
	v_bfe_u32 v26, v24, 20, 1
	v_mov_b32_e32 v27, v3
	s_delay_alu instid0(VALU_DEP_1) | instskip(NEXT) | instid1(VALU_DEP_1)
	v_add_nc_u64_e32 v[26:27], v[24:25], v[26:27]
	v_add_nc_u64_e32 v[26:27], -1, v[26:27]
; %bb.2486:                             ;   in Loop: Header=BB6_2345 Depth=4
	s_or_b32 exec_lo, exec_lo, s78
	v_add_nc_u32_e32 v0, 0xffffff81, v36
	v_lshrrev_b32_e32 v25, 23, v24
	s_mov_b32 s14, exec_lo
	s_delay_alu instid0(VALU_DEP_2) | instskip(NEXT) | instid1(VALU_DEP_1)
	v_cndmask_b32_e64 v0, v0, 0xffffff82, s13
	v_add3_u32 v27, v37, v0, v25
	v_and_b32_e32 v0, 0xfffff, v26
	s_delay_alu instid0(VALU_DEP_2) | instskip(NEXT) | instid1(VALU_DEP_2)
	v_dual_mov_b32 v25, v3 :: v_dual_add_nc_u32 v26, 6, v27
	v_add_nc_u32_e32 v24, v0, v24
                                        ; implicit-def: $vgpr0
	s_delay_alu instid0(VALU_DEP_2)
	v_cmpx_ne_u32_e32 0, v26
	s_xor_b32 s14, exec_lo, s14
; %bb.2487:                             ;   in Loop: Header=BB6_2345 Depth=4
	s_delay_alu instid0(VALU_DEP_2) | instskip(SKIP_1) | instid1(VALU_DEP_1)
	v_cmp_lt_u64_e64 s13, 0xffffff, v[24:25]
	v_add_nc_u32_e32 v0, 7, v27
	v_cndmask_b32_e64 v0, v26, v0, s13
	v_cndmask_b32_e64 v26, 0, 1, s13
	s_delay_alu instid0(VALU_DEP_1)
	v_lshrrev_b64 v[24:25], v26, v[24:25]
; %bb.2488:                             ;   in Loop: Header=BB6_2345 Depth=4
	s_and_not1_saveexec_b32 s13, s14
; %bb.2489:                             ;   in Loop: Header=BB6_2345 Depth=4
	s_delay_alu instid0(VALU_DEP_1)
	v_bfe_u32 v0, v24, 23, 1
; %bb.2490:                             ;   in Loop: Header=BB6_2345 Depth=4
	s_or_b32 exec_lo, exec_lo, s13
	s_delay_alu instid0(VALU_DEP_2) | instskip(NEXT) | instid1(VALU_DEP_2)
	v_lshrrev_b64 v[24:25], 20, v[24:25]
	v_cmp_gt_i32_e64 s13, 16, v0
	v_min_i32_e32 v26, 15, v0
	v_cmp_eq_u32_e64 s14, 0, v0
	s_delay_alu instid0(VALU_DEP_2) | instskip(SKIP_1) | instid1(VALU_DEP_2)
	v_dual_cndmask_b32 v25, 0, v25, s13 :: v_dual_lshlrev_b32 v26, 3, v26
	v_cndmask_b32_e64 v24, 7, v24, s13
	v_and_b32_e32 v26, 0xf8, v26
	s_delay_alu instid0(VALU_DEP_2) | instskip(NEXT) | instid1(VALU_DEP_2)
	v_cmp_eq_u64_e64 s13, 0, v[24:25]
	v_and_or_b32 v0, v24, 7, v26
	s_and_b32 s13, s14, s13
	s_delay_alu instid0(VALU_DEP_1) | instid1(SALU_CYCLE_1)
	v_cndmask_b32_e64 v0, v0, 0, s13
	s_delay_alu instid0(VALU_DEP_1)
	v_or_b32_e32 v26, v0, v23
.LBB6_2491:                             ;   in Loop: Header=BB6_2345 Depth=4
	s_or_b32 exec_lo, exec_lo, s77
                                        ; implicit-def: $vgpr23
.LBB6_2492:                             ;   in Loop: Header=BB6_2345 Depth=4
	s_and_not1_saveexec_b32 s13, s76
; %bb.2493:                             ;   in Loop: Header=BB6_2345 Depth=4
	v_or_b32_e32 v26, 0x7e, v23
; %bb.2494:                             ;   in Loop: Header=BB6_2345 Depth=4
	s_or_b32 exec_lo, exec_lo, s13
                                        ; implicit-def: $vgpr23
.LBB6_2495:                             ;   in Loop: Header=BB6_2345 Depth=4
	s_and_not1_saveexec_b32 s13, s15
; %bb.2496:                             ;   in Loop: Header=BB6_2345 Depth=4
	v_or_b32_e32 v26, 0x7f, v23
; %bb.2497:                             ;   in Loop: Header=BB6_2345 Depth=4
	s_or_b32 exec_lo, exec_lo, s13
	v_lshrrev_b16 v0, 8, v2
	v_mov_b32_e32 v23, 0
	s_mov_b32 s14, exec_lo
	s_delay_alu instid0(VALU_DEP_2)
	v_cmpx_ne_u16_e32 0, v0
	s_cbranch_execz .LBB6_2505
; %bb.2498:                             ;   in Loop: Header=BB6_2345 Depth=4
	v_bfrev_b32_e32 v23, 1
	s_mov_b32 s15, exec_lo
	v_cmpx_ne_u16_e32 0x80, v0
	s_cbranch_execz .LBB6_2504
; %bb.2499:                             ;   in Loop: Header=BB6_2345 Depth=4
	v_and_b32_e32 v0, 0xffff, v0
	v_mov_b32_e32 v23, 0x7f800001
	s_mov_b32 s76, exec_lo
	s_delay_alu instid0(VALU_DEP_2) | instskip(NEXT) | instid1(VALU_DEP_1)
	v_and_b32_e32 v27, 0x7f, v0
	v_cmpx_ne_u32_e32 0x7f, v27
	s_cbranch_execz .LBB6_2503
; %bb.2500:                             ;   in Loop: Header=BB6_2345 Depth=4
	v_dual_mov_b32 v25, v3 :: v_dual_bitop2_b32 v24, 7, v0 bitop3:0x40
	v_lshrrev_b32_e32 v0, 3, v27
	s_mov_b32 s77, exec_lo
	v_cmpx_gt_u32_e32 8, v27
; %bb.2501:                             ;   in Loop: Header=BB6_2345 Depth=4
	s_delay_alu instid0(VALU_DEP_3) | instskip(NEXT) | instid1(VALU_DEP_1)
	v_clz_i32_u32_e32 v0, v24
	v_min_u32_e32 v0, 32, v0
	s_delay_alu instid0(VALU_DEP_1) | instskip(SKIP_1) | instid1(VALU_DEP_2)
	v_subrev_nc_u32_e32 v23, 28, v0
	v_sub_nc_u32_e32 v0, 29, v0
	v_lshlrev_b64_e32 v[24:25], v23, v[24:25]
	s_delay_alu instid0(VALU_DEP_1)
	v_and_b32_e32 v24, 7, v24
; %bb.2502:                             ;   in Loop: Header=BB6_2345 Depth=4
	s_or_b32 exec_lo, exec_lo, s77
	s_delay_alu instid0(VALU_DEP_1) | instskip(SKIP_1) | instid1(VALU_DEP_2)
	v_dual_lshlrev_b32 v2, 16, v2 :: v_dual_lshlrev_b32 v23, 20, v24
	v_lshl_add_u32 v0, v0, 23, 0x3c000000
	v_and_b32_e32 v2, 0x80000000, v2
	s_delay_alu instid0(VALU_DEP_1)
	v_or3_b32 v23, v23, v2, v0
.LBB6_2503:                             ;   in Loop: Header=BB6_2345 Depth=4
	s_or_b32 exec_lo, exec_lo, s76
.LBB6_2504:                             ;   in Loop: Header=BB6_2345 Depth=4
	s_delay_alu instid0(SALU_CYCLE_1)
	s_or_b32 exec_lo, exec_lo, s15
.LBB6_2505:                             ;   in Loop: Header=BB6_2345 Depth=4
	s_delay_alu instid0(SALU_CYCLE_1) | instskip(SKIP_3) | instid1(VALU_DEP_1)
	s_or_b32 exec_lo, exec_lo, s14
	v_lshrrev_b16 v22, 8, v22
	s_mov_b32 s15, 0
	s_mov_b32 s14, exec_lo
	v_cmpx_lt_i16_e32 0x7f, v22
	s_xor_b32 s14, exec_lo, s14
	s_cbranch_execz .LBB6_2512
; %bb.2506:                             ;   in Loop: Header=BB6_2345 Depth=4
	s_mov_b32 s15, -1
	s_mov_b32 s76, exec_lo
	v_cmpx_eq_u16_e32 0x80, v22
; %bb.2507:                             ;   in Loop: Header=BB6_2345 Depth=4
	s_xor_b32 s15, exec_lo, -1
; %bb.2508:                             ;   in Loop: Header=BB6_2345 Depth=4
	s_or_b32 exec_lo, exec_lo, s76
	s_delay_alu instid0(SALU_CYCLE_1)
	s_and_b32 s15, s15, exec_lo
	s_or_saveexec_b32 s14, s14
	v_bfrev_b32_e32 v0, 1
	s_xor_b32 exec_lo, exec_lo, s14
	s_cbranch_execnz .LBB6_2513
.LBB6_2509:                             ;   in Loop: Header=BB6_2345 Depth=4
	s_or_b32 exec_lo, exec_lo, s14
	s_and_saveexec_b32 s14, s15
	s_cbranch_execnz .LBB6_2514
	s_branch .LBB6_2517
.LBB6_2510:                             ;   in Loop: Header=BB6_2345 Depth=4
	s_or_saveexec_b32 s15, s15
	v_bfrev_b32_e32 v0, 1
	s_xor_b32 exec_lo, exec_lo, s15
	s_cbranch_execz .LBB6_2479
.LBB6_2511:                             ;   in Loop: Header=BB6_2345 Depth=4
	v_cmp_ne_u16_e64 s13, 0, v23
	v_mov_b32_e32 v0, 0
	s_and_not1_b32 s14, s14, exec_lo
	s_and_b32 s13, s13, exec_lo
	s_delay_alu instid0(SALU_CYCLE_1)
	s_or_b32 s14, s14, s13
	s_or_b32 exec_lo, exec_lo, s15
	v_mov_b32_e32 v23, v3
	s_and_saveexec_b32 s15, s14
	s_cbranch_execnz .LBB6_2480
	s_branch .LBB6_2481
.LBB6_2512:                             ;   in Loop: Header=BB6_2345 Depth=4
	s_or_saveexec_b32 s14, s14
	v_bfrev_b32_e32 v0, 1
	s_xor_b32 exec_lo, exec_lo, s14
	s_cbranch_execz .LBB6_2509
.LBB6_2513:                             ;   in Loop: Header=BB6_2345 Depth=4
	v_cmp_ne_u16_e64 s13, 0, v22
	v_mov_b32_e32 v0, 0
	s_and_not1_b32 s15, s15, exec_lo
	s_and_b32 s13, s13, exec_lo
	s_delay_alu instid0(SALU_CYCLE_1)
	s_or_b32 s15, s15, s13
	s_or_b32 exec_lo, exec_lo, s14
	s_and_saveexec_b32 s14, s15
	s_cbranch_execz .LBB6_2517
.LBB6_2514:                             ;   in Loop: Header=BB6_2345 Depth=4
	v_and_b32_e32 v2, 0xffff, v22
	v_mov_b32_e32 v0, 0x7f800001
	s_mov_b32 s15, exec_lo
	s_delay_alu instid0(VALU_DEP_2) | instskip(NEXT) | instid1(VALU_DEP_1)
	v_and_b32_e32 v24, 0x7f, v2
	v_cmpx_ne_u32_e32 0x7f, v24
	s_cbranch_execz .LBB6_2516
; %bb.2515:                             ;   in Loop: Header=BB6_2345 Depth=4
	v_and_b32_e32 v0, 7, v2
	v_cmp_gt_u32_e64 s13, 8, v24
	s_delay_alu instid0(VALU_DEP_2) | instskip(NEXT) | instid1(VALU_DEP_1)
	v_clz_i32_u32_e32 v25, v0
	v_min_u32_e32 v25, 32, v25
	s_delay_alu instid0(VALU_DEP_1) | instskip(NEXT) | instid1(VALU_DEP_1)
	v_subrev_nc_u32_e32 v27, 28, v25
	v_lshlrev_b64_e32 v[36:37], v27, v[2:3]
	v_dual_lshrrev_b32 v2, 3, v24 :: v_dual_sub_nc_u32 v25, 29, v25
	s_delay_alu instid0(VALU_DEP_2) | instskip(NEXT) | instid1(VALU_DEP_1)
	v_dual_lshlrev_b32 v22, 24, v22 :: v_dual_bitop2_b32 v24, 7, v36 bitop3:0x40
	v_dual_cndmask_b32 v2, v2, v25, s13 :: v_dual_cndmask_b32 v0, v0, v24, s13
	s_delay_alu instid0(VALU_DEP_2) | instskip(NEXT) | instid1(VALU_DEP_2)
	v_and_b32_e32 v22, 0x80000000, v22
	v_lshl_add_u32 v2, v2, 23, 0x3c000000
	s_delay_alu instid0(VALU_DEP_3) | instskip(NEXT) | instid1(VALU_DEP_1)
	v_lshlrev_b32_e32 v0, 20, v0
	v_or3_b32 v0, v0, v22, v2
.LBB6_2516:                             ;   in Loop: Header=BB6_2345 Depth=4
	s_or_b32 exec_lo, exec_lo, s15
.LBB6_2517:                             ;   in Loop: Header=BB6_2345 Depth=4
	s_delay_alu instid0(SALU_CYCLE_1) | instskip(NEXT) | instid1(VALU_DEP_1)
	s_or_b32 exec_lo, exec_lo, s14
	v_add_f32_e32 v0, v23, v0
                                        ; implicit-def: $vgpr27
	s_mov_b32 s14, exec_lo
	s_delay_alu instid0(VALU_DEP_1) | instskip(SKIP_1) | instid1(VALU_DEP_2)
	v_and_b32_e32 v2, 0x7f800000, v0
	v_lshrrev_b32_e32 v22, 24, v0
	v_cmpx_ne_u64_e32 0x7f800000, v[2:3]
	s_xor_b32 s15, exec_lo, s14
	s_cbranch_execz .LBB6_2531
; %bb.2518:                             ;   in Loop: Header=BB6_2345 Depth=4
	v_and_b32_e32 v2, 0x7fffffff, v0
	v_and_b32_e32 v36, 0x80, v22
                                        ; implicit-def: $vgpr27
	s_mov_b32 s14, exec_lo
	s_delay_alu instid0(VALU_DEP_2)
	v_cmpx_gt_u64_e32 0x43e00001, v[2:3]
	s_xor_b32 s76, exec_lo, s14
	s_cbranch_execz .LBB6_2528
; %bb.2519:                             ;   in Loop: Header=BB6_2345 Depth=4
	v_mov_b32_e32 v27, 0
	s_mov_b32 s77, exec_lo
	v_cmpx_ne_u32_e32 0, v0
	s_cbranch_execz .LBB6_2527
; %bb.2520:                             ;   in Loop: Header=BB6_2345 Depth=4
	v_bfe_u32 v27, v0, 23, 8
	v_and_b32_e32 v0, 0x7fffff, v0
	s_delay_alu instid0(VALU_DEP_2) | instskip(SKIP_1) | instid1(VALU_DEP_3)
	v_sub_nc_u32_e32 v2, 0x79, v27
	v_cmp_gt_u32_e64 s13, 0x7a, v27
	v_or_b32_e32 v24, 0x800000, v0
	s_delay_alu instid0(VALU_DEP_2) | instskip(SKIP_1) | instid1(VALU_DEP_1)
	v_cndmask_b32_e64 v2, 0, v2, s13
	v_cmp_eq_u32_e64 s13, 0, v27
	v_cndmask_b32_e64 v37, v2, 0x78, s13
	s_delay_alu instid0(VALU_DEP_1) | instskip(NEXT) | instid1(VALU_DEP_1)
	v_dual_add_nc_u32 v2, 20, v37 :: v_dual_add_nc_u32 v25, 19, v37
	v_lshlrev_b64_e64 v[22:23], v2, -1
	v_cndmask_b32_e64 v2, v24, v0, s13
	s_delay_alu instid0(VALU_DEP_3) | instskip(NEXT) | instid1(VALU_DEP_3)
	v_lshlrev_b64_e64 v[24:25], v25, 1
	v_bfi_b32 v39, v23, 0, 0
	s_delay_alu instid0(VALU_DEP_3) | instskip(SKIP_1) | instid1(VALU_DEP_2)
	v_bfi_b32 v38, v22, 0, v2
	v_lshrrev_b64 v[22:23], v37, v[2:3]
	v_cmp_eq_u64_e64 s14, v[38:39], v[24:25]
	s_delay_alu instid0(VALU_DEP_2)
	v_mov_b64_e32 v[24:25], v[22:23]
	s_and_saveexec_b32 s78, s14
; %bb.2521:                             ;   in Loop: Header=BB6_2345 Depth=4
	v_bfe_u32 v2, v22, 20, 1
	s_delay_alu instid0(VALU_DEP_1) | instskip(NEXT) | instid1(VALU_DEP_1)
	v_add_nc_u64_e32 v[24:25], v[22:23], v[2:3]
	v_add_nc_u64_e32 v[24:25], -1, v[24:25]
; %bb.2522:                             ;   in Loop: Header=BB6_2345 Depth=4
	s_or_b32 exec_lo, exec_lo, s78
	v_add_nc_u32_e32 v0, 0xffffff81, v27
	v_lshrrev_b32_e32 v2, 23, v22
	s_mov_b32 s14, exec_lo
	s_delay_alu instid0(VALU_DEP_2) | instskip(NEXT) | instid1(VALU_DEP_1)
	v_cndmask_b32_e64 v0, v0, 0xffffff82, s13
	v_add3_u32 v25, v37, v0, v2
	v_and_b32_e32 v0, 0xfffff, v24
	s_delay_alu instid0(VALU_DEP_1) | instskip(NEXT) | instid1(VALU_DEP_1)
	v_dual_add_nc_u32 v24, 6, v25 :: v_dual_add_nc_u32 v2, v0, v22
                                        ; implicit-def: $vgpr22_vgpr23
                                        ; implicit-def: $vgpr0
	v_cmpx_ne_u32_e32 0, v24
	s_xor_b32 s14, exec_lo, s14
; %bb.2523:                             ;   in Loop: Header=BB6_2345 Depth=4
	s_delay_alu instid0(VALU_DEP_2) | instskip(SKIP_1) | instid1(VALU_DEP_2)
	v_cmp_lt_u64_e64 s13, 0xffffff, v[2:3]
	v_add_nc_u32_e32 v0, 7, v25
	v_cndmask_b32_e64 v22, 0, 1, s13
	s_delay_alu instid0(VALU_DEP_2) | instskip(NEXT) | instid1(VALU_DEP_2)
	v_cndmask_b32_e64 v0, v24, v0, s13
	v_lshrrev_b64 v[22:23], v22, v[2:3]
; %bb.2524:                             ;   in Loop: Header=BB6_2345 Depth=4
	s_and_not1_saveexec_b32 s13, s14
; %bb.2525:                             ;   in Loop: Header=BB6_2345 Depth=4
	v_mov_b64_e32 v[22:23], v[2:3]
	v_bfe_u32 v0, v2, 23, 1
; %bb.2526:                             ;   in Loop: Header=BB6_2345 Depth=4
	s_or_b32 exec_lo, exec_lo, s13
	s_delay_alu instid0(VALU_DEP_2) | instskip(NEXT) | instid1(VALU_DEP_2)
	v_lshrrev_b64 v[22:23], 20, v[22:23]
	v_cmp_gt_i32_e64 s13, 16, v0
	v_min_i32_e32 v2, 15, v0
	v_cmp_eq_u32_e64 s14, 0, v0
	s_delay_alu instid0(VALU_DEP_2) | instskip(SKIP_1) | instid1(VALU_DEP_2)
	v_dual_cndmask_b32 v23, 0, v23, s13 :: v_dual_lshlrev_b32 v2, 3, v2
	v_cndmask_b32_e64 v22, 7, v22, s13
	v_and_b32_e32 v2, 0xf8, v2
	s_delay_alu instid0(VALU_DEP_2) | instskip(NEXT) | instid1(VALU_DEP_2)
	v_cmp_eq_u64_e64 s13, 0, v[22:23]
	v_and_or_b32 v0, v22, 7, v2
	s_and_b32 s13, s14, s13
	s_delay_alu instid0(VALU_DEP_1) | instid1(SALU_CYCLE_1)
	v_cndmask_b32_e64 v0, v0, 0, s13
	s_delay_alu instid0(VALU_DEP_1)
	v_or_b32_e32 v27, v0, v36
.LBB6_2527:                             ;   in Loop: Header=BB6_2345 Depth=4
	s_or_b32 exec_lo, exec_lo, s77
                                        ; implicit-def: $vgpr36
.LBB6_2528:                             ;   in Loop: Header=BB6_2345 Depth=4
	s_and_not1_saveexec_b32 s13, s76
; %bb.2529:                             ;   in Loop: Header=BB6_2345 Depth=4
	v_or_b32_e32 v27, 0x7e, v36
; %bb.2530:                             ;   in Loop: Header=BB6_2345 Depth=4
	s_or_b32 exec_lo, exec_lo, s13
                                        ; implicit-def: $vgpr22
.LBB6_2531:                             ;   in Loop: Header=BB6_2345 Depth=4
	s_and_not1_saveexec_b32 s13, s15
; %bb.2532:                             ;   in Loop: Header=BB6_2345 Depth=4
	v_or_b32_e32 v27, 0x7f, v22
; %bb.2533:                             ;   in Loop: Header=BB6_2345 Depth=4
	s_or_b32 exec_lo, exec_lo, s13
	v_dual_lshrrev_b32 v0, 16, v13 :: v_dual_mov_b32 v22, 0
	s_mov_b32 s14, exec_lo
	s_delay_alu instid0(VALU_DEP_1) | instskip(NEXT) | instid1(VALU_DEP_1)
	v_and_b32_e32 v2, 0xff, v0
	v_cmpx_ne_u16_e32 0, v2
	s_cbranch_execz .LBB6_2541
; %bb.2534:                             ;   in Loop: Header=BB6_2345 Depth=4
	v_bfrev_b32_e32 v22, 1
	s_mov_b32 s15, exec_lo
	v_cmpx_ne_u16_e32 0x80, v2
	s_cbranch_execz .LBB6_2540
; %bb.2535:                             ;   in Loop: Header=BB6_2345 Depth=4
	v_bfe_u32 v23, v13, 16, 7
	v_mov_b32_e32 v22, 0x7f800001
	s_mov_b32 s76, exec_lo
	s_delay_alu instid0(VALU_DEP_2)
	v_cmpx_ne_u32_e32 0x7f, v23
	s_cbranch_execz .LBB6_2539
; %bb.2536:                             ;   in Loop: Header=BB6_2345 Depth=4
	v_dual_lshrrev_b32 v22, 3, v23 :: v_dual_bitop2_b32 v2, 7, v0 bitop3:0x40
	s_mov_b32 s77, exec_lo
	v_cmpx_gt_u32_e32 8, v23
; %bb.2537:                             ;   in Loop: Header=BB6_2345 Depth=4
	s_delay_alu instid0(VALU_DEP_2) | instskip(NEXT) | instid1(VALU_DEP_1)
	v_clz_i32_u32_e32 v22, v2
	v_min_u32_e32 v22, 32, v22
	s_delay_alu instid0(VALU_DEP_1) | instskip(NEXT) | instid1(VALU_DEP_1)
	v_subrev_nc_u32_e32 v23, 28, v22
	v_lshlrev_b64_e32 v[24:25], v23, v[2:3]
	s_delay_alu instid0(VALU_DEP_1)
	v_dual_sub_nc_u32 v22, 29, v22 :: v_dual_bitop2_b32 v2, 7, v24 bitop3:0x40
; %bb.2538:                             ;   in Loop: Header=BB6_2345 Depth=4
	s_or_b32 exec_lo, exec_lo, s77
	s_delay_alu instid0(VALU_DEP_1) | instskip(NEXT) | instid1(VALU_DEP_2)
	v_dual_lshlrev_b32 v0, 24, v0 :: v_dual_lshlrev_b32 v2, 20, v2
	v_lshl_add_u32 v22, v22, 23, 0x3c000000
	s_delay_alu instid0(VALU_DEP_2) | instskip(NEXT) | instid1(VALU_DEP_1)
	v_and_b32_e32 v0, 0x80000000, v0
	v_or3_b32 v22, v2, v0, v22
.LBB6_2539:                             ;   in Loop: Header=BB6_2345 Depth=4
	s_or_b32 exec_lo, exec_lo, s76
.LBB6_2540:                             ;   in Loop: Header=BB6_2345 Depth=4
	s_delay_alu instid0(SALU_CYCLE_1)
	s_or_b32 exec_lo, exec_lo, s15
.LBB6_2541:                             ;   in Loop: Header=BB6_2345 Depth=4
	s_delay_alu instid0(SALU_CYCLE_1) | instskip(SKIP_3) | instid1(VALU_DEP_1)
	s_or_b32 exec_lo, exec_lo, s14
	v_lshrrev_b32_e32 v2, 16, v9
	s_mov_b32 s15, 0
	s_mov_b32 s14, exec_lo
	v_and_b32_e32 v23, 0xff, v2
	s_delay_alu instid0(VALU_DEP_1)
	v_cmpx_lt_i16_e32 0x7f, v23
	s_xor_b32 s14, exec_lo, s14
	s_cbranch_execz .LBB6_2546
; %bb.2542:                             ;   in Loop: Header=BB6_2345 Depth=4
	s_mov_b32 s15, -1
	s_mov_b32 s76, exec_lo
	v_cmpx_eq_u16_e32 0x80, v23
; %bb.2543:                             ;   in Loop: Header=BB6_2345 Depth=4
	s_xor_b32 s15, exec_lo, -1
; %bb.2544:                             ;   in Loop: Header=BB6_2345 Depth=4
	s_or_b32 exec_lo, exec_lo, s76
	s_delay_alu instid0(SALU_CYCLE_1)
	s_and_b32 s15, s15, exec_lo
                                        ; implicit-def: $vgpr23
	s_or_saveexec_b32 s14, s14
	v_bfrev_b32_e32 v0, 1
	s_xor_b32 exec_lo, exec_lo, s14
	s_cbranch_execnz .LBB6_2547
.LBB6_2545:                             ;   in Loop: Header=BB6_2345 Depth=4
	s_or_b32 exec_lo, exec_lo, s14
	s_and_saveexec_b32 s14, s15
	s_cbranch_execnz .LBB6_2548
	s_branch .LBB6_2551
.LBB6_2546:                             ;   in Loop: Header=BB6_2345 Depth=4
	s_or_saveexec_b32 s14, s14
	v_bfrev_b32_e32 v0, 1
	s_xor_b32 exec_lo, exec_lo, s14
	s_cbranch_execz .LBB6_2545
.LBB6_2547:                             ;   in Loop: Header=BB6_2345 Depth=4
	v_cmp_ne_u16_e64 s13, 0, v23
	v_mov_b32_e32 v0, 0
	s_and_not1_b32 s15, s15, exec_lo
	s_and_b32 s13, s13, exec_lo
	s_delay_alu instid0(SALU_CYCLE_1)
	s_or_b32 s15, s15, s13
	s_or_b32 exec_lo, exec_lo, s14
	s_and_saveexec_b32 s14, s15
	s_cbranch_execz .LBB6_2551
.LBB6_2548:                             ;   in Loop: Header=BB6_2345 Depth=4
	v_and_b32_e32 v23, 0x7f, v2
	v_mov_b32_e32 v0, 0x7f800001
	s_mov_b32 s15, exec_lo
	s_delay_alu instid0(VALU_DEP_2)
	v_cmpx_ne_u32_e32 0x7f, v23
	s_cbranch_execz .LBB6_2550
; %bb.2549:                             ;   in Loop: Header=BB6_2345 Depth=4
	v_and_b32_e32 v0, 7, v2
	v_cmp_gt_u32_e64 s13, 8, v23
	s_delay_alu instid0(VALU_DEP_2) | instskip(NEXT) | instid1(VALU_DEP_1)
	v_clz_i32_u32_e32 v24, v0
	v_min_u32_e32 v36, 32, v24
	s_delay_alu instid0(VALU_DEP_1) | instskip(SKIP_1) | instid1(VALU_DEP_2)
	v_subrev_nc_u32_e32 v24, 28, v36
	v_sub_nc_u32_e32 v36, 29, v36
	v_lshlrev_b64_e32 v[24:25], v24, v[2:3]
	v_dual_lshrrev_b32 v25, 3, v23 :: v_dual_lshlrev_b32 v2, 24, v2
	s_delay_alu instid0(VALU_DEP_1) | instskip(NEXT) | instid1(VALU_DEP_3)
	v_and_b32_e32 v2, 0x80000000, v2
	v_and_b32_e32 v23, 7, v24
	s_delay_alu instid0(VALU_DEP_1) | instskip(NEXT) | instid1(VALU_DEP_1)
	v_dual_cndmask_b32 v24, v25, v36, s13 :: v_dual_cndmask_b32 v0, v0, v23, s13
	v_lshl_add_u32 v23, v24, 23, 0x3c000000
	s_delay_alu instid0(VALU_DEP_2) | instskip(NEXT) | instid1(VALU_DEP_1)
	v_lshlrev_b32_e32 v0, 20, v0
	v_or3_b32 v0, v0, v2, v23
.LBB6_2550:                             ;   in Loop: Header=BB6_2345 Depth=4
	s_or_b32 exec_lo, exec_lo, s15
.LBB6_2551:                             ;   in Loop: Header=BB6_2345 Depth=4
	s_delay_alu instid0(SALU_CYCLE_1) | instskip(NEXT) | instid1(VALU_DEP_1)
	s_or_b32 exec_lo, exec_lo, s14
	v_add_f32_e32 v0, v22, v0
                                        ; implicit-def: $vgpr24
	s_mov_b32 s14, exec_lo
	s_delay_alu instid0(VALU_DEP_1) | instskip(SKIP_1) | instid1(VALU_DEP_2)
	v_and_b32_e32 v2, 0x7f800000, v0
	v_lshrrev_b32_e32 v22, 24, v0
	v_cmpx_ne_u64_e32 0x7f800000, v[2:3]
	s_xor_b32 s15, exec_lo, s14
	s_cbranch_execz .LBB6_2565
; %bb.2552:                             ;   in Loop: Header=BB6_2345 Depth=4
	v_and_b32_e32 v2, 0x7fffffff, v0
	v_and_b32_e32 v36, 0x80, v22
                                        ; implicit-def: $vgpr24
	s_mov_b32 s14, exec_lo
	s_delay_alu instid0(VALU_DEP_2)
	v_cmpx_gt_u64_e32 0x43e00001, v[2:3]
	s_xor_b32 s76, exec_lo, s14
	s_cbranch_execz .LBB6_2562
; %bb.2553:                             ;   in Loop: Header=BB6_2345 Depth=4
	v_mov_b32_e32 v24, 0
	s_mov_b32 s77, exec_lo
	v_cmpx_ne_u32_e32 0, v0
	s_cbranch_execz .LBB6_2561
; %bb.2554:                             ;   in Loop: Header=BB6_2345 Depth=4
	v_bfe_u32 v37, v0, 23, 8
	v_and_b32_e32 v0, 0x7fffff, v0
	s_delay_alu instid0(VALU_DEP_2) | instskip(SKIP_1) | instid1(VALU_DEP_3)
	v_sub_nc_u32_e32 v2, 0x79, v37
	v_cmp_gt_u32_e64 s13, 0x7a, v37
	v_or_b32_e32 v24, 0x800000, v0
	s_delay_alu instid0(VALU_DEP_2) | instskip(SKIP_1) | instid1(VALU_DEP_1)
	v_cndmask_b32_e64 v2, 0, v2, s13
	v_cmp_eq_u32_e64 s13, 0, v37
	v_cndmask_b32_e64 v38, v2, 0x78, s13
	s_delay_alu instid0(VALU_DEP_1) | instskip(NEXT) | instid1(VALU_DEP_1)
	v_dual_add_nc_u32 v2, 20, v38 :: v_dual_add_nc_u32 v25, 19, v38
	v_lshlrev_b64_e64 v[22:23], v2, -1
	v_cndmask_b32_e64 v2, v24, v0, s13
	s_delay_alu instid0(VALU_DEP_3) | instskip(NEXT) | instid1(VALU_DEP_3)
	v_lshlrev_b64_e64 v[24:25], v25, 1
	v_bfi_b32 v49, v23, 0, 0
	s_delay_alu instid0(VALU_DEP_3) | instskip(SKIP_1) | instid1(VALU_DEP_2)
	v_bfi_b32 v48, v22, 0, v2
	v_lshrrev_b64 v[22:23], v38, v[2:3]
	v_cmp_eq_u64_e64 s14, v[48:49], v[24:25]
	s_delay_alu instid0(VALU_DEP_2)
	v_mov_b64_e32 v[24:25], v[22:23]
	s_and_saveexec_b32 s78, s14
; %bb.2555:                             ;   in Loop: Header=BB6_2345 Depth=4
	v_bfe_u32 v2, v22, 20, 1
	s_delay_alu instid0(VALU_DEP_1) | instskip(NEXT) | instid1(VALU_DEP_1)
	v_add_nc_u64_e32 v[24:25], v[22:23], v[2:3]
	v_add_nc_u64_e32 v[24:25], -1, v[24:25]
; %bb.2556:                             ;   in Loop: Header=BB6_2345 Depth=4
	s_or_b32 exec_lo, exec_lo, s78
	v_add_nc_u32_e32 v0, 0xffffff81, v37
	v_lshrrev_b32_e32 v2, 23, v22
	s_mov_b32 s14, exec_lo
	s_delay_alu instid0(VALU_DEP_2) | instskip(NEXT) | instid1(VALU_DEP_1)
	v_cndmask_b32_e64 v0, v0, 0xffffff82, s13
	v_add3_u32 v25, v38, v0, v2
	v_and_b32_e32 v0, 0xfffff, v24
	s_delay_alu instid0(VALU_DEP_1) | instskip(NEXT) | instid1(VALU_DEP_1)
	v_dual_add_nc_u32 v24, 6, v25 :: v_dual_add_nc_u32 v2, v0, v22
                                        ; implicit-def: $vgpr22_vgpr23
                                        ; implicit-def: $vgpr0
	v_cmpx_ne_u32_e32 0, v24
	s_xor_b32 s14, exec_lo, s14
; %bb.2557:                             ;   in Loop: Header=BB6_2345 Depth=4
	s_delay_alu instid0(VALU_DEP_2) | instskip(SKIP_1) | instid1(VALU_DEP_2)
	v_cmp_lt_u64_e64 s13, 0xffffff, v[2:3]
	v_add_nc_u32_e32 v0, 7, v25
	v_cndmask_b32_e64 v22, 0, 1, s13
	s_delay_alu instid0(VALU_DEP_2) | instskip(NEXT) | instid1(VALU_DEP_2)
	v_cndmask_b32_e64 v0, v24, v0, s13
	v_lshrrev_b64 v[22:23], v22, v[2:3]
; %bb.2558:                             ;   in Loop: Header=BB6_2345 Depth=4
	s_and_not1_saveexec_b32 s13, s14
; %bb.2559:                             ;   in Loop: Header=BB6_2345 Depth=4
	v_mov_b64_e32 v[22:23], v[2:3]
	v_bfe_u32 v0, v2, 23, 1
; %bb.2560:                             ;   in Loop: Header=BB6_2345 Depth=4
	s_or_b32 exec_lo, exec_lo, s13
	s_delay_alu instid0(VALU_DEP_2) | instskip(NEXT) | instid1(VALU_DEP_2)
	v_lshrrev_b64 v[22:23], 20, v[22:23]
	v_cmp_gt_i32_e64 s13, 16, v0
	v_min_i32_e32 v2, 15, v0
	v_cmp_eq_u32_e64 s14, 0, v0
	s_delay_alu instid0(VALU_DEP_2) | instskip(SKIP_1) | instid1(VALU_DEP_2)
	v_dual_cndmask_b32 v23, 0, v23, s13 :: v_dual_lshlrev_b32 v2, 3, v2
	v_cndmask_b32_e64 v22, 7, v22, s13
	v_and_b32_e32 v2, 0xf8, v2
	s_delay_alu instid0(VALU_DEP_2) | instskip(NEXT) | instid1(VALU_DEP_2)
	v_cmp_eq_u64_e64 s13, 0, v[22:23]
	v_and_or_b32 v0, v22, 7, v2
	s_and_b32 s13, s14, s13
	s_delay_alu instid0(VALU_DEP_1) | instid1(SALU_CYCLE_1)
	v_cndmask_b32_e64 v0, v0, 0, s13
	s_delay_alu instid0(VALU_DEP_1)
	v_or_b32_e32 v24, v0, v36
.LBB6_2561:                             ;   in Loop: Header=BB6_2345 Depth=4
	s_or_b32 exec_lo, exec_lo, s77
                                        ; implicit-def: $vgpr36
.LBB6_2562:                             ;   in Loop: Header=BB6_2345 Depth=4
	s_and_not1_saveexec_b32 s13, s76
; %bb.2563:                             ;   in Loop: Header=BB6_2345 Depth=4
	v_or_b32_e32 v24, 0x7e, v36
; %bb.2564:                             ;   in Loop: Header=BB6_2345 Depth=4
	s_or_b32 exec_lo, exec_lo, s13
                                        ; implicit-def: $vgpr22
.LBB6_2565:                             ;   in Loop: Header=BB6_2345 Depth=4
	s_and_not1_saveexec_b32 s13, s15
; %bb.2566:                             ;   in Loop: Header=BB6_2345 Depth=4
	v_or_b32_e32 v24, 0x7f, v22
; %bb.2567:                             ;   in Loop: Header=BB6_2345 Depth=4
	s_or_b32 exec_lo, exec_lo, s13
	v_cmp_lt_u64_e64 s13, s[22:23], v[12:13]
	v_mov_b32_e32 v12, 0
	s_and_saveexec_b32 s14, s13
	s_cbranch_execz .LBB6_2575
; %bb.2568:                             ;   in Loop: Header=BB6_2345 Depth=4
	v_lshrrev_b32_e32 v0, 24, v13
	v_bfrev_b32_e32 v12, 1
	s_mov_b32 s15, exec_lo
	s_delay_alu instid0(VALU_DEP_2)
	v_cmpx_ne_u32_e32 0x80, v0
	s_cbranch_execz .LBB6_2574
; %bb.2569:                             ;   in Loop: Header=BB6_2345 Depth=4
	v_bfe_u32 v13, v13, 24, 7
	v_mov_b32_e32 v12, 0x7f800001
	s_mov_b32 s76, exec_lo
	s_delay_alu instid0(VALU_DEP_2)
	v_cmpx_ne_u32_e32 0x7f, v13
	s_cbranch_execz .LBB6_2573
; %bb.2570:                             ;   in Loop: Header=BB6_2345 Depth=4
	v_dual_lshrrev_b32 v12, 3, v13 :: v_dual_bitop2_b32 v2, 7, v0 bitop3:0x40
	s_mov_b32 s77, exec_lo
	v_cmpx_gt_u32_e32 8, v13
; %bb.2571:                             ;   in Loop: Header=BB6_2345 Depth=4
	s_delay_alu instid0(VALU_DEP_2) | instskip(NEXT) | instid1(VALU_DEP_1)
	v_clz_i32_u32_e32 v12, v2
	v_min_u32_e32 v12, 32, v12
	s_delay_alu instid0(VALU_DEP_1) | instskip(NEXT) | instid1(VALU_DEP_1)
	v_subrev_nc_u32_e32 v13, 28, v12
	v_lshlrev_b64_e32 v[22:23], v13, v[2:3]
	s_delay_alu instid0(VALU_DEP_1)
	v_dual_sub_nc_u32 v12, 29, v12 :: v_dual_bitop2_b32 v2, 7, v22 bitop3:0x40
; %bb.2572:                             ;   in Loop: Header=BB6_2345 Depth=4
	s_or_b32 exec_lo, exec_lo, s77
	s_delay_alu instid0(VALU_DEP_1) | instskip(NEXT) | instid1(VALU_DEP_2)
	v_dual_lshlrev_b32 v0, 24, v0 :: v_dual_lshlrev_b32 v2, 20, v2
	v_lshl_add_u32 v12, v12, 23, 0x3c000000
	s_delay_alu instid0(VALU_DEP_2) | instskip(NEXT) | instid1(VALU_DEP_1)
	v_and_b32_e32 v0, 0x80000000, v0
	v_or3_b32 v12, v2, v0, v12
.LBB6_2573:                             ;   in Loop: Header=BB6_2345 Depth=4
	s_or_b32 exec_lo, exec_lo, s76
.LBB6_2574:                             ;   in Loop: Header=BB6_2345 Depth=4
	s_delay_alu instid0(SALU_CYCLE_1)
	s_or_b32 exec_lo, exec_lo, s15
.LBB6_2575:                             ;   in Loop: Header=BB6_2345 Depth=4
	s_delay_alu instid0(SALU_CYCLE_1) | instskip(SKIP_3) | instid1(VALU_DEP_3)
	s_or_b32 exec_lo, exec_lo, s14
	v_lshrrev_b32_e32 v2, 24, v9
	v_bfe_u32 v0, v9, 24, 7
	v_cmp_gt_u64_e64 s15, s[24:25], v[8:9]
	v_cmp_eq_u32_e64 s14, 0x80, v2
	s_delay_alu instid0(VALU_DEP_3) | instskip(NEXT) | instid1(VALU_DEP_2)
	v_cmp_eq_u32_e64 s13, 0x7f, v0
	v_cndmask_b32_e64 v13, 0x7f800001, v125, s14
	s_or_b32 s13, s14, s13
	s_delay_alu instid0(SALU_CYCLE_1) | instskip(NEXT) | instid1(VALU_DEP_1)
	s_nor_b32 s13, s15, s13
	v_cndmask_b32_e64 v8, v13, 0, s15
	s_and_saveexec_b32 s14, s13
	s_cbranch_execz .LBB6_2577
; %bb.2576:                             ;   in Loop: Header=BB6_2345 Depth=4
	v_and_b32_e32 v13, 7, v2
	v_cmp_gt_u32_e64 s13, 8, v0
	s_delay_alu instid0(VALU_DEP_2) | instskip(NEXT) | instid1(VALU_DEP_1)
	v_clz_i32_u32_e32 v8, v13
	v_min_u32_e32 v22, 32, v8
	s_delay_alu instid0(VALU_DEP_1) | instskip(NEXT) | instid1(VALU_DEP_1)
	v_subrev_nc_u32_e32 v8, 28, v22
	v_lshlrev_b64_e32 v[8:9], v8, v[2:3]
	v_dual_lshrrev_b32 v9, 3, v0 :: v_dual_sub_nc_u32 v22, 29, v22
	s_delay_alu instid0(VALU_DEP_2) | instskip(NEXT) | instid1(VALU_DEP_1)
	v_dual_lshlrev_b32 v2, 24, v2 :: v_dual_bitop2_b32 v0, 7, v8 bitop3:0x40
	v_cndmask_b32_e64 v0, v13, v0, s13
	s_delay_alu instid0(VALU_DEP_3) | instskip(NEXT) | instid1(VALU_DEP_3)
	v_cndmask_b32_e64 v8, v9, v22, s13
	v_and_b32_e32 v2, 0x80000000, v2
	s_delay_alu instid0(VALU_DEP_3) | instskip(NEXT) | instid1(VALU_DEP_3)
	v_lshlrev_b32_e32 v0, 20, v0
	v_lshl_add_u32 v8, v8, 23, 0x3c000000
	s_delay_alu instid0(VALU_DEP_1)
	v_or3_b32 v8, v0, v2, v8
.LBB6_2577:                             ;   in Loop: Header=BB6_2345 Depth=4
	s_or_b32 exec_lo, exec_lo, s14
	s_delay_alu instid0(VALU_DEP_1) | instskip(SKIP_1) | instid1(VALU_DEP_1)
	v_add_f32_e32 v0, v12, v8
                                        ; implicit-def: $vgpr25
	s_mov_b32 s14, exec_lo
	v_and_b32_e32 v2, 0x7f800000, v0
	v_lshrrev_b32_e32 v8, 24, v0
	s_delay_alu instid0(VALU_DEP_2)
	v_cmpx_ne_u64_e32 0x7f800000, v[2:3]
	s_xor_b32 s15, exec_lo, s14
	s_cbranch_execz .LBB6_2591
; %bb.2578:                             ;   in Loop: Header=BB6_2345 Depth=4
	v_and_b32_e32 v2, 0x7fffffff, v0
	v_and_b32_e32 v22, 0x80, v8
                                        ; implicit-def: $vgpr25
	s_mov_b32 s14, exec_lo
	s_delay_alu instid0(VALU_DEP_2)
	v_cmpx_gt_u64_e32 0x43e00001, v[2:3]
	s_xor_b32 s76, exec_lo, s14
	s_cbranch_execz .LBB6_2588
; %bb.2579:                             ;   in Loop: Header=BB6_2345 Depth=4
	v_mov_b32_e32 v25, 0
	s_mov_b32 s77, exec_lo
	v_cmpx_ne_u32_e32 0, v0
	s_cbranch_execz .LBB6_2587
; %bb.2580:                             ;   in Loop: Header=BB6_2345 Depth=4
	v_bfe_u32 v23, v0, 23, 8
	v_and_b32_e32 v0, 0x7fffff, v0
	s_delay_alu instid0(VALU_DEP_2) | instskip(SKIP_1) | instid1(VALU_DEP_3)
	v_sub_nc_u32_e32 v2, 0x79, v23
	v_cmp_gt_u32_e64 s13, 0x7a, v23
	v_or_b32_e32 v12, 0x800000, v0
	s_delay_alu instid0(VALU_DEP_2) | instskip(SKIP_1) | instid1(VALU_DEP_1)
	v_cndmask_b32_e64 v2, 0, v2, s13
	v_cmp_eq_u32_e64 s13, 0, v23
	v_cndmask_b32_e64 v25, v2, 0x78, s13
	s_delay_alu instid0(VALU_DEP_1) | instskip(NEXT) | instid1(VALU_DEP_1)
	v_dual_add_nc_u32 v2, 20, v25 :: v_dual_add_nc_u32 v13, 19, v25
	v_lshlrev_b64_e64 v[8:9], v2, -1
	v_cndmask_b32_e64 v2, v12, v0, s13
	s_delay_alu instid0(VALU_DEP_3) | instskip(NEXT) | instid1(VALU_DEP_3)
	v_lshlrev_b64_e64 v[12:13], v13, 1
	v_bfi_b32 v37, v9, 0, 0
	s_delay_alu instid0(VALU_DEP_3) | instskip(SKIP_1) | instid1(VALU_DEP_2)
	v_bfi_b32 v36, v8, 0, v2
	v_lshrrev_b64 v[8:9], v25, v[2:3]
	v_cmp_eq_u64_e64 s14, v[36:37], v[12:13]
	s_delay_alu instid0(VALU_DEP_2)
	v_mov_b64_e32 v[12:13], v[8:9]
	s_and_saveexec_b32 s78, s14
; %bb.2581:                             ;   in Loop: Header=BB6_2345 Depth=4
	v_bfe_u32 v2, v8, 20, 1
	s_delay_alu instid0(VALU_DEP_1) | instskip(NEXT) | instid1(VALU_DEP_1)
	v_add_nc_u64_e32 v[12:13], v[8:9], v[2:3]
	v_add_nc_u64_e32 v[12:13], -1, v[12:13]
; %bb.2582:                             ;   in Loop: Header=BB6_2345 Depth=4
	s_or_b32 exec_lo, exec_lo, s78
	v_add_nc_u32_e32 v0, 0xffffff81, v23
	v_lshrrev_b32_e32 v2, 23, v8
	s_mov_b32 s14, exec_lo
	s_delay_alu instid0(VALU_DEP_2) | instskip(NEXT) | instid1(VALU_DEP_1)
	v_cndmask_b32_e64 v0, v0, 0xffffff82, s13
	v_add3_u32 v13, v25, v0, v2
	v_and_b32_e32 v0, 0xfffff, v12
	s_delay_alu instid0(VALU_DEP_1) | instskip(NEXT) | instid1(VALU_DEP_1)
	v_dual_add_nc_u32 v12, 6, v13 :: v_dual_add_nc_u32 v2, v0, v8
                                        ; implicit-def: $vgpr8_vgpr9
                                        ; implicit-def: $vgpr0
	v_cmpx_ne_u32_e32 0, v12
	s_xor_b32 s14, exec_lo, s14
; %bb.2583:                             ;   in Loop: Header=BB6_2345 Depth=4
	s_delay_alu instid0(VALU_DEP_2) | instskip(SKIP_1) | instid1(VALU_DEP_2)
	v_cmp_lt_u64_e64 s13, 0xffffff, v[2:3]
	v_add_nc_u32_e32 v0, 7, v13
	v_cndmask_b32_e64 v8, 0, 1, s13
	s_delay_alu instid0(VALU_DEP_2) | instskip(NEXT) | instid1(VALU_DEP_2)
	v_cndmask_b32_e64 v0, v12, v0, s13
	v_lshrrev_b64 v[8:9], v8, v[2:3]
; %bb.2584:                             ;   in Loop: Header=BB6_2345 Depth=4
	s_and_not1_saveexec_b32 s13, s14
; %bb.2585:                             ;   in Loop: Header=BB6_2345 Depth=4
	v_mov_b64_e32 v[8:9], v[2:3]
	v_bfe_u32 v0, v2, 23, 1
; %bb.2586:                             ;   in Loop: Header=BB6_2345 Depth=4
	s_or_b32 exec_lo, exec_lo, s13
	s_delay_alu instid0(VALU_DEP_2) | instskip(NEXT) | instid1(VALU_DEP_2)
	v_lshrrev_b64 v[8:9], 20, v[8:9]
	v_cmp_gt_i32_e64 s13, 16, v0
	v_min_i32_e32 v2, 15, v0
	v_cmp_eq_u32_e64 s14, 0, v0
	s_delay_alu instid0(VALU_DEP_2) | instskip(SKIP_1) | instid1(VALU_DEP_2)
	v_dual_cndmask_b32 v9, 0, v9, s13 :: v_dual_lshlrev_b32 v2, 3, v2
	v_cndmask_b32_e64 v8, 7, v8, s13
	v_and_b32_e32 v2, 0xf8, v2
	s_delay_alu instid0(VALU_DEP_2) | instskip(NEXT) | instid1(VALU_DEP_2)
	v_cmp_eq_u64_e64 s13, 0, v[8:9]
	v_and_or_b32 v0, v8, 7, v2
	s_and_b32 s13, s14, s13
	s_delay_alu instid0(VALU_DEP_1) | instid1(SALU_CYCLE_1)
	v_cndmask_b32_e64 v0, v0, 0, s13
	s_delay_alu instid0(VALU_DEP_1)
	v_or_b32_e32 v25, v0, v22
.LBB6_2587:                             ;   in Loop: Header=BB6_2345 Depth=4
	s_or_b32 exec_lo, exec_lo, s77
                                        ; implicit-def: $vgpr22
.LBB6_2588:                             ;   in Loop: Header=BB6_2345 Depth=4
	s_and_not1_saveexec_b32 s13, s76
; %bb.2589:                             ;   in Loop: Header=BB6_2345 Depth=4
	v_or_b32_e32 v25, 0x7e, v22
; %bb.2590:                             ;   in Loop: Header=BB6_2345 Depth=4
	s_or_b32 exec_lo, exec_lo, s13
                                        ; implicit-def: $vgpr8
.LBB6_2591:                             ;   in Loop: Header=BB6_2345 Depth=4
	s_and_not1_saveexec_b32 s13, s15
; %bb.2592:                             ;   in Loop: Header=BB6_2345 Depth=4
	v_or_b32_e32 v25, 0x7f, v8
; %bb.2593:                             ;   in Loop: Header=BB6_2345 Depth=4
	s_or_b32 exec_lo, exec_lo, s13
	v_and_b32_e32 v0, 0xff, v14
	v_mov_b32_e32 v2, 0
	s_mov_b32 s14, exec_lo
	s_delay_alu instid0(VALU_DEP_2)
	v_cmpx_ne_u16_e32 0, v0
	s_cbranch_execz .LBB6_2599
; %bb.2594:                             ;   in Loop: Header=BB6_2345 Depth=4
	v_bfrev_b32_e32 v2, 1
	s_mov_b32 s15, exec_lo
	v_cmpx_ne_u16_e32 0x80, v0
	s_cbranch_execz .LBB6_2598
; %bb.2595:                             ;   in Loop: Header=BB6_2345 Depth=4
	v_and_b32_e32 v0, 0x7f, v14
	v_mov_b32_e32 v2, 0x7f800001
	s_mov_b32 s76, exec_lo
	s_delay_alu instid0(VALU_DEP_2)
	v_cmpx_ne_u32_e32 0x7f, v0
	s_cbranch_execz .LBB6_2597
; %bb.2596:                             ;   in Loop: Header=BB6_2345 Depth=4
	v_dual_lshrrev_b32 v8, 3, v0 :: v_dual_bitop2_b32 v2, 7, v14 bitop3:0x40
	v_cmp_gt_u32_e64 s13, 8, v0
	s_delay_alu instid0(VALU_DEP_2) | instskip(NEXT) | instid1(VALU_DEP_1)
	v_clz_i32_u32_e32 v2, v2
	v_min_u32_e32 v2, 32, v2
	s_delay_alu instid0(VALU_DEP_1) | instskip(SKIP_1) | instid1(VALU_DEP_1)
	v_subrev_nc_u32_e32 v9, 28, v2
	v_sub_nc_u32_e32 v2, 29, v2
	v_dual_cndmask_b32 v0, v8, v2, s13 :: v_dual_cndmask_b32 v2, 0, v9, s13
	s_delay_alu instid0(VALU_DEP_1) | instskip(NEXT) | instid1(VALU_DEP_2)
	v_lshl_add_u32 v0, v0, 23, 0x3c000000
	v_lshlrev_b64_e32 v[8:9], v2, v[14:15]
	v_lshlrev_b32_e32 v2, 24, v14
	s_delay_alu instid0(VALU_DEP_1) | instskip(NEXT) | instid1(VALU_DEP_3)
	v_and_b32_e32 v2, 0x80000000, v2
	v_lshlrev_b32_e32 v8, 20, v8
	s_delay_alu instid0(VALU_DEP_1) | instskip(NEXT) | instid1(VALU_DEP_1)
	v_and_b32_e32 v8, 0x700000, v8
	v_or3_b32 v2, v8, v2, v0
.LBB6_2597:                             ;   in Loop: Header=BB6_2345 Depth=4
	s_or_b32 exec_lo, exec_lo, s76
.LBB6_2598:                             ;   in Loop: Header=BB6_2345 Depth=4
	s_delay_alu instid0(SALU_CYCLE_1)
	s_or_b32 exec_lo, exec_lo, s15
.LBB6_2599:                             ;   in Loop: Header=BB6_2345 Depth=4
	s_delay_alu instid0(SALU_CYCLE_1) | instskip(SKIP_3) | instid1(VALU_DEP_1)
	s_or_b32 exec_lo, exec_lo, s14
	v_and_b32_e32 v8, 0xff, v10
	s_mov_b32 s14, 0
	s_mov_b32 s15, exec_lo
	v_cmpx_lt_i16_e32 0x7f, v8
	s_xor_b32 s15, exec_lo, s15
	s_cbranch_execz .LBB6_2634
; %bb.2600:                             ;   in Loop: Header=BB6_2345 Depth=4
	s_mov_b32 s14, -1
	s_mov_b32 s76, exec_lo
	v_cmpx_eq_u16_e32 0x80, v8
; %bb.2601:                             ;   in Loop: Header=BB6_2345 Depth=4
	s_xor_b32 s14, exec_lo, -1
; %bb.2602:                             ;   in Loop: Header=BB6_2345 Depth=4
	s_or_b32 exec_lo, exec_lo, s76
	s_delay_alu instid0(SALU_CYCLE_1)
	s_and_b32 s14, s14, exec_lo
                                        ; implicit-def: $vgpr8
	s_or_saveexec_b32 s15, s15
	v_bfrev_b32_e32 v0, 1
	s_xor_b32 exec_lo, exec_lo, s15
	s_cbranch_execnz .LBB6_2635
.LBB6_2603:                             ;   in Loop: Header=BB6_2345 Depth=4
	s_or_b32 exec_lo, exec_lo, s15
	s_and_saveexec_b32 s15, s14
	s_cbranch_execz .LBB6_2605
.LBB6_2604:                             ;   in Loop: Header=BB6_2345 Depth=4
	v_and_b32_e32 v12, 0x7f, v10
	v_bfe_u32 v8, v10, 3, 4
	s_delay_alu instid0(VALU_DEP_2) | instskip(SKIP_1) | instid1(VALU_DEP_1)
	v_cmp_gt_u32_e64 s13, 8, v12
	v_and_b32_e32 v0, 7, v10
	v_clz_i32_u32_e32 v0, v0
	s_delay_alu instid0(VALU_DEP_1) | instskip(NEXT) | instid1(VALU_DEP_1)
	v_min_u32_e32 v0, 32, v0
	v_subrev_nc_u32_e32 v9, 28, v0
	v_sub_nc_u32_e32 v0, 29, v0
	s_delay_alu instid0(VALU_DEP_1) | instskip(SKIP_1) | instid1(VALU_DEP_2)
	v_dual_cndmask_b32 v0, v8, v0, s13 :: v_dual_cndmask_b32 v8, 0, v9, s13
	v_cmp_ne_u32_e64 s13, 0x7f, v12
	v_lshl_add_u32 v0, v0, 23, 0x3c000000
	s_delay_alu instid0(VALU_DEP_3) | instskip(SKIP_1) | instid1(VALU_DEP_1)
	v_lshlrev_b64_e32 v[8:9], v8, v[10:11]
	v_lshlrev_b32_e32 v9, 24, v10
	v_and_b32_e32 v9, 0x80000000, v9
	s_delay_alu instid0(VALU_DEP_3) | instskip(NEXT) | instid1(VALU_DEP_1)
	v_lshlrev_b32_e32 v8, 20, v8
	v_and_b32_e32 v8, 0x700000, v8
	s_delay_alu instid0(VALU_DEP_1) | instskip(NEXT) | instid1(VALU_DEP_1)
	v_or3_b32 v0, v8, v9, v0
	v_cndmask_b32_e64 v0, 0x7f800001, v0, s13
.LBB6_2605:                             ;   in Loop: Header=BB6_2345 Depth=4
	s_or_b32 exec_lo, exec_lo, s15
	s_delay_alu instid0(VALU_DEP_1) | instskip(SKIP_1) | instid1(VALU_DEP_1)
	v_add_f32_e32 v0, v2, v0
                                        ; implicit-def: $vgpr36
	s_mov_b32 s14, exec_lo
	v_and_b32_e32 v2, 0x7f800000, v0
	v_lshrrev_b32_e32 v8, 24, v0
	s_delay_alu instid0(VALU_DEP_2)
	v_cmpx_ne_u64_e32 0x7f800000, v[2:3]
	s_xor_b32 s15, exec_lo, s14
	s_cbranch_execz .LBB6_2619
; %bb.2606:                             ;   in Loop: Header=BB6_2345 Depth=4
	v_and_b32_e32 v2, 0x7fffffff, v0
	v_and_b32_e32 v22, 0x80, v8
                                        ; implicit-def: $vgpr36
	s_mov_b32 s14, exec_lo
	s_delay_alu instid0(VALU_DEP_2)
	v_cmpx_gt_u64_e32 0x43e00001, v[2:3]
	s_xor_b32 s76, exec_lo, s14
	s_cbranch_execz .LBB6_2616
; %bb.2607:                             ;   in Loop: Header=BB6_2345 Depth=4
	v_mov_b32_e32 v36, 0
	s_mov_b32 s77, exec_lo
	v_cmpx_ne_u32_e32 0, v0
	s_cbranch_execz .LBB6_2615
; %bb.2608:                             ;   in Loop: Header=BB6_2345 Depth=4
	v_bfe_u32 v23, v0, 23, 8
	v_and_b32_e32 v0, 0x7fffff, v0
	s_delay_alu instid0(VALU_DEP_2) | instskip(SKIP_1) | instid1(VALU_DEP_3)
	v_sub_nc_u32_e32 v2, 0x79, v23
	v_cmp_gt_u32_e64 s13, 0x7a, v23
	v_or_b32_e32 v12, 0x800000, v0
	s_delay_alu instid0(VALU_DEP_2) | instskip(SKIP_1) | instid1(VALU_DEP_1)
	v_cndmask_b32_e64 v2, 0, v2, s13
	v_cmp_eq_u32_e64 s13, 0, v23
	v_cndmask_b32_e64 v36, v2, 0x78, s13
	s_delay_alu instid0(VALU_DEP_1) | instskip(NEXT) | instid1(VALU_DEP_1)
	v_dual_add_nc_u32 v2, 20, v36 :: v_dual_add_nc_u32 v13, 19, v36
	v_lshlrev_b64_e64 v[8:9], v2, -1
	v_cndmask_b32_e64 v2, v12, v0, s13
	s_delay_alu instid0(VALU_DEP_3) | instskip(NEXT) | instid1(VALU_DEP_3)
	v_lshlrev_b64_e64 v[12:13], v13, 1
	v_bfi_b32 v39, v9, 0, 0
	s_delay_alu instid0(VALU_DEP_3) | instskip(SKIP_1) | instid1(VALU_DEP_2)
	v_bfi_b32 v38, v8, 0, v2
	v_lshrrev_b64 v[8:9], v36, v[2:3]
	v_cmp_eq_u64_e64 s14, v[38:39], v[12:13]
	s_delay_alu instid0(VALU_DEP_2)
	v_mov_b64_e32 v[12:13], v[8:9]
	s_and_saveexec_b32 s78, s14
; %bb.2609:                             ;   in Loop: Header=BB6_2345 Depth=4
	v_bfe_u32 v2, v8, 20, 1
	s_delay_alu instid0(VALU_DEP_1) | instskip(NEXT) | instid1(VALU_DEP_1)
	v_add_nc_u64_e32 v[12:13], v[8:9], v[2:3]
	v_add_nc_u64_e32 v[12:13], -1, v[12:13]
; %bb.2610:                             ;   in Loop: Header=BB6_2345 Depth=4
	s_or_b32 exec_lo, exec_lo, s78
	v_add_nc_u32_e32 v0, 0xffffff81, v23
	v_lshrrev_b32_e32 v2, 23, v8
	s_mov_b32 s14, exec_lo
	s_delay_alu instid0(VALU_DEP_2) | instskip(NEXT) | instid1(VALU_DEP_1)
	v_cndmask_b32_e64 v0, v0, 0xffffff82, s13
	v_add3_u32 v13, v36, v0, v2
	v_and_b32_e32 v0, 0xfffff, v12
	s_delay_alu instid0(VALU_DEP_1) | instskip(NEXT) | instid1(VALU_DEP_1)
	v_dual_add_nc_u32 v12, 6, v13 :: v_dual_add_nc_u32 v2, v0, v8
                                        ; implicit-def: $vgpr8_vgpr9
                                        ; implicit-def: $vgpr0
	v_cmpx_ne_u32_e32 0, v12
	s_xor_b32 s14, exec_lo, s14
; %bb.2611:                             ;   in Loop: Header=BB6_2345 Depth=4
	s_delay_alu instid0(VALU_DEP_2) | instskip(SKIP_1) | instid1(VALU_DEP_2)
	v_cmp_lt_u64_e64 s13, 0xffffff, v[2:3]
	v_add_nc_u32_e32 v0, 7, v13
	v_cndmask_b32_e64 v8, 0, 1, s13
	s_delay_alu instid0(VALU_DEP_2) | instskip(NEXT) | instid1(VALU_DEP_2)
	v_cndmask_b32_e64 v0, v12, v0, s13
	v_lshrrev_b64 v[8:9], v8, v[2:3]
; %bb.2612:                             ;   in Loop: Header=BB6_2345 Depth=4
	s_and_not1_saveexec_b32 s13, s14
; %bb.2613:                             ;   in Loop: Header=BB6_2345 Depth=4
	v_mov_b64_e32 v[8:9], v[2:3]
	v_bfe_u32 v0, v2, 23, 1
; %bb.2614:                             ;   in Loop: Header=BB6_2345 Depth=4
	s_or_b32 exec_lo, exec_lo, s13
	s_delay_alu instid0(VALU_DEP_2) | instskip(NEXT) | instid1(VALU_DEP_2)
	v_lshrrev_b64 v[8:9], 20, v[8:9]
	v_cmp_gt_i32_e64 s13, 16, v0
	v_min_i32_e32 v2, 15, v0
	v_cmp_eq_u32_e64 s14, 0, v0
	s_delay_alu instid0(VALU_DEP_2) | instskip(SKIP_1) | instid1(VALU_DEP_2)
	v_dual_cndmask_b32 v9, 0, v9, s13 :: v_dual_lshlrev_b32 v2, 3, v2
	v_cndmask_b32_e64 v8, 7, v8, s13
	v_and_b32_e32 v2, 0xf8, v2
	s_delay_alu instid0(VALU_DEP_2) | instskip(NEXT) | instid1(VALU_DEP_2)
	v_cmp_eq_u64_e64 s13, 0, v[8:9]
	v_and_or_b32 v0, v8, 7, v2
	s_and_b32 s13, s14, s13
	s_delay_alu instid0(VALU_DEP_1) | instid1(SALU_CYCLE_1)
	v_cndmask_b32_e64 v0, v0, 0, s13
	s_delay_alu instid0(VALU_DEP_1)
	v_or_b32_e32 v36, v0, v22
.LBB6_2615:                             ;   in Loop: Header=BB6_2345 Depth=4
	s_or_b32 exec_lo, exec_lo, s77
                                        ; implicit-def: $vgpr22
.LBB6_2616:                             ;   in Loop: Header=BB6_2345 Depth=4
	s_and_not1_saveexec_b32 s13, s76
; %bb.2617:                             ;   in Loop: Header=BB6_2345 Depth=4
	v_or_b32_e32 v36, 0x7e, v22
; %bb.2618:                             ;   in Loop: Header=BB6_2345 Depth=4
	s_or_b32 exec_lo, exec_lo, s13
                                        ; implicit-def: $vgpr8
.LBB6_2619:                             ;   in Loop: Header=BB6_2345 Depth=4
	s_and_not1_saveexec_b32 s13, s15
; %bb.2620:                             ;   in Loop: Header=BB6_2345 Depth=4
	v_or_b32_e32 v36, 0x7f, v8
; %bb.2621:                             ;   in Loop: Header=BB6_2345 Depth=4
	s_or_b32 exec_lo, exec_lo, s13
	v_lshrrev_b16 v0, 8, v14
	v_mov_b32_e32 v8, 0
	s_mov_b32 s14, exec_lo
	s_delay_alu instid0(VALU_DEP_2)
	v_cmpx_ne_u16_e32 0, v0
	s_cbranch_execz .LBB6_2629
; %bb.2622:                             ;   in Loop: Header=BB6_2345 Depth=4
	v_bfrev_b32_e32 v8, 1
	s_mov_b32 s15, exec_lo
	v_cmpx_ne_u16_e32 0x80, v0
	s_cbranch_execz .LBB6_2628
; %bb.2623:                             ;   in Loop: Header=BB6_2345 Depth=4
	v_and_b32_e32 v0, 0xffff, v0
	v_mov_b32_e32 v8, 0x7f800001
	s_mov_b32 s76, exec_lo
	s_delay_alu instid0(VALU_DEP_2) | instskip(NEXT) | instid1(VALU_DEP_1)
	v_and_b32_e32 v9, 0x7f, v0
	v_cmpx_ne_u32_e32 0x7f, v9
	s_cbranch_execz .LBB6_2627
; %bb.2624:                             ;   in Loop: Header=BB6_2345 Depth=4
	v_dual_lshrrev_b32 v0, 3, v9 :: v_dual_bitop2_b32 v2, 7, v0 bitop3:0x40
	s_mov_b32 s77, exec_lo
	v_cmpx_gt_u32_e32 8, v9
; %bb.2625:                             ;   in Loop: Header=BB6_2345 Depth=4
	s_delay_alu instid0(VALU_DEP_2) | instskip(NEXT) | instid1(VALU_DEP_1)
	v_clz_i32_u32_e32 v0, v2
	v_min_u32_e32 v0, 32, v0
	s_delay_alu instid0(VALU_DEP_1) | instskip(SKIP_1) | instid1(VALU_DEP_2)
	v_subrev_nc_u32_e32 v8, 28, v0
	v_sub_nc_u32_e32 v0, 29, v0
	v_lshlrev_b64_e32 v[8:9], v8, v[2:3]
	s_delay_alu instid0(VALU_DEP_1)
	v_and_b32_e32 v2, 7, v8
; %bb.2626:                             ;   in Loop: Header=BB6_2345 Depth=4
	s_or_b32 exec_lo, exec_lo, s77
	v_lshlrev_b32_e32 v8, 16, v14
	s_delay_alu instid0(VALU_DEP_2) | instskip(SKIP_1) | instid1(VALU_DEP_3)
	v_lshlrev_b32_e32 v2, 20, v2
	v_lshl_add_u32 v0, v0, 23, 0x3c000000
	v_and_b32_e32 v8, 0x80000000, v8
	s_delay_alu instid0(VALU_DEP_1)
	v_or3_b32 v8, v2, v8, v0
.LBB6_2627:                             ;   in Loop: Header=BB6_2345 Depth=4
	s_or_b32 exec_lo, exec_lo, s76
.LBB6_2628:                             ;   in Loop: Header=BB6_2345 Depth=4
	s_delay_alu instid0(SALU_CYCLE_1)
	s_or_b32 exec_lo, exec_lo, s15
.LBB6_2629:                             ;   in Loop: Header=BB6_2345 Depth=4
	s_delay_alu instid0(SALU_CYCLE_1) | instskip(SKIP_3) | instid1(VALU_DEP_1)
	s_or_b32 exec_lo, exec_lo, s14
	v_lshrrev_b16 v9, 8, v10
	s_mov_b32 s15, 0
	s_mov_b32 s14, exec_lo
	v_cmpx_lt_i16_e32 0x7f, v9
	s_xor_b32 s14, exec_lo, s14
	s_cbranch_execz .LBB6_2636
; %bb.2630:                             ;   in Loop: Header=BB6_2345 Depth=4
	s_mov_b32 s15, -1
	s_mov_b32 s76, exec_lo
	v_cmpx_eq_u16_e32 0x80, v9
; %bb.2631:                             ;   in Loop: Header=BB6_2345 Depth=4
	s_xor_b32 s15, exec_lo, -1
; %bb.2632:                             ;   in Loop: Header=BB6_2345 Depth=4
	s_or_b32 exec_lo, exec_lo, s76
	s_delay_alu instid0(SALU_CYCLE_1)
	s_and_b32 s15, s15, exec_lo
	s_or_saveexec_b32 s14, s14
	v_bfrev_b32_e32 v0, 1
	s_xor_b32 exec_lo, exec_lo, s14
	s_cbranch_execnz .LBB6_2637
.LBB6_2633:                             ;   in Loop: Header=BB6_2345 Depth=4
	s_or_b32 exec_lo, exec_lo, s14
	s_and_saveexec_b32 s14, s15
	s_cbranch_execnz .LBB6_2638
	s_branch .LBB6_2641
.LBB6_2634:                             ;   in Loop: Header=BB6_2345 Depth=4
	s_or_saveexec_b32 s15, s15
	v_bfrev_b32_e32 v0, 1
	s_xor_b32 exec_lo, exec_lo, s15
	s_cbranch_execz .LBB6_2603
.LBB6_2635:                             ;   in Loop: Header=BB6_2345 Depth=4
	v_cmp_ne_u16_e64 s13, 0, v8
	v_mov_b32_e32 v0, 0
	s_and_not1_b32 s14, s14, exec_lo
	s_and_b32 s13, s13, exec_lo
	s_delay_alu instid0(SALU_CYCLE_1)
	s_or_b32 s14, s14, s13
	s_or_b32 exec_lo, exec_lo, s15
	s_and_saveexec_b32 s15, s14
	s_cbranch_execnz .LBB6_2604
	s_branch .LBB6_2605
.LBB6_2636:                             ;   in Loop: Header=BB6_2345 Depth=4
	s_or_saveexec_b32 s14, s14
	v_bfrev_b32_e32 v0, 1
	s_xor_b32 exec_lo, exec_lo, s14
	s_cbranch_execz .LBB6_2633
.LBB6_2637:                             ;   in Loop: Header=BB6_2345 Depth=4
	v_cmp_ne_u16_e64 s13, 0, v9
	v_mov_b32_e32 v0, 0
	s_and_not1_b32 s15, s15, exec_lo
	s_and_b32 s13, s13, exec_lo
	s_delay_alu instid0(SALU_CYCLE_1)
	s_or_b32 s15, s15, s13
	s_or_b32 exec_lo, exec_lo, s14
	s_and_saveexec_b32 s14, s15
	s_cbranch_execz .LBB6_2641
.LBB6_2638:                             ;   in Loop: Header=BB6_2345 Depth=4
	v_and_b32_e32 v2, 0xffff, v9
	v_mov_b32_e32 v0, 0x7f800001
	s_mov_b32 s15, exec_lo
	s_delay_alu instid0(VALU_DEP_2) | instskip(NEXT) | instid1(VALU_DEP_1)
	v_and_b32_e32 v12, 0x7f, v2
	v_cmpx_ne_u32_e32 0x7f, v12
	s_cbranch_execz .LBB6_2640
; %bb.2639:                             ;   in Loop: Header=BB6_2345 Depth=4
	v_and_b32_e32 v0, 7, v2
	v_cmp_gt_u32_e64 s13, 8, v12
	s_delay_alu instid0(VALU_DEP_2) | instskip(NEXT) | instid1(VALU_DEP_1)
	v_clz_i32_u32_e32 v13, v0
	v_min_u32_e32 v13, 32, v13
	s_delay_alu instid0(VALU_DEP_1) | instskip(NEXT) | instid1(VALU_DEP_1)
	v_subrev_nc_u32_e32 v22, 28, v13
	v_lshlrev_b64_e32 v[22:23], v22, v[2:3]
	v_dual_lshrrev_b32 v2, 3, v12 :: v_dual_sub_nc_u32 v13, 29, v13
	s_delay_alu instid0(VALU_DEP_2) | instskip(NEXT) | instid1(VALU_DEP_1)
	v_dual_lshlrev_b32 v9, 24, v9 :: v_dual_bitop2_b32 v12, 7, v22 bitop3:0x40
	v_dual_cndmask_b32 v0, v0, v12, s13 :: v_dual_cndmask_b32 v2, v2, v13, s13
	s_delay_alu instid0(VALU_DEP_2) | instskip(NEXT) | instid1(VALU_DEP_2)
	v_and_b32_e32 v9, 0x80000000, v9
	v_lshlrev_b32_e32 v0, 20, v0
	s_delay_alu instid0(VALU_DEP_3) | instskip(NEXT) | instid1(VALU_DEP_1)
	v_lshl_add_u32 v2, v2, 23, 0x3c000000
	v_or3_b32 v0, v0, v9, v2
.LBB6_2640:                             ;   in Loop: Header=BB6_2345 Depth=4
	s_or_b32 exec_lo, exec_lo, s15
.LBB6_2641:                             ;   in Loop: Header=BB6_2345 Depth=4
	s_delay_alu instid0(SALU_CYCLE_1) | instskip(NEXT) | instid1(VALU_DEP_1)
	s_or_b32 exec_lo, exec_lo, s14
	v_add_f32_e32 v0, v8, v0
                                        ; implicit-def: $vgpr37
	s_mov_b32 s14, exec_lo
	s_delay_alu instid0(VALU_DEP_1) | instskip(SKIP_1) | instid1(VALU_DEP_2)
	v_and_b32_e32 v2, 0x7f800000, v0
	v_lshrrev_b32_e32 v8, 24, v0
	v_cmpx_ne_u64_e32 0x7f800000, v[2:3]
	s_xor_b32 s15, exec_lo, s14
	s_cbranch_execz .LBB6_2655
; %bb.2642:                             ;   in Loop: Header=BB6_2345 Depth=4
	v_and_b32_e32 v2, 0x7fffffff, v0
	v_and_b32_e32 v22, 0x80, v8
                                        ; implicit-def: $vgpr37
	s_mov_b32 s14, exec_lo
	s_delay_alu instid0(VALU_DEP_2)
	v_cmpx_gt_u64_e32 0x43e00001, v[2:3]
	s_xor_b32 s76, exec_lo, s14
	s_cbranch_execz .LBB6_2652
; %bb.2643:                             ;   in Loop: Header=BB6_2345 Depth=4
	v_mov_b32_e32 v37, 0
	s_mov_b32 s77, exec_lo
	v_cmpx_ne_u32_e32 0, v0
	s_cbranch_execz .LBB6_2651
; %bb.2644:                             ;   in Loop: Header=BB6_2345 Depth=4
	v_bfe_u32 v23, v0, 23, 8
	v_and_b32_e32 v0, 0x7fffff, v0
	s_delay_alu instid0(VALU_DEP_2) | instskip(SKIP_1) | instid1(VALU_DEP_3)
	v_sub_nc_u32_e32 v2, 0x79, v23
	v_cmp_gt_u32_e64 s13, 0x7a, v23
	v_or_b32_e32 v12, 0x800000, v0
	s_delay_alu instid0(VALU_DEP_2) | instskip(SKIP_1) | instid1(VALU_DEP_1)
	v_cndmask_b32_e64 v2, 0, v2, s13
	v_cmp_eq_u32_e64 s13, 0, v23
	v_cndmask_b32_e64 v37, v2, 0x78, s13
	s_delay_alu instid0(VALU_DEP_1) | instskip(NEXT) | instid1(VALU_DEP_1)
	v_dual_add_nc_u32 v2, 20, v37 :: v_dual_add_nc_u32 v13, 19, v37
	v_lshlrev_b64_e64 v[8:9], v2, -1
	v_cndmask_b32_e64 v2, v12, v0, s13
	s_delay_alu instid0(VALU_DEP_3) | instskip(NEXT) | instid1(VALU_DEP_3)
	v_lshlrev_b64_e64 v[12:13], v13, 1
	v_bfi_b32 v39, v9, 0, 0
	s_delay_alu instid0(VALU_DEP_3) | instskip(SKIP_1) | instid1(VALU_DEP_2)
	v_bfi_b32 v38, v8, 0, v2
	v_lshrrev_b64 v[8:9], v37, v[2:3]
	v_cmp_eq_u64_e64 s14, v[38:39], v[12:13]
	s_delay_alu instid0(VALU_DEP_2)
	v_mov_b64_e32 v[12:13], v[8:9]
	s_and_saveexec_b32 s78, s14
; %bb.2645:                             ;   in Loop: Header=BB6_2345 Depth=4
	v_bfe_u32 v2, v8, 20, 1
	s_delay_alu instid0(VALU_DEP_1) | instskip(NEXT) | instid1(VALU_DEP_1)
	v_add_nc_u64_e32 v[12:13], v[8:9], v[2:3]
	v_add_nc_u64_e32 v[12:13], -1, v[12:13]
; %bb.2646:                             ;   in Loop: Header=BB6_2345 Depth=4
	s_or_b32 exec_lo, exec_lo, s78
	v_add_nc_u32_e32 v0, 0xffffff81, v23
	v_lshrrev_b32_e32 v2, 23, v8
	s_mov_b32 s14, exec_lo
	s_delay_alu instid0(VALU_DEP_2) | instskip(NEXT) | instid1(VALU_DEP_1)
	v_cndmask_b32_e64 v0, v0, 0xffffff82, s13
	v_add3_u32 v13, v37, v0, v2
	v_and_b32_e32 v0, 0xfffff, v12
	s_delay_alu instid0(VALU_DEP_1) | instskip(NEXT) | instid1(VALU_DEP_1)
	v_dual_add_nc_u32 v12, 6, v13 :: v_dual_add_nc_u32 v2, v0, v8
                                        ; implicit-def: $vgpr8_vgpr9
                                        ; implicit-def: $vgpr0
	v_cmpx_ne_u32_e32 0, v12
	s_xor_b32 s14, exec_lo, s14
; %bb.2647:                             ;   in Loop: Header=BB6_2345 Depth=4
	s_delay_alu instid0(VALU_DEP_2) | instskip(SKIP_1) | instid1(VALU_DEP_2)
	v_cmp_lt_u64_e64 s13, 0xffffff, v[2:3]
	v_add_nc_u32_e32 v0, 7, v13
	v_cndmask_b32_e64 v8, 0, 1, s13
	s_delay_alu instid0(VALU_DEP_2) | instskip(NEXT) | instid1(VALU_DEP_2)
	v_cndmask_b32_e64 v0, v12, v0, s13
	v_lshrrev_b64 v[8:9], v8, v[2:3]
; %bb.2648:                             ;   in Loop: Header=BB6_2345 Depth=4
	s_and_not1_saveexec_b32 s13, s14
; %bb.2649:                             ;   in Loop: Header=BB6_2345 Depth=4
	v_mov_b64_e32 v[8:9], v[2:3]
	v_bfe_u32 v0, v2, 23, 1
; %bb.2650:                             ;   in Loop: Header=BB6_2345 Depth=4
	s_or_b32 exec_lo, exec_lo, s13
	s_delay_alu instid0(VALU_DEP_2) | instskip(NEXT) | instid1(VALU_DEP_2)
	v_lshrrev_b64 v[8:9], 20, v[8:9]
	v_cmp_gt_i32_e64 s13, 16, v0
	v_min_i32_e32 v2, 15, v0
	v_cmp_eq_u32_e64 s14, 0, v0
	s_delay_alu instid0(VALU_DEP_2) | instskip(SKIP_1) | instid1(VALU_DEP_2)
	v_dual_cndmask_b32 v9, 0, v9, s13 :: v_dual_lshlrev_b32 v2, 3, v2
	v_cndmask_b32_e64 v8, 7, v8, s13
	v_and_b32_e32 v2, 0xf8, v2
	s_delay_alu instid0(VALU_DEP_2) | instskip(NEXT) | instid1(VALU_DEP_2)
	v_cmp_eq_u64_e64 s13, 0, v[8:9]
	v_and_or_b32 v0, v8, 7, v2
	s_and_b32 s13, s14, s13
	s_delay_alu instid0(VALU_DEP_1) | instid1(SALU_CYCLE_1)
	v_cndmask_b32_e64 v0, v0, 0, s13
	s_delay_alu instid0(VALU_DEP_1)
	v_or_b32_e32 v37, v0, v22
.LBB6_2651:                             ;   in Loop: Header=BB6_2345 Depth=4
	s_or_b32 exec_lo, exec_lo, s77
                                        ; implicit-def: $vgpr22
.LBB6_2652:                             ;   in Loop: Header=BB6_2345 Depth=4
	s_and_not1_saveexec_b32 s13, s76
; %bb.2653:                             ;   in Loop: Header=BB6_2345 Depth=4
	v_or_b32_e32 v37, 0x7e, v22
; %bb.2654:                             ;   in Loop: Header=BB6_2345 Depth=4
	s_or_b32 exec_lo, exec_lo, s13
                                        ; implicit-def: $vgpr8
.LBB6_2655:                             ;   in Loop: Header=BB6_2345 Depth=4
	s_and_not1_saveexec_b32 s13, s15
; %bb.2656:                             ;   in Loop: Header=BB6_2345 Depth=4
	v_or_b32_e32 v37, 0x7f, v8
; %bb.2657:                             ;   in Loop: Header=BB6_2345 Depth=4
	s_or_b32 exec_lo, exec_lo, s13
	v_dual_lshrrev_b32 v0, 16, v14 :: v_dual_mov_b32 v8, 0
	s_mov_b32 s14, exec_lo
	s_delay_alu instid0(VALU_DEP_1) | instskip(NEXT) | instid1(VALU_DEP_1)
	v_and_b32_e32 v2, 0xff, v0
	v_cmpx_ne_u16_e32 0, v2
	s_cbranch_execz .LBB6_2665
; %bb.2658:                             ;   in Loop: Header=BB6_2345 Depth=4
	v_bfrev_b32_e32 v8, 1
	s_mov_b32 s15, exec_lo
	v_cmpx_ne_u16_e32 0x80, v2
	s_cbranch_execz .LBB6_2664
; %bb.2659:                             ;   in Loop: Header=BB6_2345 Depth=4
	v_bfe_u32 v9, v14, 16, 7
	v_mov_b32_e32 v8, 0x7f800001
	s_mov_b32 s76, exec_lo
	s_delay_alu instid0(VALU_DEP_2)
	v_cmpx_ne_u32_e32 0x7f, v9
	s_cbranch_execz .LBB6_2663
; %bb.2660:                             ;   in Loop: Header=BB6_2345 Depth=4
	v_dual_lshrrev_b32 v8, 3, v9 :: v_dual_bitop2_b32 v2, 7, v0 bitop3:0x40
	s_mov_b32 s77, exec_lo
	v_cmpx_gt_u32_e32 8, v9
; %bb.2661:                             ;   in Loop: Header=BB6_2345 Depth=4
	s_delay_alu instid0(VALU_DEP_2) | instskip(NEXT) | instid1(VALU_DEP_1)
	v_clz_i32_u32_e32 v8, v2
	v_min_u32_e32 v8, 32, v8
	s_delay_alu instid0(VALU_DEP_1) | instskip(SKIP_1) | instid1(VALU_DEP_2)
	v_subrev_nc_u32_e32 v9, 28, v8
	v_sub_nc_u32_e32 v8, 29, v8
	v_lshlrev_b64_e32 v[12:13], v9, v[2:3]
	s_delay_alu instid0(VALU_DEP_1)
	v_and_b32_e32 v2, 7, v12
; %bb.2662:                             ;   in Loop: Header=BB6_2345 Depth=4
	s_or_b32 exec_lo, exec_lo, s77
	s_delay_alu instid0(VALU_DEP_1) | instskip(SKIP_1) | instid1(VALU_DEP_2)
	v_dual_lshlrev_b32 v0, 24, v0 :: v_dual_lshlrev_b32 v2, 20, v2
	v_lshl_add_u32 v8, v8, 23, 0x3c000000
	v_and_b32_e32 v0, 0x80000000, v0
	s_delay_alu instid0(VALU_DEP_1)
	v_or3_b32 v8, v2, v0, v8
.LBB6_2663:                             ;   in Loop: Header=BB6_2345 Depth=4
	s_or_b32 exec_lo, exec_lo, s76
.LBB6_2664:                             ;   in Loop: Header=BB6_2345 Depth=4
	s_delay_alu instid0(SALU_CYCLE_1)
	s_or_b32 exec_lo, exec_lo, s15
.LBB6_2665:                             ;   in Loop: Header=BB6_2345 Depth=4
	s_delay_alu instid0(SALU_CYCLE_1) | instskip(SKIP_3) | instid1(VALU_DEP_1)
	s_or_b32 exec_lo, exec_lo, s14
	v_lshrrev_b32_e32 v2, 16, v10
	s_mov_b32 s15, 0
	s_mov_b32 s14, exec_lo
	v_and_b32_e32 v9, 0xff, v2
	s_delay_alu instid0(VALU_DEP_1)
	v_cmpx_lt_i16_e32 0x7f, v9
	s_xor_b32 s14, exec_lo, s14
	s_cbranch_execz .LBB6_2670
; %bb.2666:                             ;   in Loop: Header=BB6_2345 Depth=4
	s_mov_b32 s15, -1
	s_mov_b32 s76, exec_lo
	v_cmpx_eq_u16_e32 0x80, v9
; %bb.2667:                             ;   in Loop: Header=BB6_2345 Depth=4
	s_xor_b32 s15, exec_lo, -1
; %bb.2668:                             ;   in Loop: Header=BB6_2345 Depth=4
	s_or_b32 exec_lo, exec_lo, s76
	s_delay_alu instid0(SALU_CYCLE_1)
	s_and_b32 s15, s15, exec_lo
                                        ; implicit-def: $vgpr9
	s_or_saveexec_b32 s14, s14
	v_bfrev_b32_e32 v0, 1
	s_xor_b32 exec_lo, exec_lo, s14
	s_cbranch_execnz .LBB6_2671
.LBB6_2669:                             ;   in Loop: Header=BB6_2345 Depth=4
	s_or_b32 exec_lo, exec_lo, s14
	s_and_saveexec_b32 s14, s15
	s_cbranch_execnz .LBB6_2672
	s_branch .LBB6_2675
.LBB6_2670:                             ;   in Loop: Header=BB6_2345 Depth=4
	s_or_saveexec_b32 s14, s14
	v_bfrev_b32_e32 v0, 1
	s_xor_b32 exec_lo, exec_lo, s14
	s_cbranch_execz .LBB6_2669
.LBB6_2671:                             ;   in Loop: Header=BB6_2345 Depth=4
	v_cmp_ne_u16_e64 s13, 0, v9
	v_mov_b32_e32 v0, 0
	s_and_not1_b32 s15, s15, exec_lo
	s_and_b32 s13, s13, exec_lo
	s_delay_alu instid0(SALU_CYCLE_1)
	s_or_b32 s15, s15, s13
	s_or_b32 exec_lo, exec_lo, s14
	s_and_saveexec_b32 s14, s15
	s_cbranch_execz .LBB6_2675
.LBB6_2672:                             ;   in Loop: Header=BB6_2345 Depth=4
	v_and_b32_e32 v9, 0x7f, v2
	v_mov_b32_e32 v0, 0x7f800001
	s_mov_b32 s15, exec_lo
	s_delay_alu instid0(VALU_DEP_2)
	v_cmpx_ne_u32_e32 0x7f, v9
	s_cbranch_execz .LBB6_2674
; %bb.2673:                             ;   in Loop: Header=BB6_2345 Depth=4
	v_and_b32_e32 v0, 7, v2
	v_cmp_gt_u32_e64 s13, 8, v9
	s_delay_alu instid0(VALU_DEP_2) | instskip(NEXT) | instid1(VALU_DEP_1)
	v_clz_i32_u32_e32 v12, v0
	v_min_u32_e32 v22, 32, v12
	s_delay_alu instid0(VALU_DEP_1) | instskip(NEXT) | instid1(VALU_DEP_1)
	v_subrev_nc_u32_e32 v12, 28, v22
	v_lshlrev_b64_e32 v[12:13], v12, v[2:3]
	v_dual_lshrrev_b32 v13, 3, v9 :: v_dual_sub_nc_u32 v22, 29, v22
	s_delay_alu instid0(VALU_DEP_2) | instskip(NEXT) | instid1(VALU_DEP_1)
	v_dual_lshlrev_b32 v2, 24, v2 :: v_dual_bitop2_b32 v9, 7, v12 bitop3:0x40
	v_dual_cndmask_b32 v0, v0, v9, s13 :: v_dual_cndmask_b32 v12, v13, v22, s13
	s_delay_alu instid0(VALU_DEP_2) | instskip(NEXT) | instid1(VALU_DEP_2)
	v_and_b32_e32 v2, 0x80000000, v2
	v_lshlrev_b32_e32 v0, 20, v0
	s_delay_alu instid0(VALU_DEP_3) | instskip(NEXT) | instid1(VALU_DEP_1)
	v_lshl_add_u32 v9, v12, 23, 0x3c000000
	v_or3_b32 v0, v0, v2, v9
.LBB6_2674:                             ;   in Loop: Header=BB6_2345 Depth=4
	s_or_b32 exec_lo, exec_lo, s15
.LBB6_2675:                             ;   in Loop: Header=BB6_2345 Depth=4
	s_delay_alu instid0(SALU_CYCLE_1) | instskip(NEXT) | instid1(VALU_DEP_1)
	s_or_b32 exec_lo, exec_lo, s14
	v_add_f32_e32 v0, v8, v0
                                        ; implicit-def: $vgpr38
	s_mov_b32 s14, exec_lo
	s_delay_alu instid0(VALU_DEP_1) | instskip(SKIP_1) | instid1(VALU_DEP_2)
	v_and_b32_e32 v2, 0x7f800000, v0
	v_lshrrev_b32_e32 v8, 24, v0
	v_cmpx_ne_u64_e32 0x7f800000, v[2:3]
	s_xor_b32 s15, exec_lo, s14
	s_cbranch_execz .LBB6_2689
; %bb.2676:                             ;   in Loop: Header=BB6_2345 Depth=4
	v_and_b32_e32 v2, 0x7fffffff, v0
	v_and_b32_e32 v22, 0x80, v8
                                        ; implicit-def: $vgpr38
	s_mov_b32 s14, exec_lo
	s_delay_alu instid0(VALU_DEP_2)
	v_cmpx_gt_u64_e32 0x43e00001, v[2:3]
	s_xor_b32 s76, exec_lo, s14
	s_cbranch_execz .LBB6_2686
; %bb.2677:                             ;   in Loop: Header=BB6_2345 Depth=4
	v_mov_b32_e32 v38, 0
	s_mov_b32 s77, exec_lo
	v_cmpx_ne_u32_e32 0, v0
	s_cbranch_execz .LBB6_2685
; %bb.2678:                             ;   in Loop: Header=BB6_2345 Depth=4
	v_bfe_u32 v23, v0, 23, 8
	v_and_b32_e32 v0, 0x7fffff, v0
	s_delay_alu instid0(VALU_DEP_2) | instskip(SKIP_1) | instid1(VALU_DEP_3)
	v_sub_nc_u32_e32 v2, 0x79, v23
	v_cmp_gt_u32_e64 s13, 0x7a, v23
	v_or_b32_e32 v12, 0x800000, v0
	s_delay_alu instid0(VALU_DEP_2) | instskip(SKIP_1) | instid1(VALU_DEP_1)
	v_cndmask_b32_e64 v2, 0, v2, s13
	v_cmp_eq_u32_e64 s13, 0, v23
	v_cndmask_b32_e64 v38, v2, 0x78, s13
	s_delay_alu instid0(VALU_DEP_1) | instskip(NEXT) | instid1(VALU_DEP_1)
	v_dual_add_nc_u32 v2, 20, v38 :: v_dual_add_nc_u32 v13, 19, v38
	v_lshlrev_b64_e64 v[8:9], v2, -1
	v_cndmask_b32_e64 v2, v12, v0, s13
	s_delay_alu instid0(VALU_DEP_3) | instskip(NEXT) | instid1(VALU_DEP_3)
	v_lshlrev_b64_e64 v[12:13], v13, 1
	v_bfi_b32 v49, v9, 0, 0
	s_delay_alu instid0(VALU_DEP_3) | instskip(SKIP_1) | instid1(VALU_DEP_2)
	v_bfi_b32 v48, v8, 0, v2
	v_lshrrev_b64 v[8:9], v38, v[2:3]
	v_cmp_eq_u64_e64 s14, v[48:49], v[12:13]
	s_delay_alu instid0(VALU_DEP_2)
	v_mov_b64_e32 v[12:13], v[8:9]
	s_and_saveexec_b32 s78, s14
; %bb.2679:                             ;   in Loop: Header=BB6_2345 Depth=4
	v_bfe_u32 v2, v8, 20, 1
	s_delay_alu instid0(VALU_DEP_1) | instskip(NEXT) | instid1(VALU_DEP_1)
	v_add_nc_u64_e32 v[12:13], v[8:9], v[2:3]
	v_add_nc_u64_e32 v[12:13], -1, v[12:13]
; %bb.2680:                             ;   in Loop: Header=BB6_2345 Depth=4
	s_or_b32 exec_lo, exec_lo, s78
	v_add_nc_u32_e32 v0, 0xffffff81, v23
	v_lshrrev_b32_e32 v2, 23, v8
	s_mov_b32 s14, exec_lo
	s_delay_alu instid0(VALU_DEP_2) | instskip(NEXT) | instid1(VALU_DEP_1)
	v_cndmask_b32_e64 v0, v0, 0xffffff82, s13
	v_add3_u32 v13, v38, v0, v2
	v_and_b32_e32 v0, 0xfffff, v12
	s_delay_alu instid0(VALU_DEP_1) | instskip(NEXT) | instid1(VALU_DEP_1)
	v_dual_add_nc_u32 v12, 6, v13 :: v_dual_add_nc_u32 v2, v0, v8
                                        ; implicit-def: $vgpr8_vgpr9
                                        ; implicit-def: $vgpr0
	v_cmpx_ne_u32_e32 0, v12
	s_xor_b32 s14, exec_lo, s14
; %bb.2681:                             ;   in Loop: Header=BB6_2345 Depth=4
	s_delay_alu instid0(VALU_DEP_2) | instskip(SKIP_1) | instid1(VALU_DEP_2)
	v_cmp_lt_u64_e64 s13, 0xffffff, v[2:3]
	v_add_nc_u32_e32 v0, 7, v13
	v_cndmask_b32_e64 v8, 0, 1, s13
	s_delay_alu instid0(VALU_DEP_2) | instskip(NEXT) | instid1(VALU_DEP_2)
	v_cndmask_b32_e64 v0, v12, v0, s13
	v_lshrrev_b64 v[8:9], v8, v[2:3]
; %bb.2682:                             ;   in Loop: Header=BB6_2345 Depth=4
	s_and_not1_saveexec_b32 s13, s14
; %bb.2683:                             ;   in Loop: Header=BB6_2345 Depth=4
	v_mov_b64_e32 v[8:9], v[2:3]
	v_bfe_u32 v0, v2, 23, 1
; %bb.2684:                             ;   in Loop: Header=BB6_2345 Depth=4
	s_or_b32 exec_lo, exec_lo, s13
	s_delay_alu instid0(VALU_DEP_2) | instskip(NEXT) | instid1(VALU_DEP_2)
	v_lshrrev_b64 v[8:9], 20, v[8:9]
	v_cmp_gt_i32_e64 s13, 16, v0
	v_min_i32_e32 v2, 15, v0
	v_cmp_eq_u32_e64 s14, 0, v0
	s_delay_alu instid0(VALU_DEP_2) | instskip(SKIP_1) | instid1(VALU_DEP_2)
	v_dual_cndmask_b32 v9, 0, v9, s13 :: v_dual_lshlrev_b32 v2, 3, v2
	v_cndmask_b32_e64 v8, 7, v8, s13
	v_and_b32_e32 v2, 0xf8, v2
	s_delay_alu instid0(VALU_DEP_2) | instskip(NEXT) | instid1(VALU_DEP_2)
	v_cmp_eq_u64_e64 s13, 0, v[8:9]
	v_and_or_b32 v0, v8, 7, v2
	s_and_b32 s13, s14, s13
	s_delay_alu instid0(VALU_DEP_1) | instid1(SALU_CYCLE_1)
	v_cndmask_b32_e64 v0, v0, 0, s13
	s_delay_alu instid0(VALU_DEP_1)
	v_or_b32_e32 v38, v0, v22
.LBB6_2685:                             ;   in Loop: Header=BB6_2345 Depth=4
	s_or_b32 exec_lo, exec_lo, s77
                                        ; implicit-def: $vgpr22
.LBB6_2686:                             ;   in Loop: Header=BB6_2345 Depth=4
	s_and_not1_saveexec_b32 s13, s76
; %bb.2687:                             ;   in Loop: Header=BB6_2345 Depth=4
	v_or_b32_e32 v38, 0x7e, v22
; %bb.2688:                             ;   in Loop: Header=BB6_2345 Depth=4
	s_or_b32 exec_lo, exec_lo, s13
                                        ; implicit-def: $vgpr8
.LBB6_2689:                             ;   in Loop: Header=BB6_2345 Depth=4
	s_and_not1_saveexec_b32 s13, s15
; %bb.2690:                             ;   in Loop: Header=BB6_2345 Depth=4
	v_or_b32_e32 v38, 0x7f, v8
; %bb.2691:                             ;   in Loop: Header=BB6_2345 Depth=4
	s_or_b32 exec_lo, exec_lo, s13
	v_mov_b32_e32 v0, 0
	s_mov_b32 s14, exec_lo
	v_cmpx_lt_u32_e32 0xffffff, v14
	s_cbranch_execz .LBB6_2699
; %bb.2692:                             ;   in Loop: Header=BB6_2345 Depth=4
	v_lshrrev_b32_e32 v8, 24, v14
	v_bfrev_b32_e32 v0, 1
	s_mov_b32 s15, exec_lo
	s_delay_alu instid0(VALU_DEP_2)
	v_cmpx_ne_u32_e32 0x80, v8
	s_cbranch_execz .LBB6_2698
; %bb.2693:                             ;   in Loop: Header=BB6_2345 Depth=4
	v_bfe_u32 v9, v14, 24, 7
	v_mov_b32_e32 v0, 0x7f800001
	s_mov_b32 s76, exec_lo
	s_delay_alu instid0(VALU_DEP_2)
	v_cmpx_ne_u32_e32 0x7f, v9
	s_cbranch_execz .LBB6_2697
; %bb.2694:                             ;   in Loop: Header=BB6_2345 Depth=4
	v_dual_lshrrev_b32 v0, 3, v9 :: v_dual_bitop2_b32 v2, 7, v8 bitop3:0x40
	s_mov_b32 s77, exec_lo
	v_cmpx_gt_u32_e32 8, v9
; %bb.2695:                             ;   in Loop: Header=BB6_2345 Depth=4
	s_delay_alu instid0(VALU_DEP_2) | instskip(NEXT) | instid1(VALU_DEP_1)
	v_clz_i32_u32_e32 v0, v2
	v_min_u32_e32 v0, 32, v0
	s_delay_alu instid0(VALU_DEP_1) | instskip(SKIP_1) | instid1(VALU_DEP_2)
	v_subrev_nc_u32_e32 v9, 28, v0
	v_sub_nc_u32_e32 v0, 29, v0
	v_lshlrev_b64_e32 v[12:13], v9, v[2:3]
	s_delay_alu instid0(VALU_DEP_1)
	v_and_b32_e32 v2, 7, v12
; %bb.2696:                             ;   in Loop: Header=BB6_2345 Depth=4
	s_or_b32 exec_lo, exec_lo, s77
	s_delay_alu instid0(VALU_DEP_1) | instskip(SKIP_1) | instid1(VALU_DEP_2)
	v_dual_lshlrev_b32 v8, 24, v8 :: v_dual_lshlrev_b32 v2, 20, v2
	v_lshl_add_u32 v0, v0, 23, 0x3c000000
	v_and_b32_e32 v8, 0x80000000, v8
	s_delay_alu instid0(VALU_DEP_1)
	v_or3_b32 v0, v2, v8, v0
.LBB6_2697:                             ;   in Loop: Header=BB6_2345 Depth=4
	s_or_b32 exec_lo, exec_lo, s76
.LBB6_2698:                             ;   in Loop: Header=BB6_2345 Depth=4
	s_delay_alu instid0(SALU_CYCLE_1)
	s_or_b32 exec_lo, exec_lo, s15
.LBB6_2699:                             ;   in Loop: Header=BB6_2345 Depth=4
	s_delay_alu instid0(SALU_CYCLE_1) | instskip(SKIP_3) | instid1(VALU_DEP_3)
	s_or_b32 exec_lo, exec_lo, s14
	v_lshrrev_b32_e32 v2, 24, v10
	v_bfe_u32 v8, v10, 24, 7
	v_cmp_gt_u32_e64 s15, 0x1000000, v10
	v_cmp_eq_u32_e64 s13, 0x80, v2
	s_delay_alu instid0(VALU_DEP_3) | instskip(NEXT) | instid1(VALU_DEP_2)
	v_cmp_eq_u32_e64 s14, 0x7f, v8
	v_cndmask_b32_e64 v9, 0x7f800001, v125, s13
	s_or_b32 s13, s13, s14
	s_delay_alu instid0(SALU_CYCLE_1) | instskip(NEXT) | instid1(VALU_DEP_1)
	s_nor_b32 s13, s15, s13
	v_cndmask_b32_e64 v9, v9, 0, s15
	s_and_saveexec_b32 s14, s13
	s_cbranch_execz .LBB6_2701
; %bb.2700:                             ;   in Loop: Header=BB6_2345 Depth=4
	v_and_b32_e32 v9, 7, v2
	v_cmp_gt_u32_e64 s13, 8, v8
	s_delay_alu instid0(VALU_DEP_2) | instskip(NEXT) | instid1(VALU_DEP_1)
	v_clz_i32_u32_e32 v12, v9
	v_min_u32_e32 v22, 32, v12
	s_delay_alu instid0(VALU_DEP_1) | instskip(NEXT) | instid1(VALU_DEP_1)
	v_subrev_nc_u32_e32 v12, 28, v22
	v_lshlrev_b64_e32 v[12:13], v12, v[2:3]
	v_dual_lshrrev_b32 v13, 3, v8 :: v_dual_sub_nc_u32 v22, 29, v22
	s_delay_alu instid0(VALU_DEP_2) | instskip(NEXT) | instid1(VALU_DEP_1)
	v_dual_lshlrev_b32 v2, 24, v2 :: v_dual_bitop2_b32 v8, 7, v12 bitop3:0x40
	v_cndmask_b32_e64 v8, v9, v8, s13
	s_delay_alu instid0(VALU_DEP_3) | instskip(NEXT) | instid1(VALU_DEP_3)
	v_cndmask_b32_e64 v12, v13, v22, s13
	v_and_b32_e32 v2, 0x80000000, v2
	s_delay_alu instid0(VALU_DEP_3) | instskip(NEXT) | instid1(VALU_DEP_3)
	v_lshlrev_b32_e32 v8, 20, v8
	v_lshl_add_u32 v9, v12, 23, 0x3c000000
	s_delay_alu instid0(VALU_DEP_1)
	v_or3_b32 v9, v8, v2, v9
.LBB6_2701:                             ;   in Loop: Header=BB6_2345 Depth=4
	s_or_b32 exec_lo, exec_lo, s14
	s_delay_alu instid0(VALU_DEP_1) | instskip(SKIP_1) | instid1(VALU_DEP_1)
	v_add_f32_e32 v0, v0, v9
                                        ; implicit-def: $vgpr39
	s_mov_b32 s14, exec_lo
	v_and_b32_e32 v2, 0x7f800000, v0
	v_lshrrev_b32_e32 v8, 24, v0
	s_delay_alu instid0(VALU_DEP_2)
	v_cmpx_ne_u64_e32 0x7f800000, v[2:3]
	s_xor_b32 s15, exec_lo, s14
	s_cbranch_execz .LBB6_2715
; %bb.2702:                             ;   in Loop: Header=BB6_2345 Depth=4
	v_and_b32_e32 v2, 0x7fffffff, v0
	v_and_b32_e32 v22, 0x80, v8
                                        ; implicit-def: $vgpr39
	s_mov_b32 s14, exec_lo
	s_delay_alu instid0(VALU_DEP_2)
	v_cmpx_gt_u64_e32 0x43e00001, v[2:3]
	s_xor_b32 s76, exec_lo, s14
	s_cbranch_execz .LBB6_2712
; %bb.2703:                             ;   in Loop: Header=BB6_2345 Depth=4
	v_mov_b32_e32 v39, 0
	s_mov_b32 s77, exec_lo
	v_cmpx_ne_u32_e32 0, v0
	s_cbranch_execz .LBB6_2711
; %bb.2704:                             ;   in Loop: Header=BB6_2345 Depth=4
	v_bfe_u32 v23, v0, 23, 8
	v_and_b32_e32 v0, 0x7fffff, v0
	s_delay_alu instid0(VALU_DEP_2) | instskip(SKIP_1) | instid1(VALU_DEP_3)
	v_sub_nc_u32_e32 v2, 0x79, v23
	v_cmp_gt_u32_e64 s13, 0x7a, v23
	v_or_b32_e32 v12, 0x800000, v0
	s_delay_alu instid0(VALU_DEP_2) | instskip(SKIP_1) | instid1(VALU_DEP_1)
	v_cndmask_b32_e64 v2, 0, v2, s13
	v_cmp_eq_u32_e64 s13, 0, v23
	v_cndmask_b32_e64 v39, v2, 0x78, s13
	s_delay_alu instid0(VALU_DEP_1) | instskip(NEXT) | instid1(VALU_DEP_1)
	v_dual_add_nc_u32 v2, 20, v39 :: v_dual_add_nc_u32 v13, 19, v39
	v_lshlrev_b64_e64 v[8:9], v2, -1
	v_cndmask_b32_e64 v2, v12, v0, s13
	s_delay_alu instid0(VALU_DEP_3) | instskip(NEXT) | instid1(VALU_DEP_3)
	v_lshlrev_b64_e64 v[12:13], v13, 1
	v_bfi_b32 v49, v9, 0, 0
	s_delay_alu instid0(VALU_DEP_3) | instskip(SKIP_1) | instid1(VALU_DEP_2)
	v_bfi_b32 v48, v8, 0, v2
	v_lshrrev_b64 v[8:9], v39, v[2:3]
	v_cmp_eq_u64_e64 s14, v[48:49], v[12:13]
	s_delay_alu instid0(VALU_DEP_2)
	v_mov_b64_e32 v[12:13], v[8:9]
	s_and_saveexec_b32 s78, s14
; %bb.2705:                             ;   in Loop: Header=BB6_2345 Depth=4
	v_bfe_u32 v2, v8, 20, 1
	s_delay_alu instid0(VALU_DEP_1) | instskip(NEXT) | instid1(VALU_DEP_1)
	v_add_nc_u64_e32 v[12:13], v[8:9], v[2:3]
	v_add_nc_u64_e32 v[12:13], -1, v[12:13]
; %bb.2706:                             ;   in Loop: Header=BB6_2345 Depth=4
	s_or_b32 exec_lo, exec_lo, s78
	v_add_nc_u32_e32 v0, 0xffffff81, v23
	v_lshrrev_b32_e32 v2, 23, v8
	s_mov_b32 s14, exec_lo
	s_delay_alu instid0(VALU_DEP_2) | instskip(NEXT) | instid1(VALU_DEP_1)
	v_cndmask_b32_e64 v0, v0, 0xffffff82, s13
	v_add3_u32 v13, v39, v0, v2
	v_and_b32_e32 v0, 0xfffff, v12
	s_delay_alu instid0(VALU_DEP_1) | instskip(NEXT) | instid1(VALU_DEP_1)
	v_dual_add_nc_u32 v12, 6, v13 :: v_dual_add_nc_u32 v2, v0, v8
                                        ; implicit-def: $vgpr8_vgpr9
                                        ; implicit-def: $vgpr0
	v_cmpx_ne_u32_e32 0, v12
	s_xor_b32 s14, exec_lo, s14
; %bb.2707:                             ;   in Loop: Header=BB6_2345 Depth=4
	s_delay_alu instid0(VALU_DEP_2) | instskip(SKIP_1) | instid1(VALU_DEP_2)
	v_cmp_lt_u64_e64 s13, 0xffffff, v[2:3]
	v_add_nc_u32_e32 v0, 7, v13
	v_cndmask_b32_e64 v8, 0, 1, s13
	s_delay_alu instid0(VALU_DEP_2) | instskip(NEXT) | instid1(VALU_DEP_2)
	v_cndmask_b32_e64 v0, v12, v0, s13
	v_lshrrev_b64 v[8:9], v8, v[2:3]
; %bb.2708:                             ;   in Loop: Header=BB6_2345 Depth=4
	s_and_not1_saveexec_b32 s13, s14
; %bb.2709:                             ;   in Loop: Header=BB6_2345 Depth=4
	v_mov_b64_e32 v[8:9], v[2:3]
	v_bfe_u32 v0, v2, 23, 1
; %bb.2710:                             ;   in Loop: Header=BB6_2345 Depth=4
	s_or_b32 exec_lo, exec_lo, s13
	s_delay_alu instid0(VALU_DEP_2) | instskip(NEXT) | instid1(VALU_DEP_2)
	v_lshrrev_b64 v[8:9], 20, v[8:9]
	v_cmp_gt_i32_e64 s13, 16, v0
	v_min_i32_e32 v2, 15, v0
	v_cmp_eq_u32_e64 s14, 0, v0
	s_delay_alu instid0(VALU_DEP_2) | instskip(SKIP_1) | instid1(VALU_DEP_2)
	v_dual_cndmask_b32 v9, 0, v9, s13 :: v_dual_lshlrev_b32 v2, 3, v2
	v_cndmask_b32_e64 v8, 7, v8, s13
	v_and_b32_e32 v2, 0xf8, v2
	s_delay_alu instid0(VALU_DEP_2) | instskip(NEXT) | instid1(VALU_DEP_2)
	v_cmp_eq_u64_e64 s13, 0, v[8:9]
	v_and_or_b32 v0, v8, 7, v2
	s_and_b32 s13, s14, s13
	s_delay_alu instid0(VALU_DEP_1) | instid1(SALU_CYCLE_1)
	v_cndmask_b32_e64 v0, v0, 0, s13
	s_delay_alu instid0(VALU_DEP_1)
	v_or_b32_e32 v39, v0, v22
.LBB6_2711:                             ;   in Loop: Header=BB6_2345 Depth=4
	s_or_b32 exec_lo, exec_lo, s77
                                        ; implicit-def: $vgpr22
.LBB6_2712:                             ;   in Loop: Header=BB6_2345 Depth=4
	s_and_not1_saveexec_b32 s13, s76
; %bb.2713:                             ;   in Loop: Header=BB6_2345 Depth=4
	v_or_b32_e32 v39, 0x7e, v22
; %bb.2714:                             ;   in Loop: Header=BB6_2345 Depth=4
	s_or_b32 exec_lo, exec_lo, s13
                                        ; implicit-def: $vgpr8
.LBB6_2715:                             ;   in Loop: Header=BB6_2345 Depth=4
	s_and_not1_saveexec_b32 s13, s15
; %bb.2716:                             ;   in Loop: Header=BB6_2345 Depth=4
	v_or_b32_e32 v39, 0x7f, v8
; %bb.2717:                             ;   in Loop: Header=BB6_2345 Depth=4
	s_or_b32 exec_lo, exec_lo, s13
	v_and_b32_e32 v0, 0xff, v15
	v_dual_mov_b32 v2, v15 :: v_dual_mov_b32 v12, 0
	s_mov_b32 s14, exec_lo
	s_delay_alu instid0(VALU_DEP_2)
	v_cmpx_ne_u16_e32 0, v0
	s_cbranch_execz .LBB6_2723
; %bb.2718:                             ;   in Loop: Header=BB6_2345 Depth=4
	v_bfrev_b32_e32 v12, 1
	s_mov_b32 s15, exec_lo
	v_cmpx_ne_u16_e32 0x80, v0
	s_cbranch_execz .LBB6_2722
; %bb.2719:                             ;   in Loop: Header=BB6_2345 Depth=4
	v_and_b32_e32 v0, 0x7f, v15
	v_mov_b32_e32 v12, 0x7f800001
	s_mov_b32 s76, exec_lo
	s_delay_alu instid0(VALU_DEP_2)
	v_cmpx_ne_u32_e32 0x7f, v0
	s_cbranch_execz .LBB6_2721
; %bb.2720:                             ;   in Loop: Header=BB6_2345 Depth=4
	v_dual_lshrrev_b32 v9, 3, v0 :: v_dual_bitop2_b32 v8, 7, v15 bitop3:0x40
	v_cmp_gt_u32_e64 s13, 8, v0
	s_delay_alu instid0(VALU_DEP_2) | instskip(NEXT) | instid1(VALU_DEP_1)
	v_clz_i32_u32_e32 v8, v8
	v_min_u32_e32 v8, 32, v8
	s_delay_alu instid0(VALU_DEP_1) | instskip(SKIP_1) | instid1(VALU_DEP_1)
	v_subrev_nc_u32_e32 v12, 28, v8
	v_sub_nc_u32_e32 v8, 29, v8
	v_cndmask_b32_e64 v0, v9, v8, s13
	s_delay_alu instid0(VALU_DEP_3) | instskip(NEXT) | instid1(VALU_DEP_1)
	v_cndmask_b32_e64 v8, 0, v12, s13
	v_lshlrev_b64_e32 v[8:9], v8, v[2:3]
	v_lshlrev_b32_e32 v9, 24, v2
	s_delay_alu instid0(VALU_DEP_1) | instskip(NEXT) | instid1(VALU_DEP_3)
	v_and_b32_e32 v9, 0x80000000, v9
	v_lshlrev_b32_e32 v8, 20, v8
	v_lshl_add_u32 v0, v0, 23, 0x3c000000
	s_delay_alu instid0(VALU_DEP_2) | instskip(NEXT) | instid1(VALU_DEP_1)
	v_and_b32_e32 v8, 0x700000, v8
	v_or3_b32 v12, v8, v9, v0
.LBB6_2721:                             ;   in Loop: Header=BB6_2345 Depth=4
	s_or_b32 exec_lo, exec_lo, s76
.LBB6_2722:                             ;   in Loop: Header=BB6_2345 Depth=4
	s_delay_alu instid0(SALU_CYCLE_1)
	s_or_b32 exec_lo, exec_lo, s15
.LBB6_2723:                             ;   in Loop: Header=BB6_2345 Depth=4
	s_delay_alu instid0(SALU_CYCLE_1) | instskip(SKIP_4) | instid1(VALU_DEP_2)
	s_or_b32 exec_lo, exec_lo, s14
	v_and_b32_e32 v9, 0xff, v11
	v_mov_b32_e32 v8, v11
	s_mov_b32 s14, 0
	s_mov_b32 s15, exec_lo
	v_cmpx_lt_i16_e32 0x7f, v9
	s_xor_b32 s15, exec_lo, s15
	s_cbranch_execz .LBB6_2758
; %bb.2724:                             ;   in Loop: Header=BB6_2345 Depth=4
	s_mov_b32 s14, -1
	s_mov_b32 s76, exec_lo
	v_cmpx_eq_u16_e32 0x80, v9
; %bb.2725:                             ;   in Loop: Header=BB6_2345 Depth=4
	s_xor_b32 s14, exec_lo, -1
; %bb.2726:                             ;   in Loop: Header=BB6_2345 Depth=4
	s_or_b32 exec_lo, exec_lo, s76
	s_delay_alu instid0(SALU_CYCLE_1)
	s_and_b32 s14, s14, exec_lo
                                        ; implicit-def: $vgpr9
	s_or_saveexec_b32 s15, s15
	v_bfrev_b32_e32 v0, 1
	s_xor_b32 exec_lo, exec_lo, s15
	s_cbranch_execnz .LBB6_2759
.LBB6_2727:                             ;   in Loop: Header=BB6_2345 Depth=4
	s_or_b32 exec_lo, exec_lo, s15
	v_mov_b32_e32 v9, v3
	s_and_saveexec_b32 s15, s14
	s_cbranch_execz .LBB6_2729
.LBB6_2728:                             ;   in Loop: Header=BB6_2345 Depth=4
	v_and_b32_e32 v0, 7, v11
	v_and_b32_e32 v13, 0x7f, v11
	v_bfe_u32 v22, v11, 3, 4
	s_delay_alu instid0(VALU_DEP_3) | instskip(NEXT) | instid1(VALU_DEP_3)
	v_clz_i32_u32_e32 v0, v0
	v_cmp_gt_u32_e64 s13, 8, v13
	s_delay_alu instid0(VALU_DEP_2) | instskip(NEXT) | instid1(VALU_DEP_1)
	v_min_u32_e32 v0, 32, v0
	v_subrev_nc_u32_e32 v23, 28, v0
	v_sub_nc_u32_e32 v0, 29, v0
	s_delay_alu instid0(VALU_DEP_1) | instskip(SKIP_1) | instid1(VALU_DEP_2)
	v_dual_cndmask_b32 v0, v22, v0, s13 :: v_dual_cndmask_b32 v22, 0, v23, s13
	v_cmp_ne_u32_e64 s13, 0x7f, v13
	v_lshlrev_b64_e32 v[22:23], v22, v[8:9]
	v_lshlrev_b32_e32 v9, 24, v8
	s_delay_alu instid0(VALU_DEP_1) | instskip(NEXT) | instid1(VALU_DEP_3)
	v_and_b32_e32 v9, 0x80000000, v9
	v_lshlrev_b32_e32 v22, 20, v22
	v_lshl_add_u32 v0, v0, 23, 0x3c000000
	s_delay_alu instid0(VALU_DEP_2) | instskip(NEXT) | instid1(VALU_DEP_1)
	v_and_b32_e32 v22, 0x700000, v22
	v_or3_b32 v0, v22, v9, v0
	s_delay_alu instid0(VALU_DEP_1)
	v_cndmask_b32_e64 v0, 0x7f800001, v0, s13
.LBB6_2729:                             ;   in Loop: Header=BB6_2345 Depth=4
	s_or_b32 exec_lo, exec_lo, s15
	s_delay_alu instid0(VALU_DEP_1) | instskip(SKIP_1) | instid1(VALU_DEP_1)
	v_dual_add_f32 v0, v12, v0 :: v_dual_mov_b32 v13, v3
                                        ; implicit-def: $vgpr22
	s_mov_b32 s14, exec_lo
	v_and_b32_e32 v12, 0x7f800000, v0
	v_lshrrev_b32_e32 v9, 24, v0
	s_delay_alu instid0(VALU_DEP_2)
	v_cmpx_ne_u64_e32 0x7f800000, v[12:13]
	s_xor_b32 s15, exec_lo, s14
	s_cbranch_execz .LBB6_2743
; %bb.2730:                             ;   in Loop: Header=BB6_2345 Depth=4
	v_and_b32_e32 v12, 0x7fffffff, v0
	v_mov_b32_e32 v13, v3
	v_and_b32_e32 v9, 0x80, v9
                                        ; implicit-def: $vgpr22
	s_mov_b32 s14, exec_lo
	s_delay_alu instid0(VALU_DEP_2)
	v_cmpx_gt_u64_e32 0x43e00001, v[12:13]
	s_xor_b32 s76, exec_lo, s14
	s_cbranch_execz .LBB6_2740
; %bb.2731:                             ;   in Loop: Header=BB6_2345 Depth=4
	v_mov_b32_e32 v22, 0
	s_mov_b32 s77, exec_lo
	v_cmpx_ne_u32_e32 0, v0
	s_cbranch_execz .LBB6_2739
; %bb.2732:                             ;   in Loop: Header=BB6_2345 Depth=4
	v_bfe_u32 v48, v0, 23, 8
	v_and_b32_e32 v0, 0x7fffff, v0
	s_mov_b32 s78, exec_lo
	s_delay_alu instid0(VALU_DEP_2) | instskip(SKIP_1) | instid1(VALU_DEP_3)
	v_dual_mov_b32 v23, v3 :: v_dual_sub_nc_u32 v12, 0x79, v48
	v_cmp_gt_u32_e64 s13, 0x7a, v48
	v_or_b32_e32 v22, 0x800000, v0
	s_delay_alu instid0(VALU_DEP_2) | instskip(SKIP_1) | instid1(VALU_DEP_1)
	v_cndmask_b32_e64 v12, 0, v12, s13
	v_cmp_eq_u32_e64 s13, 0, v48
	v_cndmask_b32_e64 v49, v12, 0x78, s13
	s_delay_alu instid0(VALU_DEP_1) | instskip(SKIP_1) | instid1(VALU_DEP_2)
	v_dual_cndmask_b32 v22, v22, v0, s13 :: v_dual_add_nc_u32 v12, 20, v49
	v_add_nc_u32_e32 v50, 19, v49
	v_lshlrev_b64_e64 v[12:13], v12, -1
	s_delay_alu instid0(VALU_DEP_2) | instskip(NEXT) | instid1(VALU_DEP_2)
	v_lshlrev_b64_e64 v[50:51], v50, 1
	v_bfi_b32 v53, v13, 0, 0
	s_delay_alu instid0(VALU_DEP_3) | instskip(SKIP_1) | instid1(VALU_DEP_1)
	v_bfi_b32 v52, v12, 0, v22
	v_lshrrev_b64 v[12:13], v49, v[22:23]
	v_mov_b64_e32 v[22:23], v[12:13]
	s_delay_alu instid0(VALU_DEP_3)
	v_cmpx_eq_u64_e64 v[52:53], v[50:51]
; %bb.2733:                             ;   in Loop: Header=BB6_2345 Depth=4
	v_bfe_u32 v22, v12, 20, 1
	v_mov_b32_e32 v23, v3
	s_delay_alu instid0(VALU_DEP_1) | instskip(NEXT) | instid1(VALU_DEP_1)
	v_add_nc_u64_e32 v[22:23], v[12:13], v[22:23]
	v_add_nc_u64_e32 v[22:23], -1, v[22:23]
; %bb.2734:                             ;   in Loop: Header=BB6_2345 Depth=4
	s_or_b32 exec_lo, exec_lo, s78
	v_add_nc_u32_e32 v0, 0xffffff81, v48
	v_lshrrev_b32_e32 v13, 23, v12
	s_mov_b32 s14, exec_lo
	s_delay_alu instid0(VALU_DEP_2) | instskip(NEXT) | instid1(VALU_DEP_1)
	v_cndmask_b32_e64 v0, v0, 0xffffff82, s13
	v_add3_u32 v23, v49, v0, v13
	v_and_b32_e32 v0, 0xfffff, v22
	s_delay_alu instid0(VALU_DEP_2) | instskip(NEXT) | instid1(VALU_DEP_2)
	v_dual_mov_b32 v13, v3 :: v_dual_add_nc_u32 v22, 6, v23
	v_add_nc_u32_e32 v12, v0, v12
                                        ; implicit-def: $vgpr0
	s_delay_alu instid0(VALU_DEP_2)
	v_cmpx_ne_u32_e32 0, v22
	s_xor_b32 s14, exec_lo, s14
; %bb.2735:                             ;   in Loop: Header=BB6_2345 Depth=4
	s_delay_alu instid0(VALU_DEP_2) | instskip(SKIP_1) | instid1(VALU_DEP_1)
	v_cmp_lt_u64_e64 s13, 0xffffff, v[12:13]
	v_add_nc_u32_e32 v0, 7, v23
	v_cndmask_b32_e64 v0, v22, v0, s13
	v_cndmask_b32_e64 v22, 0, 1, s13
	s_delay_alu instid0(VALU_DEP_1)
	v_lshrrev_b64 v[12:13], v22, v[12:13]
; %bb.2736:                             ;   in Loop: Header=BB6_2345 Depth=4
	s_and_not1_saveexec_b32 s13, s14
; %bb.2737:                             ;   in Loop: Header=BB6_2345 Depth=4
	s_delay_alu instid0(VALU_DEP_1)
	v_bfe_u32 v0, v12, 23, 1
; %bb.2738:                             ;   in Loop: Header=BB6_2345 Depth=4
	s_or_b32 exec_lo, exec_lo, s13
	s_delay_alu instid0(VALU_DEP_2) | instskip(NEXT) | instid1(VALU_DEP_2)
	v_lshrrev_b64 v[12:13], 20, v[12:13]
	v_cmp_gt_i32_e64 s13, 16, v0
	v_min_i32_e32 v22, 15, v0
	v_cmp_eq_u32_e64 s14, 0, v0
	s_delay_alu instid0(VALU_DEP_2) | instskip(SKIP_1) | instid1(VALU_DEP_2)
	v_dual_cndmask_b32 v13, 0, v13, s13 :: v_dual_lshlrev_b32 v22, 3, v22
	v_cndmask_b32_e64 v12, 7, v12, s13
	v_and_b32_e32 v22, 0xf8, v22
	s_delay_alu instid0(VALU_DEP_2) | instskip(NEXT) | instid1(VALU_DEP_2)
	v_cmp_eq_u64_e64 s13, 0, v[12:13]
	v_and_or_b32 v0, v12, 7, v22
	s_and_b32 s13, s14, s13
	s_delay_alu instid0(VALU_DEP_1) | instid1(SALU_CYCLE_1)
	v_cndmask_b32_e64 v0, v0, 0, s13
	s_delay_alu instid0(VALU_DEP_1)
	v_or_b32_e32 v22, v0, v9
.LBB6_2739:                             ;   in Loop: Header=BB6_2345 Depth=4
	s_or_b32 exec_lo, exec_lo, s77
                                        ; implicit-def: $vgpr9
.LBB6_2740:                             ;   in Loop: Header=BB6_2345 Depth=4
	s_and_not1_saveexec_b32 s13, s76
; %bb.2741:                             ;   in Loop: Header=BB6_2345 Depth=4
	v_or_b32_e32 v22, 0x7e, v9
; %bb.2742:                             ;   in Loop: Header=BB6_2345 Depth=4
	s_or_b32 exec_lo, exec_lo, s13
                                        ; implicit-def: $vgpr9
.LBB6_2743:                             ;   in Loop: Header=BB6_2345 Depth=4
	s_and_not1_saveexec_b32 s13, s15
; %bb.2744:                             ;   in Loop: Header=BB6_2345 Depth=4
	v_or_b32_e32 v22, 0x7f, v9
; %bb.2745:                             ;   in Loop: Header=BB6_2345 Depth=4
	s_or_b32 exec_lo, exec_lo, s13
	v_lshrrev_b16 v0, 8, v2
	v_mov_b32_e32 v9, 0
	s_mov_b32 s14, exec_lo
	s_delay_alu instid0(VALU_DEP_2)
	v_cmpx_ne_u16_e32 0, v0
	s_cbranch_execz .LBB6_2753
; %bb.2746:                             ;   in Loop: Header=BB6_2345 Depth=4
	v_bfrev_b32_e32 v9, 1
	s_mov_b32 s15, exec_lo
	v_cmpx_ne_u16_e32 0x80, v0
	s_cbranch_execz .LBB6_2752
; %bb.2747:                             ;   in Loop: Header=BB6_2345 Depth=4
	v_and_b32_e32 v0, 0xffff, v0
	v_mov_b32_e32 v9, 0x7f800001
	s_mov_b32 s76, exec_lo
	s_delay_alu instid0(VALU_DEP_2) | instskip(NEXT) | instid1(VALU_DEP_1)
	v_and_b32_e32 v23, 0x7f, v0
	v_cmpx_ne_u32_e32 0x7f, v23
	s_cbranch_execz .LBB6_2751
; %bb.2748:                             ;   in Loop: Header=BB6_2345 Depth=4
	v_dual_mov_b32 v13, v3 :: v_dual_bitop2_b32 v12, 7, v0 bitop3:0x40
	v_lshrrev_b32_e32 v0, 3, v23
	s_mov_b32 s77, exec_lo
	v_cmpx_gt_u32_e32 8, v23
; %bb.2749:                             ;   in Loop: Header=BB6_2345 Depth=4
	s_delay_alu instid0(VALU_DEP_3) | instskip(NEXT) | instid1(VALU_DEP_1)
	v_clz_i32_u32_e32 v0, v12
	v_min_u32_e32 v0, 32, v0
	s_delay_alu instid0(VALU_DEP_1) | instskip(SKIP_1) | instid1(VALU_DEP_2)
	v_subrev_nc_u32_e32 v9, 28, v0
	v_sub_nc_u32_e32 v0, 29, v0
	v_lshlrev_b64_e32 v[12:13], v9, v[12:13]
	s_delay_alu instid0(VALU_DEP_1)
	v_and_b32_e32 v12, 7, v12
; %bb.2750:                             ;   in Loop: Header=BB6_2345 Depth=4
	s_or_b32 exec_lo, exec_lo, s77
	s_delay_alu instid0(VALU_DEP_1) | instskip(SKIP_1) | instid1(VALU_DEP_2)
	v_dual_lshlrev_b32 v2, 16, v2 :: v_dual_lshlrev_b32 v9, 20, v12
	v_lshl_add_u32 v0, v0, 23, 0x3c000000
	v_and_b32_e32 v2, 0x80000000, v2
	s_delay_alu instid0(VALU_DEP_1)
	v_or3_b32 v9, v9, v2, v0
.LBB6_2751:                             ;   in Loop: Header=BB6_2345 Depth=4
	s_or_b32 exec_lo, exec_lo, s76
.LBB6_2752:                             ;   in Loop: Header=BB6_2345 Depth=4
	s_delay_alu instid0(SALU_CYCLE_1)
	s_or_b32 exec_lo, exec_lo, s15
.LBB6_2753:                             ;   in Loop: Header=BB6_2345 Depth=4
	s_delay_alu instid0(SALU_CYCLE_1) | instskip(SKIP_3) | instid1(VALU_DEP_1)
	s_or_b32 exec_lo, exec_lo, s14
	v_lshrrev_b16 v8, 8, v8
	s_mov_b32 s15, 0
	s_mov_b32 s14, exec_lo
	v_cmpx_lt_i16_e32 0x7f, v8
	s_xor_b32 s14, exec_lo, s14
	s_cbranch_execz .LBB6_2760
; %bb.2754:                             ;   in Loop: Header=BB6_2345 Depth=4
	s_mov_b32 s15, -1
	s_mov_b32 s76, exec_lo
	v_cmpx_eq_u16_e32 0x80, v8
; %bb.2755:                             ;   in Loop: Header=BB6_2345 Depth=4
	s_xor_b32 s15, exec_lo, -1
; %bb.2756:                             ;   in Loop: Header=BB6_2345 Depth=4
	s_or_b32 exec_lo, exec_lo, s76
	s_delay_alu instid0(SALU_CYCLE_1)
	s_and_b32 s15, s15, exec_lo
	s_or_saveexec_b32 s14, s14
	v_bfrev_b32_e32 v0, 1
	s_xor_b32 exec_lo, exec_lo, s14
	s_cbranch_execnz .LBB6_2761
.LBB6_2757:                             ;   in Loop: Header=BB6_2345 Depth=4
	s_or_b32 exec_lo, exec_lo, s14
	s_and_saveexec_b32 s14, s15
	s_cbranch_execnz .LBB6_2762
	s_branch .LBB6_2765
.LBB6_2758:                             ;   in Loop: Header=BB6_2345 Depth=4
	s_or_saveexec_b32 s15, s15
	v_bfrev_b32_e32 v0, 1
	s_xor_b32 exec_lo, exec_lo, s15
	s_cbranch_execz .LBB6_2727
.LBB6_2759:                             ;   in Loop: Header=BB6_2345 Depth=4
	v_cmp_ne_u16_e64 s13, 0, v9
	v_mov_b32_e32 v0, 0
	s_and_not1_b32 s14, s14, exec_lo
	s_and_b32 s13, s13, exec_lo
	s_delay_alu instid0(SALU_CYCLE_1)
	s_or_b32 s14, s14, s13
	s_or_b32 exec_lo, exec_lo, s15
	v_mov_b32_e32 v9, v3
	s_and_saveexec_b32 s15, s14
	s_cbranch_execnz .LBB6_2728
	s_branch .LBB6_2729
.LBB6_2760:                             ;   in Loop: Header=BB6_2345 Depth=4
	s_or_saveexec_b32 s14, s14
	v_bfrev_b32_e32 v0, 1
	s_xor_b32 exec_lo, exec_lo, s14
	s_cbranch_execz .LBB6_2757
.LBB6_2761:                             ;   in Loop: Header=BB6_2345 Depth=4
	v_cmp_ne_u16_e64 s13, 0, v8
	v_mov_b32_e32 v0, 0
	s_and_not1_b32 s15, s15, exec_lo
	s_and_b32 s13, s13, exec_lo
	s_delay_alu instid0(SALU_CYCLE_1)
	s_or_b32 s15, s15, s13
	s_or_b32 exec_lo, exec_lo, s14
	s_and_saveexec_b32 s14, s15
	s_cbranch_execz .LBB6_2765
.LBB6_2762:                             ;   in Loop: Header=BB6_2345 Depth=4
	v_and_b32_e32 v2, 0xffff, v8
	v_mov_b32_e32 v0, 0x7f800001
	s_mov_b32 s15, exec_lo
	s_delay_alu instid0(VALU_DEP_2) | instskip(NEXT) | instid1(VALU_DEP_1)
	v_and_b32_e32 v12, 0x7f, v2
	v_cmpx_ne_u32_e32 0x7f, v12
	s_cbranch_execz .LBB6_2764
; %bb.2763:                             ;   in Loop: Header=BB6_2345 Depth=4
	v_and_b32_e32 v0, 7, v2
	v_cmp_gt_u32_e64 s13, 8, v12
	s_delay_alu instid0(VALU_DEP_2) | instskip(NEXT) | instid1(VALU_DEP_1)
	v_clz_i32_u32_e32 v13, v0
	v_min_u32_e32 v13, 32, v13
	s_delay_alu instid0(VALU_DEP_1) | instskip(NEXT) | instid1(VALU_DEP_1)
	v_subrev_nc_u32_e32 v23, 28, v13
	v_lshlrev_b64_e32 v[48:49], v23, v[2:3]
	v_dual_lshrrev_b32 v2, 3, v12 :: v_dual_sub_nc_u32 v13, 29, v13
	s_delay_alu instid0(VALU_DEP_2) | instskip(NEXT) | instid1(VALU_DEP_2)
	v_and_b32_e32 v12, 7, v48
	v_dual_lshlrev_b32 v8, 24, v8 :: v_dual_cndmask_b32 v2, v2, v13, s13
	s_delay_alu instid0(VALU_DEP_2) | instskip(NEXT) | instid1(VALU_DEP_2)
	v_cndmask_b32_e64 v0, v0, v12, s13
	v_and_b32_e32 v8, 0x80000000, v8
	s_delay_alu instid0(VALU_DEP_3) | instskip(NEXT) | instid1(VALU_DEP_3)
	v_lshl_add_u32 v2, v2, 23, 0x3c000000
	v_lshlrev_b32_e32 v0, 20, v0
	s_delay_alu instid0(VALU_DEP_1)
	v_or3_b32 v0, v0, v8, v2
.LBB6_2764:                             ;   in Loop: Header=BB6_2345 Depth=4
	s_or_b32 exec_lo, exec_lo, s15
.LBB6_2765:                             ;   in Loop: Header=BB6_2345 Depth=4
	s_delay_alu instid0(SALU_CYCLE_1) | instskip(NEXT) | instid1(VALU_DEP_1)
	s_or_b32 exec_lo, exec_lo, s14
	v_add_f32_e32 v0, v9, v0
                                        ; implicit-def: $vgpr23
	s_mov_b32 s14, exec_lo
	s_delay_alu instid0(VALU_DEP_1) | instskip(SKIP_1) | instid1(VALU_DEP_2)
	v_and_b32_e32 v2, 0x7f800000, v0
	v_lshrrev_b32_e32 v8, 24, v0
	v_cmpx_ne_u64_e32 0x7f800000, v[2:3]
	s_xor_b32 s15, exec_lo, s14
	s_cbranch_execz .LBB6_2779
; %bb.2766:                             ;   in Loop: Header=BB6_2345 Depth=4
	v_and_b32_e32 v2, 0x7fffffff, v0
	v_and_b32_e32 v48, 0x80, v8
                                        ; implicit-def: $vgpr23
	s_mov_b32 s14, exec_lo
	s_delay_alu instid0(VALU_DEP_2)
	v_cmpx_gt_u64_e32 0x43e00001, v[2:3]
	s_xor_b32 s76, exec_lo, s14
	s_cbranch_execz .LBB6_2776
; %bb.2767:                             ;   in Loop: Header=BB6_2345 Depth=4
	v_mov_b32_e32 v23, 0
	s_mov_b32 s77, exec_lo
	v_cmpx_ne_u32_e32 0, v0
	s_cbranch_execz .LBB6_2775
; %bb.2768:                             ;   in Loop: Header=BB6_2345 Depth=4
	v_bfe_u32 v23, v0, 23, 8
	v_and_b32_e32 v0, 0x7fffff, v0
	s_delay_alu instid0(VALU_DEP_2) | instskip(SKIP_1) | instid1(VALU_DEP_3)
	v_sub_nc_u32_e32 v2, 0x79, v23
	v_cmp_gt_u32_e64 s13, 0x7a, v23
	v_or_b32_e32 v12, 0x800000, v0
	s_delay_alu instid0(VALU_DEP_2) | instskip(SKIP_1) | instid1(VALU_DEP_1)
	v_cndmask_b32_e64 v2, 0, v2, s13
	v_cmp_eq_u32_e64 s13, 0, v23
	v_cndmask_b32_e64 v49, v2, 0x78, s13
	s_delay_alu instid0(VALU_DEP_1) | instskip(NEXT) | instid1(VALU_DEP_1)
	v_dual_add_nc_u32 v2, 20, v49 :: v_dual_add_nc_u32 v13, 19, v49
	v_lshlrev_b64_e64 v[8:9], v2, -1
	v_cndmask_b32_e64 v2, v12, v0, s13
	s_delay_alu instid0(VALU_DEP_3) | instskip(NEXT) | instid1(VALU_DEP_3)
	v_lshlrev_b64_e64 v[12:13], v13, 1
	v_bfi_b32 v51, v9, 0, 0
	s_delay_alu instid0(VALU_DEP_3) | instskip(SKIP_1) | instid1(VALU_DEP_2)
	v_bfi_b32 v50, v8, 0, v2
	v_lshrrev_b64 v[8:9], v49, v[2:3]
	v_cmp_eq_u64_e64 s14, v[50:51], v[12:13]
	s_delay_alu instid0(VALU_DEP_2)
	v_mov_b64_e32 v[12:13], v[8:9]
	s_and_saveexec_b32 s78, s14
; %bb.2769:                             ;   in Loop: Header=BB6_2345 Depth=4
	v_bfe_u32 v2, v8, 20, 1
	s_delay_alu instid0(VALU_DEP_1) | instskip(NEXT) | instid1(VALU_DEP_1)
	v_add_nc_u64_e32 v[12:13], v[8:9], v[2:3]
	v_add_nc_u64_e32 v[12:13], -1, v[12:13]
; %bb.2770:                             ;   in Loop: Header=BB6_2345 Depth=4
	s_or_b32 exec_lo, exec_lo, s78
	v_add_nc_u32_e32 v0, 0xffffff81, v23
	v_lshrrev_b32_e32 v2, 23, v8
	s_mov_b32 s14, exec_lo
	s_delay_alu instid0(VALU_DEP_2) | instskip(NEXT) | instid1(VALU_DEP_1)
	v_cndmask_b32_e64 v0, v0, 0xffffff82, s13
	v_add3_u32 v13, v49, v0, v2
	v_and_b32_e32 v0, 0xfffff, v12
	s_delay_alu instid0(VALU_DEP_1) | instskip(NEXT) | instid1(VALU_DEP_1)
	v_dual_add_nc_u32 v12, 6, v13 :: v_dual_add_nc_u32 v2, v0, v8
                                        ; implicit-def: $vgpr8_vgpr9
                                        ; implicit-def: $vgpr0
	v_cmpx_ne_u32_e32 0, v12
	s_xor_b32 s14, exec_lo, s14
; %bb.2771:                             ;   in Loop: Header=BB6_2345 Depth=4
	s_delay_alu instid0(VALU_DEP_2) | instskip(SKIP_1) | instid1(VALU_DEP_2)
	v_cmp_lt_u64_e64 s13, 0xffffff, v[2:3]
	v_add_nc_u32_e32 v0, 7, v13
	v_cndmask_b32_e64 v8, 0, 1, s13
	s_delay_alu instid0(VALU_DEP_2) | instskip(NEXT) | instid1(VALU_DEP_2)
	v_cndmask_b32_e64 v0, v12, v0, s13
	v_lshrrev_b64 v[8:9], v8, v[2:3]
; %bb.2772:                             ;   in Loop: Header=BB6_2345 Depth=4
	s_and_not1_saveexec_b32 s13, s14
; %bb.2773:                             ;   in Loop: Header=BB6_2345 Depth=4
	v_mov_b64_e32 v[8:9], v[2:3]
	v_bfe_u32 v0, v2, 23, 1
; %bb.2774:                             ;   in Loop: Header=BB6_2345 Depth=4
	s_or_b32 exec_lo, exec_lo, s13
	s_delay_alu instid0(VALU_DEP_2) | instskip(NEXT) | instid1(VALU_DEP_2)
	v_lshrrev_b64 v[8:9], 20, v[8:9]
	v_cmp_gt_i32_e64 s13, 16, v0
	v_min_i32_e32 v2, 15, v0
	v_cmp_eq_u32_e64 s14, 0, v0
	s_delay_alu instid0(VALU_DEP_2) | instskip(SKIP_1) | instid1(VALU_DEP_2)
	v_dual_cndmask_b32 v9, 0, v9, s13 :: v_dual_lshlrev_b32 v2, 3, v2
	v_cndmask_b32_e64 v8, 7, v8, s13
	v_and_b32_e32 v2, 0xf8, v2
	s_delay_alu instid0(VALU_DEP_2) | instskip(NEXT) | instid1(VALU_DEP_2)
	v_cmp_eq_u64_e64 s13, 0, v[8:9]
	v_and_or_b32 v0, v8, 7, v2
	s_and_b32 s13, s14, s13
	s_delay_alu instid0(VALU_DEP_1) | instid1(SALU_CYCLE_1)
	v_cndmask_b32_e64 v0, v0, 0, s13
	s_delay_alu instid0(VALU_DEP_1)
	v_or_b32_e32 v23, v0, v48
.LBB6_2775:                             ;   in Loop: Header=BB6_2345 Depth=4
	s_or_b32 exec_lo, exec_lo, s77
                                        ; implicit-def: $vgpr48
.LBB6_2776:                             ;   in Loop: Header=BB6_2345 Depth=4
	s_and_not1_saveexec_b32 s13, s76
; %bb.2777:                             ;   in Loop: Header=BB6_2345 Depth=4
	v_or_b32_e32 v23, 0x7e, v48
; %bb.2778:                             ;   in Loop: Header=BB6_2345 Depth=4
	s_or_b32 exec_lo, exec_lo, s13
                                        ; implicit-def: $vgpr8
.LBB6_2779:                             ;   in Loop: Header=BB6_2345 Depth=4
	s_and_not1_saveexec_b32 s13, s15
; %bb.2780:                             ;   in Loop: Header=BB6_2345 Depth=4
	v_or_b32_e32 v23, 0x7f, v8
; %bb.2781:                             ;   in Loop: Header=BB6_2345 Depth=4
	s_or_b32 exec_lo, exec_lo, s13
	v_dual_lshrrev_b32 v0, 16, v15 :: v_dual_mov_b32 v8, 0
	s_mov_b32 s14, exec_lo
	s_delay_alu instid0(VALU_DEP_1) | instskip(NEXT) | instid1(VALU_DEP_1)
	v_and_b32_e32 v2, 0xff, v0
	v_cmpx_ne_u16_e32 0, v2
	s_cbranch_execz .LBB6_2789
; %bb.2782:                             ;   in Loop: Header=BB6_2345 Depth=4
	v_bfrev_b32_e32 v8, 1
	s_mov_b32 s15, exec_lo
	v_cmpx_ne_u16_e32 0x80, v2
	s_cbranch_execz .LBB6_2788
; %bb.2783:                             ;   in Loop: Header=BB6_2345 Depth=4
	v_bfe_u32 v9, v15, 16, 7
	v_mov_b32_e32 v8, 0x7f800001
	s_mov_b32 s76, exec_lo
	s_delay_alu instid0(VALU_DEP_2)
	v_cmpx_ne_u32_e32 0x7f, v9
	s_cbranch_execz .LBB6_2787
; %bb.2784:                             ;   in Loop: Header=BB6_2345 Depth=4
	v_dual_lshrrev_b32 v8, 3, v9 :: v_dual_bitop2_b32 v2, 7, v0 bitop3:0x40
	s_mov_b32 s77, exec_lo
	v_cmpx_gt_u32_e32 8, v9
; %bb.2785:                             ;   in Loop: Header=BB6_2345 Depth=4
	s_delay_alu instid0(VALU_DEP_2) | instskip(NEXT) | instid1(VALU_DEP_1)
	v_clz_i32_u32_e32 v8, v2
	v_min_u32_e32 v8, 32, v8
	s_delay_alu instid0(VALU_DEP_1) | instskip(SKIP_1) | instid1(VALU_DEP_2)
	v_subrev_nc_u32_e32 v9, 28, v8
	v_sub_nc_u32_e32 v8, 29, v8
	v_lshlrev_b64_e32 v[12:13], v9, v[2:3]
	s_delay_alu instid0(VALU_DEP_1)
	v_and_b32_e32 v2, 7, v12
; %bb.2786:                             ;   in Loop: Header=BB6_2345 Depth=4
	s_or_b32 exec_lo, exec_lo, s77
	s_delay_alu instid0(VALU_DEP_1) | instskip(SKIP_1) | instid1(VALU_DEP_2)
	v_dual_lshlrev_b32 v0, 24, v0 :: v_dual_lshlrev_b32 v2, 20, v2
	v_lshl_add_u32 v8, v8, 23, 0x3c000000
	v_and_b32_e32 v0, 0x80000000, v0
	s_delay_alu instid0(VALU_DEP_1)
	v_or3_b32 v8, v2, v0, v8
.LBB6_2787:                             ;   in Loop: Header=BB6_2345 Depth=4
	s_or_b32 exec_lo, exec_lo, s76
.LBB6_2788:                             ;   in Loop: Header=BB6_2345 Depth=4
	s_delay_alu instid0(SALU_CYCLE_1)
	s_or_b32 exec_lo, exec_lo, s15
.LBB6_2789:                             ;   in Loop: Header=BB6_2345 Depth=4
	s_delay_alu instid0(SALU_CYCLE_1) | instskip(SKIP_3) | instid1(VALU_DEP_1)
	s_or_b32 exec_lo, exec_lo, s14
	v_lshrrev_b32_e32 v2, 16, v11
	s_mov_b32 s15, 0
	s_mov_b32 s14, exec_lo
	v_and_b32_e32 v9, 0xff, v2
	s_delay_alu instid0(VALU_DEP_1)
	v_cmpx_lt_i16_e32 0x7f, v9
	s_xor_b32 s14, exec_lo, s14
	s_cbranch_execz .LBB6_2794
; %bb.2790:                             ;   in Loop: Header=BB6_2345 Depth=4
	s_mov_b32 s15, -1
	s_mov_b32 s76, exec_lo
	v_cmpx_eq_u16_e32 0x80, v9
; %bb.2791:                             ;   in Loop: Header=BB6_2345 Depth=4
	s_xor_b32 s15, exec_lo, -1
; %bb.2792:                             ;   in Loop: Header=BB6_2345 Depth=4
	s_or_b32 exec_lo, exec_lo, s76
	s_delay_alu instid0(SALU_CYCLE_1)
	s_and_b32 s15, s15, exec_lo
                                        ; implicit-def: $vgpr9
	s_or_saveexec_b32 s14, s14
	v_bfrev_b32_e32 v0, 1
	s_xor_b32 exec_lo, exec_lo, s14
	s_cbranch_execnz .LBB6_2795
.LBB6_2793:                             ;   in Loop: Header=BB6_2345 Depth=4
	s_or_b32 exec_lo, exec_lo, s14
	s_and_saveexec_b32 s14, s15
	s_cbranch_execnz .LBB6_2796
	s_branch .LBB6_2799
.LBB6_2794:                             ;   in Loop: Header=BB6_2345 Depth=4
	s_or_saveexec_b32 s14, s14
	v_bfrev_b32_e32 v0, 1
	s_xor_b32 exec_lo, exec_lo, s14
	s_cbranch_execz .LBB6_2793
.LBB6_2795:                             ;   in Loop: Header=BB6_2345 Depth=4
	v_cmp_ne_u16_e64 s13, 0, v9
	v_mov_b32_e32 v0, 0
	s_and_not1_b32 s15, s15, exec_lo
	s_and_b32 s13, s13, exec_lo
	s_delay_alu instid0(SALU_CYCLE_1)
	s_or_b32 s15, s15, s13
	s_or_b32 exec_lo, exec_lo, s14
	s_and_saveexec_b32 s14, s15
	s_cbranch_execz .LBB6_2799
.LBB6_2796:                             ;   in Loop: Header=BB6_2345 Depth=4
	v_and_b32_e32 v9, 0x7f, v2
	v_mov_b32_e32 v0, 0x7f800001
	s_mov_b32 s15, exec_lo
	s_delay_alu instid0(VALU_DEP_2)
	v_cmpx_ne_u32_e32 0x7f, v9
	s_cbranch_execz .LBB6_2798
; %bb.2797:                             ;   in Loop: Header=BB6_2345 Depth=4
	v_and_b32_e32 v0, 7, v2
	v_cmp_gt_u32_e64 s13, 8, v9
	s_delay_alu instid0(VALU_DEP_2) | instskip(NEXT) | instid1(VALU_DEP_1)
	v_clz_i32_u32_e32 v12, v0
	v_min_u32_e32 v48, 32, v12
	s_delay_alu instid0(VALU_DEP_1) | instskip(SKIP_1) | instid1(VALU_DEP_2)
	v_subrev_nc_u32_e32 v12, 28, v48
	v_sub_nc_u32_e32 v48, 29, v48
	v_lshlrev_b64_e32 v[12:13], v12, v[2:3]
	v_dual_lshrrev_b32 v13, 3, v9 :: v_dual_lshlrev_b32 v2, 24, v2
	s_delay_alu instid0(VALU_DEP_1) | instskip(NEXT) | instid1(VALU_DEP_3)
	v_and_b32_e32 v2, 0x80000000, v2
	v_and_b32_e32 v9, 7, v12
	s_delay_alu instid0(VALU_DEP_1) | instskip(NEXT) | instid1(VALU_DEP_1)
	v_dual_cndmask_b32 v12, v13, v48, s13 :: v_dual_cndmask_b32 v0, v0, v9, s13
	v_lshl_add_u32 v9, v12, 23, 0x3c000000
	s_delay_alu instid0(VALU_DEP_2) | instskip(NEXT) | instid1(VALU_DEP_1)
	v_lshlrev_b32_e32 v0, 20, v0
	v_or3_b32 v0, v0, v2, v9
.LBB6_2798:                             ;   in Loop: Header=BB6_2345 Depth=4
	s_or_b32 exec_lo, exec_lo, s15
.LBB6_2799:                             ;   in Loop: Header=BB6_2345 Depth=4
	s_delay_alu instid0(SALU_CYCLE_1) | instskip(NEXT) | instid1(VALU_DEP_1)
	s_or_b32 exec_lo, exec_lo, s14
	v_add_f32_e32 v0, v8, v0
                                        ; implicit-def: $vgpr12
	s_mov_b32 s14, exec_lo
	s_delay_alu instid0(VALU_DEP_1) | instskip(SKIP_1) | instid1(VALU_DEP_2)
	v_and_b32_e32 v2, 0x7f800000, v0
	v_lshrrev_b32_e32 v8, 24, v0
	v_cmpx_ne_u64_e32 0x7f800000, v[2:3]
	s_xor_b32 s15, exec_lo, s14
	s_cbranch_execz .LBB6_2813
; %bb.2800:                             ;   in Loop: Header=BB6_2345 Depth=4
	v_and_b32_e32 v2, 0x7fffffff, v0
	v_and_b32_e32 v48, 0x80, v8
                                        ; implicit-def: $vgpr12
	s_mov_b32 s14, exec_lo
	s_delay_alu instid0(VALU_DEP_2)
	v_cmpx_gt_u64_e32 0x43e00001, v[2:3]
	s_xor_b32 s76, exec_lo, s14
	s_cbranch_execz .LBB6_2810
; %bb.2801:                             ;   in Loop: Header=BB6_2345 Depth=4
	v_mov_b32_e32 v12, 0
	s_mov_b32 s77, exec_lo
	v_cmpx_ne_u32_e32 0, v0
	s_cbranch_execz .LBB6_2809
; %bb.2802:                             ;   in Loop: Header=BB6_2345 Depth=4
	v_bfe_u32 v49, v0, 23, 8
	v_and_b32_e32 v0, 0x7fffff, v0
	s_delay_alu instid0(VALU_DEP_2) | instskip(SKIP_1) | instid1(VALU_DEP_3)
	v_sub_nc_u32_e32 v2, 0x79, v49
	v_cmp_gt_u32_e64 s13, 0x7a, v49
	v_or_b32_e32 v12, 0x800000, v0
	s_delay_alu instid0(VALU_DEP_2) | instskip(SKIP_1) | instid1(VALU_DEP_1)
	v_cndmask_b32_e64 v2, 0, v2, s13
	v_cmp_eq_u32_e64 s13, 0, v49
	v_cndmask_b32_e64 v50, v2, 0x78, s13
	s_delay_alu instid0(VALU_DEP_1) | instskip(NEXT) | instid1(VALU_DEP_1)
	v_dual_add_nc_u32 v2, 20, v50 :: v_dual_add_nc_u32 v13, 19, v50
	v_lshlrev_b64_e64 v[8:9], v2, -1
	v_cndmask_b32_e64 v2, v12, v0, s13
	s_delay_alu instid0(VALU_DEP_3) | instskip(NEXT) | instid1(VALU_DEP_3)
	v_lshlrev_b64_e64 v[12:13], v13, 1
	v_bfi_b32 v53, v9, 0, 0
	s_delay_alu instid0(VALU_DEP_3) | instskip(SKIP_1) | instid1(VALU_DEP_2)
	v_bfi_b32 v52, v8, 0, v2
	v_lshrrev_b64 v[8:9], v50, v[2:3]
	v_cmp_eq_u64_e64 s14, v[52:53], v[12:13]
	s_delay_alu instid0(VALU_DEP_2)
	v_mov_b64_e32 v[12:13], v[8:9]
	s_and_saveexec_b32 s78, s14
; %bb.2803:                             ;   in Loop: Header=BB6_2345 Depth=4
	v_bfe_u32 v2, v8, 20, 1
	s_delay_alu instid0(VALU_DEP_1) | instskip(NEXT) | instid1(VALU_DEP_1)
	v_add_nc_u64_e32 v[12:13], v[8:9], v[2:3]
	v_add_nc_u64_e32 v[12:13], -1, v[12:13]
; %bb.2804:                             ;   in Loop: Header=BB6_2345 Depth=4
	s_or_b32 exec_lo, exec_lo, s78
	v_add_nc_u32_e32 v0, 0xffffff81, v49
	v_lshrrev_b32_e32 v2, 23, v8
	s_mov_b32 s14, exec_lo
	s_delay_alu instid0(VALU_DEP_2) | instskip(NEXT) | instid1(VALU_DEP_1)
	v_cndmask_b32_e64 v0, v0, 0xffffff82, s13
	v_add3_u32 v13, v50, v0, v2
	v_and_b32_e32 v0, 0xfffff, v12
	s_delay_alu instid0(VALU_DEP_1) | instskip(NEXT) | instid1(VALU_DEP_1)
	v_dual_add_nc_u32 v12, 6, v13 :: v_dual_add_nc_u32 v2, v0, v8
                                        ; implicit-def: $vgpr8_vgpr9
                                        ; implicit-def: $vgpr0
	v_cmpx_ne_u32_e32 0, v12
	s_xor_b32 s14, exec_lo, s14
; %bb.2805:                             ;   in Loop: Header=BB6_2345 Depth=4
	s_delay_alu instid0(VALU_DEP_2) | instskip(SKIP_1) | instid1(VALU_DEP_2)
	v_cmp_lt_u64_e64 s13, 0xffffff, v[2:3]
	v_add_nc_u32_e32 v0, 7, v13
	v_cndmask_b32_e64 v8, 0, 1, s13
	s_delay_alu instid0(VALU_DEP_2) | instskip(NEXT) | instid1(VALU_DEP_2)
	v_cndmask_b32_e64 v0, v12, v0, s13
	v_lshrrev_b64 v[8:9], v8, v[2:3]
; %bb.2806:                             ;   in Loop: Header=BB6_2345 Depth=4
	s_and_not1_saveexec_b32 s13, s14
; %bb.2807:                             ;   in Loop: Header=BB6_2345 Depth=4
	v_mov_b64_e32 v[8:9], v[2:3]
	v_bfe_u32 v0, v2, 23, 1
; %bb.2808:                             ;   in Loop: Header=BB6_2345 Depth=4
	s_or_b32 exec_lo, exec_lo, s13
	s_delay_alu instid0(VALU_DEP_2) | instskip(NEXT) | instid1(VALU_DEP_2)
	v_lshrrev_b64 v[8:9], 20, v[8:9]
	v_cmp_gt_i32_e64 s13, 16, v0
	v_min_i32_e32 v2, 15, v0
	v_cmp_eq_u32_e64 s14, 0, v0
	s_delay_alu instid0(VALU_DEP_2) | instskip(SKIP_1) | instid1(VALU_DEP_2)
	v_dual_cndmask_b32 v9, 0, v9, s13 :: v_dual_lshlrev_b32 v2, 3, v2
	v_cndmask_b32_e64 v8, 7, v8, s13
	v_and_b32_e32 v2, 0xf8, v2
	s_delay_alu instid0(VALU_DEP_2) | instskip(NEXT) | instid1(VALU_DEP_2)
	v_cmp_eq_u64_e64 s13, 0, v[8:9]
	v_and_or_b32 v0, v8, 7, v2
	s_and_b32 s13, s14, s13
	s_delay_alu instid0(VALU_DEP_1) | instid1(SALU_CYCLE_1)
	v_cndmask_b32_e64 v0, v0, 0, s13
	s_delay_alu instid0(VALU_DEP_1)
	v_or_b32_e32 v12, v0, v48
.LBB6_2809:                             ;   in Loop: Header=BB6_2345 Depth=4
	s_or_b32 exec_lo, exec_lo, s77
                                        ; implicit-def: $vgpr48
.LBB6_2810:                             ;   in Loop: Header=BB6_2345 Depth=4
	s_and_not1_saveexec_b32 s13, s76
; %bb.2811:                             ;   in Loop: Header=BB6_2345 Depth=4
	v_or_b32_e32 v12, 0x7e, v48
; %bb.2812:                             ;   in Loop: Header=BB6_2345 Depth=4
	s_or_b32 exec_lo, exec_lo, s13
                                        ; implicit-def: $vgpr8
.LBB6_2813:                             ;   in Loop: Header=BB6_2345 Depth=4
	s_and_not1_saveexec_b32 s13, s15
; %bb.2814:                             ;   in Loop: Header=BB6_2345 Depth=4
	v_or_b32_e32 v12, 0x7f, v8
; %bb.2815:                             ;   in Loop: Header=BB6_2345 Depth=4
	s_or_b32 exec_lo, exec_lo, s13
	v_mov_b32_e32 v8, 0
	s_mov_b32 s14, exec_lo
	v_cmpx_lt_u64_e64 s[22:23], v[14:15]
	s_cbranch_execz .LBB6_2823
; %bb.2816:                             ;   in Loop: Header=BB6_2345 Depth=4
	v_lshrrev_b32_e32 v0, 24, v15
	v_bfrev_b32_e32 v8, 1
	s_mov_b32 s15, exec_lo
	s_delay_alu instid0(VALU_DEP_2)
	v_cmpx_ne_u32_e32 0x80, v0
	s_cbranch_execz .LBB6_2822
; %bb.2817:                             ;   in Loop: Header=BB6_2345 Depth=4
	v_bfe_u32 v9, v15, 24, 7
	v_mov_b32_e32 v8, 0x7f800001
	s_mov_b32 s76, exec_lo
	s_delay_alu instid0(VALU_DEP_2)
	v_cmpx_ne_u32_e32 0x7f, v9
	s_cbranch_execz .LBB6_2821
; %bb.2818:                             ;   in Loop: Header=BB6_2345 Depth=4
	v_dual_lshrrev_b32 v8, 3, v9 :: v_dual_bitop2_b32 v2, 7, v0 bitop3:0x40
	s_mov_b32 s77, exec_lo
	v_cmpx_gt_u32_e32 8, v9
; %bb.2819:                             ;   in Loop: Header=BB6_2345 Depth=4
	s_delay_alu instid0(VALU_DEP_2) | instskip(NEXT) | instid1(VALU_DEP_1)
	v_clz_i32_u32_e32 v8, v2
	v_min_u32_e32 v8, 32, v8
	s_delay_alu instid0(VALU_DEP_1) | instskip(NEXT) | instid1(VALU_DEP_1)
	v_subrev_nc_u32_e32 v9, 28, v8
	v_lshlrev_b64_e32 v[14:15], v9, v[2:3]
	s_delay_alu instid0(VALU_DEP_1)
	v_dual_sub_nc_u32 v8, 29, v8 :: v_dual_bitop2_b32 v2, 7, v14 bitop3:0x40
; %bb.2820:                             ;   in Loop: Header=BB6_2345 Depth=4
	s_or_b32 exec_lo, exec_lo, s77
	s_delay_alu instid0(VALU_DEP_1) | instskip(NEXT) | instid1(VALU_DEP_2)
	v_dual_lshlrev_b32 v0, 24, v0 :: v_dual_lshlrev_b32 v2, 20, v2
	v_lshl_add_u32 v8, v8, 23, 0x3c000000
	s_delay_alu instid0(VALU_DEP_2) | instskip(NEXT) | instid1(VALU_DEP_1)
	v_and_b32_e32 v0, 0x80000000, v0
	v_or3_b32 v8, v2, v0, v8
.LBB6_2821:                             ;   in Loop: Header=BB6_2345 Depth=4
	s_or_b32 exec_lo, exec_lo, s76
.LBB6_2822:                             ;   in Loop: Header=BB6_2345 Depth=4
	s_delay_alu instid0(SALU_CYCLE_1)
	s_or_b32 exec_lo, exec_lo, s15
.LBB6_2823:                             ;   in Loop: Header=BB6_2345 Depth=4
	s_delay_alu instid0(SALU_CYCLE_1) | instskip(SKIP_3) | instid1(VALU_DEP_3)
	s_or_b32 exec_lo, exec_lo, s14
	v_lshrrev_b32_e32 v2, 24, v11
	v_bfe_u32 v0, v11, 24, 7
	v_cmp_gt_u64_e64 s15, s[24:25], v[10:11]
	v_cmp_eq_u32_e64 s14, 0x80, v2
	s_delay_alu instid0(VALU_DEP_3) | instskip(NEXT) | instid1(VALU_DEP_2)
	v_cmp_eq_u32_e64 s13, 0x7f, v0
	v_cndmask_b32_e64 v9, 0x7f800001, v125, s14
	s_or_b32 s13, s14, s13
	s_delay_alu instid0(SALU_CYCLE_1) | instskip(NEXT) | instid1(VALU_DEP_1)
	s_nor_b32 s13, s15, s13
	v_cndmask_b32_e64 v9, v9, 0, s15
	s_and_saveexec_b32 s14, s13
	s_cbranch_execz .LBB6_2825
; %bb.2824:                             ;   in Loop: Header=BB6_2345 Depth=4
	v_and_b32_e32 v9, 7, v2
	v_cmp_gt_u32_e64 s13, 8, v0
	s_delay_alu instid0(VALU_DEP_2) | instskip(NEXT) | instid1(VALU_DEP_1)
	v_clz_i32_u32_e32 v10, v9
	v_min_u32_e32 v13, 32, v10
	s_delay_alu instid0(VALU_DEP_1) | instskip(NEXT) | instid1(VALU_DEP_1)
	v_subrev_nc_u32_e32 v10, 28, v13
	v_lshlrev_b64_e32 v[10:11], v10, v[2:3]
	v_dual_lshrrev_b32 v11, 3, v0 :: v_dual_sub_nc_u32 v13, 29, v13
	v_lshlrev_b32_e32 v2, 24, v2
	s_delay_alu instid0(VALU_DEP_2) | instskip(NEXT) | instid1(VALU_DEP_2)
	v_dual_cndmask_b32 v10, v11, v13, s13 :: v_dual_bitop2_b32 v0, 7, v10 bitop3:0x40
	v_and_b32_e32 v2, 0x80000000, v2
	s_delay_alu instid0(VALU_DEP_2) | instskip(NEXT) | instid1(VALU_DEP_3)
	v_cndmask_b32_e64 v0, v9, v0, s13
	v_lshl_add_u32 v9, v10, 23, 0x3c000000
	s_delay_alu instid0(VALU_DEP_2) | instskip(NEXT) | instid1(VALU_DEP_1)
	v_lshlrev_b32_e32 v0, 20, v0
	v_or3_b32 v9, v0, v2, v9
.LBB6_2825:                             ;   in Loop: Header=BB6_2345 Depth=4
	s_or_b32 exec_lo, exec_lo, s14
	s_delay_alu instid0(VALU_DEP_1) | instskip(SKIP_1) | instid1(VALU_DEP_1)
	v_add_f32_e32 v8, v8, v9
                                        ; implicit-def: $vgpr0
	s_mov_b32 s14, exec_lo
	v_and_b32_e32 v2, 0x7f800000, v8
	v_lshrrev_b32_e32 v9, 24, v8
	s_delay_alu instid0(VALU_DEP_2)
	v_cmpx_ne_u64_e32 0x7f800000, v[2:3]
	s_xor_b32 s15, exec_lo, s14
	s_cbranch_execz .LBB6_2839
; %bb.2826:                             ;   in Loop: Header=BB6_2345 Depth=4
	v_and_b32_e32 v2, 0x7fffffff, v8
	v_and_b32_e32 v13, 0x80, v9
                                        ; implicit-def: $vgpr0
	s_mov_b32 s14, exec_lo
	s_delay_alu instid0(VALU_DEP_2)
	v_cmpx_gt_u64_e32 0x43e00001, v[2:3]
	s_xor_b32 s76, exec_lo, s14
	s_cbranch_execz .LBB6_2836
; %bb.2827:                             ;   in Loop: Header=BB6_2345 Depth=4
	v_mov_b32_e32 v0, 0
	s_mov_b32 s77, exec_lo
	v_cmpx_ne_u32_e32 0, v8
	s_cbranch_execz .LBB6_2835
; %bb.2828:                             ;   in Loop: Header=BB6_2345 Depth=4
	v_bfe_u32 v0, v8, 23, 8
	s_delay_alu instid0(VALU_DEP_1) | instskip(SKIP_1) | instid1(VALU_DEP_1)
	v_sub_nc_u32_e32 v2, 0x79, v0
	v_cmp_gt_u32_e64 s13, 0x7a, v0
	v_cndmask_b32_e64 v2, 0, v2, s13
	v_cmp_eq_u32_e64 s13, 0, v0
	s_delay_alu instid0(VALU_DEP_1) | instskip(SKIP_1) | instid1(VALU_DEP_2)
	v_cndmask_b32_e64 v14, v2, 0x78, s13
	v_and_b32_e32 v2, 0x7fffff, v8
	v_dual_add_nc_u32 v8, 20, v14 :: v_dual_add_nc_u32 v11, 19, v14
	s_delay_alu instid0(VALU_DEP_2) | instskip(NEXT) | instid1(VALU_DEP_2)
	v_or_b32_e32 v10, 0x800000, v2
	v_lshlrev_b64_e64 v[8:9], v8, -1
	s_delay_alu instid0(VALU_DEP_2) | instskip(NEXT) | instid1(VALU_DEP_4)
	v_cndmask_b32_e64 v2, v10, v2, s13
	v_lshlrev_b64_e64 v[10:11], v11, 1
	s_delay_alu instid0(VALU_DEP_3) | instskip(NEXT) | instid1(VALU_DEP_3)
	v_bfi_b32 v49, v9, 0, 0
	v_bfi_b32 v48, v8, 0, v2
	v_lshrrev_b64 v[8:9], v14, v[2:3]
	s_delay_alu instid0(VALU_DEP_2) | instskip(NEXT) | instid1(VALU_DEP_2)
	v_cmp_eq_u64_e64 s14, v[48:49], v[10:11]
	v_mov_b64_e32 v[10:11], v[8:9]
	s_and_saveexec_b32 s78, s14
; %bb.2829:                             ;   in Loop: Header=BB6_2345 Depth=4
	v_bfe_u32 v2, v8, 20, 1
	s_delay_alu instid0(VALU_DEP_1) | instskip(NEXT) | instid1(VALU_DEP_1)
	v_add_nc_u64_e32 v[10:11], v[8:9], v[2:3]
	v_add_nc_u64_e32 v[10:11], -1, v[10:11]
; %bb.2830:                             ;   in Loop: Header=BB6_2345 Depth=4
	s_or_b32 exec_lo, exec_lo, s78
	v_add_nc_u32_e32 v0, 0xffffff81, v0
	v_lshrrev_b32_e32 v2, 23, v8
	s_mov_b32 s14, exec_lo
	s_delay_alu instid0(VALU_DEP_2) | instskip(NEXT) | instid1(VALU_DEP_1)
	v_cndmask_b32_e64 v0, v0, 0xffffff82, s13
	v_add3_u32 v11, v14, v0, v2
	v_and_b32_e32 v0, 0xfffff, v10
	s_delay_alu instid0(VALU_DEP_1) | instskip(NEXT) | instid1(VALU_DEP_1)
	v_dual_add_nc_u32 v10, 6, v11 :: v_dual_add_nc_u32 v2, v0, v8
                                        ; implicit-def: $vgpr8_vgpr9
                                        ; implicit-def: $vgpr0
	v_cmpx_ne_u32_e32 0, v10
	s_xor_b32 s14, exec_lo, s14
; %bb.2831:                             ;   in Loop: Header=BB6_2345 Depth=4
	s_delay_alu instid0(VALU_DEP_2) | instskip(SKIP_1) | instid1(VALU_DEP_2)
	v_cmp_lt_u64_e64 s13, 0xffffff, v[2:3]
	v_add_nc_u32_e32 v0, 7, v11
	v_cndmask_b32_e64 v8, 0, 1, s13
	s_delay_alu instid0(VALU_DEP_2) | instskip(NEXT) | instid1(VALU_DEP_2)
	v_cndmask_b32_e64 v0, v10, v0, s13
	v_lshrrev_b64 v[8:9], v8, v[2:3]
; %bb.2832:                             ;   in Loop: Header=BB6_2345 Depth=4
	s_and_not1_saveexec_b32 s13, s14
; %bb.2833:                             ;   in Loop: Header=BB6_2345 Depth=4
	v_mov_b64_e32 v[8:9], v[2:3]
	v_bfe_u32 v0, v2, 23, 1
; %bb.2834:                             ;   in Loop: Header=BB6_2345 Depth=4
	s_or_b32 exec_lo, exec_lo, s13
	s_delay_alu instid0(VALU_DEP_2) | instskip(NEXT) | instid1(VALU_DEP_2)
	v_lshrrev_b64 v[8:9], 20, v[8:9]
	v_cmp_gt_i32_e64 s13, 16, v0
	v_min_i32_e32 v2, 15, v0
	v_cmp_eq_u32_e64 s14, 0, v0
	s_delay_alu instid0(VALU_DEP_2) | instskip(SKIP_1) | instid1(VALU_DEP_2)
	v_dual_cndmask_b32 v9, 0, v9, s13 :: v_dual_lshlrev_b32 v2, 3, v2
	v_cndmask_b32_e64 v8, 7, v8, s13
	v_and_b32_e32 v2, 0xf8, v2
	s_delay_alu instid0(VALU_DEP_2) | instskip(NEXT) | instid1(VALU_DEP_2)
	v_cmp_eq_u64_e64 s13, 0, v[8:9]
	v_and_or_b32 v0, v8, 7, v2
	s_and_b32 s13, s14, s13
	s_delay_alu instid0(VALU_DEP_1) | instid1(SALU_CYCLE_1)
	v_cndmask_b32_e64 v0, v0, 0, s13
	s_delay_alu instid0(VALU_DEP_1)
	v_or_b32_e32 v0, v0, v13
.LBB6_2835:                             ;   in Loop: Header=BB6_2345 Depth=4
	s_or_b32 exec_lo, exec_lo, s77
                                        ; implicit-def: $vgpr13
.LBB6_2836:                             ;   in Loop: Header=BB6_2345 Depth=4
	s_and_not1_saveexec_b32 s13, s76
; %bb.2837:                             ;   in Loop: Header=BB6_2345 Depth=4
	v_or_b32_e32 v0, 0x7e, v13
; %bb.2838:                             ;   in Loop: Header=BB6_2345 Depth=4
	s_or_b32 exec_lo, exec_lo, s13
                                        ; implicit-def: $vgpr9
.LBB6_2839:                             ;   in Loop: Header=BB6_2345 Depth=4
	s_and_not1_saveexec_b32 s13, s15
	s_cbranch_execz .LBB6_2344
; %bb.2840:                             ;   in Loop: Header=BB6_2345 Depth=4
	v_or_b32_e32 v0, 0x7f, v9
	s_branch .LBB6_2344
.LBB6_2841:                             ;   in Loop: Header=BB6_274 Depth=3
	s_or_b32 exec_lo, exec_lo, s75
.LBB6_2842:                             ;   in Loop: Header=BB6_274 Depth=3
	s_delay_alu instid0(SALU_CYCLE_1) | instskip(SKIP_3) | instid1(VALU_DEP_1)
	s_or_b32 exec_lo, exec_lo, s74
	v_dual_mov_b32 v1, 0 :: v_dual_bitop2_b32 v0, 15, v75 bitop3:0x40
	s_mov_b32 s14, 0
	s_mov_b32 s15, exec_lo
                                        ; implicit-def: $vgpr5
                                        ; implicit-def: $vgpr2
	v_cndmask_b32_e32 v4, v32, v0, vcc_lo
	s_delay_alu instid0(VALU_DEP_1)
	v_cmpx_ne_u32_e32 0, v4
	s_cbranch_execz .LBB6_2844
; %bb.2843:                             ;   in Loop: Header=BB6_274 Depth=3
	v_cmp_lt_i32_e64 s13, 0, v33
	s_mov_b32 s14, exec_lo
	v_sub_nc_u32_e32 v0, v32, v0
	v_cndmask_b32_e64 v1, 0, v84, s13
	s_delay_alu instid0(VALU_DEP_1) | instskip(NEXT) | instid1(VALU_DEP_1)
	v_dual_cndmask_b32 v0, 0, v0 :: v_dual_sub_nc_u32 v1, v1, v33
	v_lshl_add_u32 v5, v1, 5, v31
	s_delay_alu instid0(VALU_DEP_1) | instskip(NEXT) | instid1(VALU_DEP_1)
	v_ashrrev_i32_e32 v1, 31, v5
	v_lshrrev_b32_e32 v1, 27, v1
	s_delay_alu instid0(VALU_DEP_1) | instskip(SKIP_1) | instid1(VALU_DEP_2)
	v_add_nc_u32_e32 v2, v5, v1
	v_add3_u32 v1, v29, v28, v0
	v_ashrrev_i32_e32 v2, 5, v2
.LBB6_2844:                             ;   in Loop: Header=BB6_274 Depth=3
	s_or_b32 exec_lo, exec_lo, s15
	s_delay_alu instid0(SALU_CYCLE_1)
	s_and_b32 s13, s14, exec_lo
.LBB6_2845:                             ;   in Loop: Header=BB6_274 Depth=3
	s_or_b32 exec_lo, exec_lo, s73
	s_and_saveexec_b32 s14, s13
	s_cbranch_execz .LBB6_4042
.LBB6_2846:                             ;   in Loop: Header=BB6_274 Depth=3
	v_ashrrev_i32_e32 v0, 31, v4
	s_mov_b32 s15, exec_lo
	s_delay_alu instid0(VALU_DEP_1) | instskip(NEXT) | instid1(VALU_DEP_1)
	v_lshrrev_b32_e32 v0, 22, v0
	v_add_nc_u32_e32 v0, v4, v0
	s_delay_alu instid0(VALU_DEP_1) | instskip(NEXT) | instid1(VALU_DEP_1)
	v_dual_ashrrev_i32 v20, 10, v0 :: v_dual_ashrrev_i32 v0, 31, v5
	v_dual_sub_nc_u32 v18, v20, v2 :: v_dual_lshrrev_b32 v19, 27, v0
	s_delay_alu instid0(VALU_DEP_1)
	v_cmpx_lt_i32_e32 0, v18
	s_cbranch_execz .LBB6_4002
; %bb.2847:                             ;   in Loop: Header=BB6_274 Depth=3
	s_delay_alu instid0(VALU_DEP_2) | instskip(SKIP_3) | instid1(VALU_DEP_2)
	v_dual_add_nc_u32 v0, v5, v19 :: v_dual_lshlrev_b32 v2, 10, v2
	s_trap 2
	v_add_nc_u64_e32 v[14:15], 0x3e0, v[90:91]
	s_mov_b32 s73, 0
	v_and_b32_e32 v0, 0xffffffe0, v0
	ds_load_b64 v[10:11], v0
	v_sub_nc_u32_e32 v0, v5, v0
	s_delay_alu instid0(VALU_DEP_1) | instskip(NEXT) | instid1(VALU_DEP_1)
	v_add3_u32 v12, v1, v0, v2
	v_ashrrev_i32_e32 v13, 31, v12
	s_delay_alu instid0(VALU_DEP_1)
	v_add_nc_u64_e32 v[8:9], v[12:13], v[88:89]
	s_wait_dscnt 0x0
	v_add_nc_u64_e32 v[10:11], v[10:11], v[12:13]
	v_add_nc_u64_e32 v[12:13], v[14:15], v[12:13]
	s_branch .LBB6_2849
.LBB6_2848:                             ;   in Loop: Header=BB6_2849 Depth=4
	s_or_b32 exec_lo, exec_lo, s13
	v_sub_nc_u32_e32 v18, v18, v84
	s_clause 0x1f
	flat_store_b8 v[12:13], v23 offset:-992 th:TH_STORE_NT
	flat_store_b8 v[12:13], v26 offset:-960 th:TH_STORE_NT
	;; [unrolled: 1-line block ×31, first 2 shown]
	flat_store_b8 v[12:13], v2 th:TH_STORE_NT
	v_add_nc_u64_e32 v[8:9], v[8:9], v[114:115]
	v_add_nc_u64_e32 v[10:11], v[10:11], v[114:115]
	v_cmp_gt_i32_e32 vcc_lo, 1, v18
	s_wait_xcnt 0x0
	v_add_nc_u64_e32 v[12:13], v[12:13], v[114:115]
	s_or_b32 s73, vcc_lo, s73
	s_delay_alu instid0(SALU_CYCLE_1)
	s_and_not1_b32 exec_lo, exec_lo, s73
	s_cbranch_execz .LBB6_4001
.LBB6_2849:                             ;   Parent Loop BB6_47 Depth=1
                                        ;     Parent Loop BB6_271 Depth=2
                                        ;       Parent Loop BB6_274 Depth=3
                                        ; =>      This Inner Loop Header: Depth=4
	s_clause 0x3
	flat_load_u8 v15, v[8:9] th:TH_LOAD_NT
	flat_load_u8 v67, v[8:9] offset:32 th:TH_LOAD_NT
	flat_load_u8 v66, v[8:9] offset:64 th:TH_LOAD_NT
	;; [unrolled: 1-line block ×3, first 2 shown]
	s_wait_loadcnt 0x5
	s_clause 0x1b
	flat_load_u8 v42, v[8:9] offset:128 th:TH_LOAD_NT
	flat_load_u8 v121, v[8:9] offset:160 th:TH_LOAD_NT
	;; [unrolled: 1-line block ×28, first 2 shown]
	s_clause 0xe
	flat_load_u8 v14, v[10:11] th:TH_LOAD_NT
	flat_load_u8 v26, v[10:11] offset:32 th:TH_LOAD_NT
	flat_load_u8 v29, v[10:11] offset:64 th:TH_LOAD_NT
	;; [unrolled: 1-line block ×14, first 2 shown]
	s_wait_loadcnt 0x2f
	s_clause 0x10
	flat_load_u8 v95, v[10:11] offset:480 th:TH_LOAD_NT
	flat_load_u8 v93, v[10:11] offset:512 th:TH_LOAD_NT
	;; [unrolled: 1-line block ×17, first 2 shown]
	v_dual_mov_b32 v16, 0 :: v_dual_mov_b32 v17, 0
	s_mov_b32 s13, exec_lo
	s_wait_loadcnt_dscnt 0x3e3e
	s_wait_xcnt 0x0
	v_cmpx_ne_u16_e32 0, v15
	s_cbranch_execz .LBB6_2857
; %bb.2850:                             ;   in Loop: Header=BB6_2849 Depth=4
	v_bfrev_b32_e32 v17, 1
	s_mov_b32 s74, exec_lo
	v_cmpx_ne_u16_e32 0x80, v15
	s_cbranch_execz .LBB6_2856
; %bb.2851:                             ;   in Loop: Header=BB6_2849 Depth=4
	v_and_b32_e32 v0, 0xffff, v15
	v_mov_b32_e32 v17, 0x7f800001
	s_mov_b32 s75, exec_lo
	s_delay_alu instid0(VALU_DEP_2) | instskip(NEXT) | instid1(VALU_DEP_1)
	v_and_b32_e32 v23, 0x7f, v0
	v_cmpx_ne_u32_e32 0x7f, v23
	s_cbranch_execz .LBB6_2855
; %bb.2852:                             ;   in Loop: Header=BB6_2849 Depth=4
	v_dual_lshrrev_b32 v0, 3, v23 :: v_dual_bitop2_b32 v2, 7, v0 bitop3:0x40
	s_mov_b32 s76, exec_lo
	v_cmpx_gt_u32_e32 8, v23
; %bb.2853:                             ;   in Loop: Header=BB6_2849 Depth=4
	s_delay_alu instid0(VALU_DEP_2) | instskip(NEXT) | instid1(VALU_DEP_1)
	v_clz_i32_u32_e32 v0, v2
	v_min_u32_e32 v0, 32, v0
	s_delay_alu instid0(VALU_DEP_1) | instskip(SKIP_1) | instid1(VALU_DEP_2)
	v_subrev_nc_u32_e32 v17, 28, v0
	v_sub_nc_u32_e32 v0, 29, v0
	v_lshlrev_b64_e32 v[40:41], v17, v[2:3]
	s_delay_alu instid0(VALU_DEP_1)
	v_and_b32_e32 v2, 7, v40
; %bb.2854:                             ;   in Loop: Header=BB6_2849 Depth=4
	s_or_b32 exec_lo, exec_lo, s76
	s_delay_alu instid0(VALU_DEP_1) | instskip(SKIP_1) | instid1(VALU_DEP_2)
	v_dual_lshlrev_b32 v15, 24, v15 :: v_dual_lshlrev_b32 v2, 20, v2
	v_lshl_add_u32 v0, v0, 23, 0x3c000000
	v_and_b32_e32 v15, 0x80000000, v15
	s_delay_alu instid0(VALU_DEP_1)
	v_or3_b32 v17, v2, v15, v0
.LBB6_2855:                             ;   in Loop: Header=BB6_2849 Depth=4
	s_or_b32 exec_lo, exec_lo, s75
.LBB6_2856:                             ;   in Loop: Header=BB6_2849 Depth=4
	s_delay_alu instid0(SALU_CYCLE_1)
	s_or_b32 exec_lo, exec_lo, s74
.LBB6_2857:                             ;   in Loop: Header=BB6_2849 Depth=4
	s_delay_alu instid0(SALU_CYCLE_1) | instskip(SKIP_3) | instid1(VALU_DEP_1)
	s_or_b32 exec_lo, exec_lo, s13
	s_wait_loadcnt_dscnt 0x1f1f
	v_and_b32_e32 v0, 0xff, v14
	s_mov_b32 s13, exec_lo
	v_cmpx_ne_u16_e32 0, v0
	s_cbranch_execz .LBB6_2865
; %bb.2858:                             ;   in Loop: Header=BB6_2849 Depth=4
	v_bfrev_b32_e32 v16, 1
	s_mov_b32 s74, exec_lo
	v_cmpx_ne_u16_e32 0x80, v0
	s_cbranch_execz .LBB6_2864
; %bb.2859:                             ;   in Loop: Header=BB6_2849 Depth=4
	v_and_b32_e32 v15, 0x7f, v14
	v_mov_b32_e32 v16, 0x7f800001
	s_mov_b32 s75, exec_lo
	s_delay_alu instid0(VALU_DEP_2)
	v_cmpx_ne_u32_e32 0x7f, v15
	s_cbranch_execz .LBB6_2863
; %bb.2860:                             ;   in Loop: Header=BB6_2849 Depth=4
	v_dual_lshrrev_b32 v0, 3, v15 :: v_dual_bitop2_b32 v2, 7, v0 bitop3:0x40
	s_mov_b32 s76, exec_lo
	v_cmpx_gt_u32_e32 8, v15
; %bb.2861:                             ;   in Loop: Header=BB6_2849 Depth=4
	s_delay_alu instid0(VALU_DEP_2) | instskip(NEXT) | instid1(VALU_DEP_1)
	v_clz_i32_u32_e32 v0, v2
	v_min_u32_e32 v0, 32, v0
	s_delay_alu instid0(VALU_DEP_1) | instskip(SKIP_1) | instid1(VALU_DEP_2)
	v_subrev_nc_u32_e32 v15, 28, v0
	v_sub_nc_u32_e32 v0, 29, v0
	v_lshlrev_b64_e32 v[40:41], v15, v[2:3]
	s_delay_alu instid0(VALU_DEP_1)
	v_and_b32_e32 v2, 7, v40
; %bb.2862:                             ;   in Loop: Header=BB6_2849 Depth=4
	s_or_b32 exec_lo, exec_lo, s76
	v_lshlrev_b32_e32 v14, 24, v14
	s_delay_alu instid0(VALU_DEP_2) | instskip(SKIP_1) | instid1(VALU_DEP_3)
	v_lshlrev_b32_e32 v2, 20, v2
	v_lshl_add_u32 v0, v0, 23, 0x3c000000
	v_and_b32_e32 v14, 0x80000000, v14
	s_delay_alu instid0(VALU_DEP_1)
	v_or3_b32 v16, v2, v14, v0
.LBB6_2863:                             ;   in Loop: Header=BB6_2849 Depth=4
	s_or_b32 exec_lo, exec_lo, s75
.LBB6_2864:                             ;   in Loop: Header=BB6_2849 Depth=4
	s_delay_alu instid0(SALU_CYCLE_1)
	s_or_b32 exec_lo, exec_lo, s74
.LBB6_2865:                             ;   in Loop: Header=BB6_2849 Depth=4
	s_delay_alu instid0(SALU_CYCLE_1) | instskip(NEXT) | instid1(VALU_DEP_1)
	s_or_b32 exec_lo, exec_lo, s13
	v_add_f32_e32 v0, v17, v16
                                        ; implicit-def: $vgpr23
	s_mov_b32 s13, exec_lo
	s_delay_alu instid0(VALU_DEP_1) | instskip(SKIP_1) | instid1(VALU_DEP_2)
	v_and_b32_e32 v2, 0x7f800000, v0
	v_lshrrev_b32_e32 v14, 24, v0
	v_cmpx_ne_u64_e32 0x7f800000, v[2:3]
	s_xor_b32 s74, exec_lo, s13
	s_cbranch_execz .LBB6_2883
; %bb.2866:                             ;   in Loop: Header=BB6_2849 Depth=4
	v_and_b32_e32 v2, 0x7fffffff, v0
	v_and_b32_e32 v122, 0x80, v14
                                        ; implicit-def: $vgpr23
	s_mov_b32 s13, exec_lo
	s_delay_alu instid0(VALU_DEP_2)
	v_cmpx_gt_u64_e32 0x43e00001, v[2:3]
	s_xor_b32 s75, exec_lo, s13
	s_cbranch_execz .LBB6_2880
; %bb.2867:                             ;   in Loop: Header=BB6_2849 Depth=4
	v_mov_b32_e32 v23, 0
	s_mov_b32 s76, exec_lo
	v_cmpx_ne_u32_e32 0, v0
	s_cbranch_execz .LBB6_2879
; %bb.2868:                             ;   in Loop: Header=BB6_2849 Depth=4
	v_and_b32_e32 v2, 0x7fffff, v0
	v_bfe_u32 v0, v0, 23, 8
	s_delay_alu instid0(VALU_DEP_2) | instskip(NEXT) | instid1(VALU_DEP_2)
	v_or_b32_e32 v15, 0x800000, v2
	v_cmp_gt_u32_e64 s13, 0x7a, v0
	v_sub_nc_u32_e32 v14, 0x79, v0
	v_cmp_eq_u32_e32 vcc_lo, 0, v0
	s_delay_alu instid0(VALU_DEP_2) | instskip(NEXT) | instid1(VALU_DEP_1)
	v_cndmask_b32_e64 v14, 0, v14, s13
	v_cndmask_b32_e64 v23, v14, 0x78, vcc_lo
	s_delay_alu instid0(VALU_DEP_1) | instskip(SKIP_1) | instid1(VALU_DEP_2)
	v_dual_cndmask_b32 v2, v15, v2, vcc_lo :: v_dual_add_nc_u32 v14, 20, v23
	v_add_nc_u32_e32 v16, 19, v23
	v_lshlrev_b64_e64 v[14:15], v14, -1
	s_delay_alu instid0(VALU_DEP_2) | instskip(NEXT) | instid1(VALU_DEP_2)
	v_lshlrev_b64_e64 v[16:17], v16, 1
	v_bfi_b32 v15, v15, 0, 0
	s_delay_alu instid0(VALU_DEP_3) | instskip(NEXT) | instid1(VALU_DEP_1)
	v_bfi_b32 v14, v14, 0, v2
	v_cmp_eq_u64_e64 s13, v[14:15], v[16:17]
	v_lshrrev_b64 v[14:15], v23, v[2:3]
	s_delay_alu instid0(VALU_DEP_1)
	v_mov_b64_e32 v[16:17], v[14:15]
	s_and_saveexec_b32 s77, s13
; %bb.2869:                             ;   in Loop: Header=BB6_2849 Depth=4
	v_bfe_u32 v2, v14, 20, 1
	s_delay_alu instid0(VALU_DEP_1) | instskip(NEXT) | instid1(VALU_DEP_1)
	v_add_nc_u64_e32 v[16:17], v[14:15], v[2:3]
	v_add_nc_u64_e32 v[16:17], -1, v[16:17]
; %bb.2870:                             ;   in Loop: Header=BB6_2849 Depth=4
	s_or_b32 exec_lo, exec_lo, s77
	v_add_nc_u32_e32 v0, 0xffffff81, v0
	v_lshrrev_b32_e32 v2, 23, v14
	s_mov_b32 s13, exec_lo
	s_delay_alu instid0(VALU_DEP_2) | instskip(NEXT) | instid1(VALU_DEP_1)
	v_cndmask_b32_e64 v0, v0, 0xffffff82, vcc_lo
	v_add3_u32 v17, v23, v0, v2
	v_and_b32_e32 v0, 0xfffff, v16
	s_delay_alu instid0(VALU_DEP_1) | instskip(NEXT) | instid1(VALU_DEP_1)
	v_dual_add_nc_u32 v16, 6, v17 :: v_dual_add_nc_u32 v2, v0, v14
                                        ; implicit-def: $vgpr14_vgpr15
                                        ; implicit-def: $vgpr0
	v_cmpx_ne_u32_e32 0, v16
	s_xor_b32 s13, exec_lo, s13
; %bb.2871:                             ;   in Loop: Header=BB6_2849 Depth=4
	s_delay_alu instid0(VALU_DEP_2) | instskip(SKIP_2) | instid1(VALU_DEP_2)
	v_cmp_lt_u64_e32 vcc_lo, 0xffffff, v[2:3]
	v_add_nc_u32_e32 v0, 7, v17
	v_cndmask_b32_e64 v14, 0, 1, vcc_lo
	v_cndmask_b32_e32 v0, v16, v0, vcc_lo
	s_delay_alu instid0(VALU_DEP_2)
	v_lshrrev_b64 v[14:15], v14, v[2:3]
; %bb.2872:                             ;   in Loop: Header=BB6_2849 Depth=4
	s_and_not1_saveexec_b32 s13, s13
; %bb.2873:                             ;   in Loop: Header=BB6_2849 Depth=4
	v_mov_b64_e32 v[14:15], v[2:3]
	v_bfe_u32 v0, v2, 23, 1
; %bb.2874:                             ;   in Loop: Header=BB6_2849 Depth=4
	s_or_b32 exec_lo, exec_lo, s13
	s_delay_alu instid0(VALU_DEP_2) | instskip(NEXT) | instid1(VALU_DEP_2)
	v_lshrrev_b64 v[14:15], 20, v[14:15]
	v_cmp_gt_i32_e32 vcc_lo, 16, v0
	v_cmp_ne_u32_e64 s13, 0, v0
                                        ; implicit-def: $vgpr23
	s_delay_alu instid0(VALU_DEP_3) | instskip(NEXT) | instid1(VALU_DEP_1)
	v_dual_cndmask_b32 v15, 0, v15 :: v_dual_cndmask_b32 v14, 7, v14
	v_cmp_ne_u64_e32 vcc_lo, 0, v[14:15]
	s_or_b32 s13, s13, vcc_lo
	s_delay_alu instid0(SALU_CYCLE_1) | instskip(NEXT) | instid1(SALU_CYCLE_1)
	s_and_saveexec_b32 s77, s13
	s_xor_b32 s13, exec_lo, s77
; %bb.2875:                             ;   in Loop: Header=BB6_2849 Depth=4
	v_min_i32_e32 v0, 15, v0
	s_delay_alu instid0(VALU_DEP_1) | instskip(NEXT) | instid1(VALU_DEP_1)
	v_lshl_or_b32 v0, v0, 3, v122
                                        ; implicit-def: $vgpr122
	v_and_or_b32 v23, v14, 7, v0
; %bb.2876:                             ;   in Loop: Header=BB6_2849 Depth=4
	s_and_not1_saveexec_b32 s13, s13
; %bb.2877:                             ;   in Loop: Header=BB6_2849 Depth=4
	v_mov_b32_e32 v23, v122
; %bb.2878:                             ;   in Loop: Header=BB6_2849 Depth=4
	s_or_b32 exec_lo, exec_lo, s13
.LBB6_2879:                             ;   in Loop: Header=BB6_2849 Depth=4
	s_delay_alu instid0(SALU_CYCLE_1)
	s_or_b32 exec_lo, exec_lo, s76
                                        ; implicit-def: $vgpr122
.LBB6_2880:                             ;   in Loop: Header=BB6_2849 Depth=4
	s_and_not1_saveexec_b32 s13, s75
; %bb.2881:                             ;   in Loop: Header=BB6_2849 Depth=4
	v_or_b32_e32 v23, 0x7e, v122
; %bb.2882:                             ;   in Loop: Header=BB6_2849 Depth=4
	s_or_b32 exec_lo, exec_lo, s13
                                        ; implicit-def: $vgpr14
.LBB6_2883:                             ;   in Loop: Header=BB6_2849 Depth=4
	s_and_not1_saveexec_b32 s13, s74
; %bb.2884:                             ;   in Loop: Header=BB6_2849 Depth=4
	v_or_b32_e32 v23, 0x7f, v14
; %bb.2885:                             ;   in Loop: Header=BB6_2849 Depth=4
	s_or_b32 exec_lo, exec_lo, s13
	v_and_b32_e32 v0, 0xff, v67
	v_dual_mov_b32 v14, 0 :: v_dual_mov_b32 v15, 0
	s_mov_b32 s13, exec_lo
	s_delay_alu instid0(VALU_DEP_2)
	v_cmpx_ne_u16_e32 0, v0
	s_cbranch_execz .LBB6_2893
; %bb.2886:                             ;   in Loop: Header=BB6_2849 Depth=4
	v_bfrev_b32_e32 v15, 1
	s_mov_b32 s74, exec_lo
	v_cmpx_ne_u16_e32 0x80, v0
	s_cbranch_execz .LBB6_2892
; %bb.2887:                             ;   in Loop: Header=BB6_2849 Depth=4
	v_and_b32_e32 v16, 0x7f, v67
	v_mov_b32_e32 v15, 0x7f800001
	s_mov_b32 s75, exec_lo
	s_delay_alu instid0(VALU_DEP_2)
	v_cmpx_ne_u32_e32 0x7f, v16
	s_cbranch_execz .LBB6_2891
; %bb.2888:                             ;   in Loop: Header=BB6_2849 Depth=4
	v_and_b32_e32 v2, 7, v0
	v_lshrrev_b32_e32 v0, 3, v16
	s_mov_b32 s76, exec_lo
	v_cmpx_gt_u32_e32 8, v16
; %bb.2889:                             ;   in Loop: Header=BB6_2849 Depth=4
	s_delay_alu instid0(VALU_DEP_3) | instskip(NEXT) | instid1(VALU_DEP_1)
	v_clz_i32_u32_e32 v0, v2
	v_min_u32_e32 v0, 32, v0
	s_delay_alu instid0(VALU_DEP_1) | instskip(SKIP_1) | instid1(VALU_DEP_2)
	v_subrev_nc_u32_e32 v15, 28, v0
	v_sub_nc_u32_e32 v0, 29, v0
	v_lshlrev_b64_e32 v[16:17], v15, v[2:3]
	s_delay_alu instid0(VALU_DEP_1)
	v_and_b32_e32 v2, 7, v16
; %bb.2890:                             ;   in Loop: Header=BB6_2849 Depth=4
	s_or_b32 exec_lo, exec_lo, s76
	s_delay_alu instid0(VALU_DEP_1) | instskip(SKIP_1) | instid1(VALU_DEP_2)
	v_dual_lshlrev_b32 v15, 24, v67 :: v_dual_lshlrev_b32 v2, 20, v2
	v_lshl_add_u32 v0, v0, 23, 0x3c000000
	v_and_b32_e32 v15, 0x80000000, v15
	s_delay_alu instid0(VALU_DEP_1)
	v_or3_b32 v15, v2, v15, v0
.LBB6_2891:                             ;   in Loop: Header=BB6_2849 Depth=4
	s_or_b32 exec_lo, exec_lo, s75
.LBB6_2892:                             ;   in Loop: Header=BB6_2849 Depth=4
	s_delay_alu instid0(SALU_CYCLE_1)
	s_or_b32 exec_lo, exec_lo, s74
.LBB6_2893:                             ;   in Loop: Header=BB6_2849 Depth=4
	s_delay_alu instid0(SALU_CYCLE_1) | instskip(SKIP_3) | instid1(VALU_DEP_1)
	s_or_b32 exec_lo, exec_lo, s13
	s_wait_loadcnt_dscnt 0x1e1e
	v_and_b32_e32 v0, 0xff, v26
	s_mov_b32 s13, exec_lo
	v_cmpx_ne_u16_e32 0, v0
	s_cbranch_execz .LBB6_2901
; %bb.2894:                             ;   in Loop: Header=BB6_2849 Depth=4
	v_bfrev_b32_e32 v14, 1
	s_mov_b32 s74, exec_lo
	v_cmpx_ne_u16_e32 0x80, v0
	s_cbranch_execz .LBB6_2900
; %bb.2895:                             ;   in Loop: Header=BB6_2849 Depth=4
	v_and_b32_e32 v16, 0x7f, v26
	v_mov_b32_e32 v14, 0x7f800001
	s_mov_b32 s75, exec_lo
	s_delay_alu instid0(VALU_DEP_2)
	v_cmpx_ne_u32_e32 0x7f, v16
	s_cbranch_execz .LBB6_2899
; %bb.2896:                             ;   in Loop: Header=BB6_2849 Depth=4
	v_and_b32_e32 v2, 7, v0
	v_lshrrev_b32_e32 v0, 3, v16
	s_mov_b32 s76, exec_lo
	v_cmpx_gt_u32_e32 8, v16
; %bb.2897:                             ;   in Loop: Header=BB6_2849 Depth=4
	s_delay_alu instid0(VALU_DEP_3) | instskip(NEXT) | instid1(VALU_DEP_1)
	v_clz_i32_u32_e32 v0, v2
	v_min_u32_e32 v0, 32, v0
	s_delay_alu instid0(VALU_DEP_1) | instskip(SKIP_1) | instid1(VALU_DEP_2)
	v_subrev_nc_u32_e32 v14, 28, v0
	v_sub_nc_u32_e32 v0, 29, v0
	v_lshlrev_b64_e32 v[16:17], v14, v[2:3]
	s_delay_alu instid0(VALU_DEP_1)
	v_and_b32_e32 v2, 7, v16
; %bb.2898:                             ;   in Loop: Header=BB6_2849 Depth=4
	s_or_b32 exec_lo, exec_lo, s76
	v_lshlrev_b32_e32 v14, 24, v26
	s_delay_alu instid0(VALU_DEP_2) | instskip(SKIP_1) | instid1(VALU_DEP_3)
	v_lshlrev_b32_e32 v2, 20, v2
	v_lshl_add_u32 v0, v0, 23, 0x3c000000
	v_and_b32_e32 v14, 0x80000000, v14
	s_delay_alu instid0(VALU_DEP_1)
	v_or3_b32 v14, v2, v14, v0
.LBB6_2899:                             ;   in Loop: Header=BB6_2849 Depth=4
	s_or_b32 exec_lo, exec_lo, s75
.LBB6_2900:                             ;   in Loop: Header=BB6_2849 Depth=4
	s_delay_alu instid0(SALU_CYCLE_1)
	s_or_b32 exec_lo, exec_lo, s74
.LBB6_2901:                             ;   in Loop: Header=BB6_2849 Depth=4
	s_delay_alu instid0(SALU_CYCLE_1) | instskip(NEXT) | instid1(VALU_DEP_1)
	s_or_b32 exec_lo, exec_lo, s13
	v_add_f32_e32 v0, v15, v14
                                        ; implicit-def: $vgpr26
	s_mov_b32 s13, exec_lo
	s_delay_alu instid0(VALU_DEP_1) | instskip(SKIP_1) | instid1(VALU_DEP_2)
	v_and_b32_e32 v2, 0x7f800000, v0
	v_lshrrev_b32_e32 v14, 24, v0
	v_cmpx_ne_u64_e32 0x7f800000, v[2:3]
	s_xor_b32 s74, exec_lo, s13
	s_cbranch_execz .LBB6_2919
; %bb.2902:                             ;   in Loop: Header=BB6_2849 Depth=4
	v_and_b32_e32 v2, 0x7fffffff, v0
	v_and_b32_e32 v67, 0x80, v14
                                        ; implicit-def: $vgpr26
	s_mov_b32 s13, exec_lo
	s_delay_alu instid0(VALU_DEP_2)
	v_cmpx_gt_u64_e32 0x43e00001, v[2:3]
	s_xor_b32 s75, exec_lo, s13
	s_cbranch_execz .LBB6_2916
; %bb.2903:                             ;   in Loop: Header=BB6_2849 Depth=4
	v_mov_b32_e32 v26, 0
	s_mov_b32 s76, exec_lo
	v_cmpx_ne_u32_e32 0, v0
	s_cbranch_execz .LBB6_2915
; %bb.2904:                             ;   in Loop: Header=BB6_2849 Depth=4
	v_and_b32_e32 v2, 0x7fffff, v0
	v_bfe_u32 v0, v0, 23, 8
	s_delay_alu instid0(VALU_DEP_2) | instskip(NEXT) | instid1(VALU_DEP_2)
	v_or_b32_e32 v15, 0x800000, v2
	v_cmp_gt_u32_e64 s13, 0x7a, v0
	v_sub_nc_u32_e32 v14, 0x79, v0
	v_cmp_eq_u32_e32 vcc_lo, 0, v0
	s_delay_alu instid0(VALU_DEP_2) | instskip(SKIP_1) | instid1(VALU_DEP_2)
	v_cndmask_b32_e64 v14, 0, v14, s13
	v_cndmask_b32_e32 v2, v15, v2, vcc_lo
	v_cndmask_b32_e64 v26, v14, 0x78, vcc_lo
	s_delay_alu instid0(VALU_DEP_1) | instskip(NEXT) | instid1(VALU_DEP_1)
	v_dual_add_nc_u32 v14, 20, v26 :: v_dual_add_nc_u32 v16, 19, v26
	v_lshlrev_b64_e64 v[14:15], v14, -1
	s_delay_alu instid0(VALU_DEP_2) | instskip(NEXT) | instid1(VALU_DEP_2)
	v_lshlrev_b64_e64 v[16:17], v16, 1
	v_bfi_b32 v15, v15, 0, 0
	s_delay_alu instid0(VALU_DEP_3) | instskip(NEXT) | instid1(VALU_DEP_1)
	v_bfi_b32 v14, v14, 0, v2
	v_cmp_eq_u64_e64 s13, v[14:15], v[16:17]
	v_lshrrev_b64 v[14:15], v26, v[2:3]
	s_delay_alu instid0(VALU_DEP_1)
	v_mov_b64_e32 v[16:17], v[14:15]
	s_and_saveexec_b32 s77, s13
; %bb.2905:                             ;   in Loop: Header=BB6_2849 Depth=4
	v_bfe_u32 v2, v14, 20, 1
	s_delay_alu instid0(VALU_DEP_1) | instskip(NEXT) | instid1(VALU_DEP_1)
	v_add_nc_u64_e32 v[16:17], v[14:15], v[2:3]
	v_add_nc_u64_e32 v[16:17], -1, v[16:17]
; %bb.2906:                             ;   in Loop: Header=BB6_2849 Depth=4
	s_or_b32 exec_lo, exec_lo, s77
	v_add_nc_u32_e32 v0, 0xffffff81, v0
	v_lshrrev_b32_e32 v2, 23, v14
	s_mov_b32 s13, exec_lo
	s_delay_alu instid0(VALU_DEP_2) | instskip(NEXT) | instid1(VALU_DEP_1)
	v_cndmask_b32_e64 v0, v0, 0xffffff82, vcc_lo
	v_add3_u32 v17, v26, v0, v2
	v_and_b32_e32 v0, 0xfffff, v16
	s_delay_alu instid0(VALU_DEP_1) | instskip(NEXT) | instid1(VALU_DEP_1)
	v_dual_add_nc_u32 v16, 6, v17 :: v_dual_add_nc_u32 v2, v0, v14
                                        ; implicit-def: $vgpr14_vgpr15
                                        ; implicit-def: $vgpr0
	v_cmpx_ne_u32_e32 0, v16
	s_xor_b32 s13, exec_lo, s13
; %bb.2907:                             ;   in Loop: Header=BB6_2849 Depth=4
	s_delay_alu instid0(VALU_DEP_2) | instskip(SKIP_2) | instid1(VALU_DEP_2)
	v_cmp_lt_u64_e32 vcc_lo, 0xffffff, v[2:3]
	v_add_nc_u32_e32 v0, 7, v17
	v_cndmask_b32_e64 v14, 0, 1, vcc_lo
	v_cndmask_b32_e32 v0, v16, v0, vcc_lo
	s_delay_alu instid0(VALU_DEP_2)
	v_lshrrev_b64 v[14:15], v14, v[2:3]
; %bb.2908:                             ;   in Loop: Header=BB6_2849 Depth=4
	s_and_not1_saveexec_b32 s13, s13
; %bb.2909:                             ;   in Loop: Header=BB6_2849 Depth=4
	v_mov_b64_e32 v[14:15], v[2:3]
	v_bfe_u32 v0, v2, 23, 1
; %bb.2910:                             ;   in Loop: Header=BB6_2849 Depth=4
	s_or_b32 exec_lo, exec_lo, s13
	s_delay_alu instid0(VALU_DEP_2) | instskip(NEXT) | instid1(VALU_DEP_2)
	v_lshrrev_b64 v[14:15], 20, v[14:15]
	v_cmp_gt_i32_e32 vcc_lo, 16, v0
	v_cmp_ne_u32_e64 s13, 0, v0
                                        ; implicit-def: $vgpr26
	s_delay_alu instid0(VALU_DEP_3) | instskip(NEXT) | instid1(VALU_DEP_1)
	v_dual_cndmask_b32 v15, 0, v15 :: v_dual_cndmask_b32 v14, 7, v14
	v_cmp_ne_u64_e32 vcc_lo, 0, v[14:15]
	s_or_b32 s13, s13, vcc_lo
	s_delay_alu instid0(SALU_CYCLE_1) | instskip(NEXT) | instid1(SALU_CYCLE_1)
	s_and_saveexec_b32 s77, s13
	s_xor_b32 s13, exec_lo, s77
; %bb.2911:                             ;   in Loop: Header=BB6_2849 Depth=4
	v_min_i32_e32 v0, 15, v0
	s_delay_alu instid0(VALU_DEP_1) | instskip(NEXT) | instid1(VALU_DEP_1)
	v_lshl_or_b32 v0, v0, 3, v67
                                        ; implicit-def: $vgpr67
	v_and_or_b32 v26, v14, 7, v0
; %bb.2912:                             ;   in Loop: Header=BB6_2849 Depth=4
	s_and_not1_saveexec_b32 s13, s13
; %bb.2913:                             ;   in Loop: Header=BB6_2849 Depth=4
	v_mov_b32_e32 v26, v67
; %bb.2914:                             ;   in Loop: Header=BB6_2849 Depth=4
	s_or_b32 exec_lo, exec_lo, s13
.LBB6_2915:                             ;   in Loop: Header=BB6_2849 Depth=4
	s_delay_alu instid0(SALU_CYCLE_1)
	s_or_b32 exec_lo, exec_lo, s76
                                        ; implicit-def: $vgpr67
.LBB6_2916:                             ;   in Loop: Header=BB6_2849 Depth=4
	s_and_not1_saveexec_b32 s13, s75
; %bb.2917:                             ;   in Loop: Header=BB6_2849 Depth=4
	v_or_b32_e32 v26, 0x7e, v67
; %bb.2918:                             ;   in Loop: Header=BB6_2849 Depth=4
	s_or_b32 exec_lo, exec_lo, s13
                                        ; implicit-def: $vgpr14
.LBB6_2919:                             ;   in Loop: Header=BB6_2849 Depth=4
	s_and_not1_saveexec_b32 s13, s74
; %bb.2920:                             ;   in Loop: Header=BB6_2849 Depth=4
	v_or_b32_e32 v26, 0x7f, v14
; %bb.2921:                             ;   in Loop: Header=BB6_2849 Depth=4
	s_or_b32 exec_lo, exec_lo, s13
	v_and_b32_e32 v0, 0xff, v66
	v_dual_mov_b32 v14, 0 :: v_dual_mov_b32 v15, 0
	s_mov_b32 s13, exec_lo
	s_delay_alu instid0(VALU_DEP_2)
	v_cmpx_ne_u16_e32 0, v0
	s_cbranch_execz .LBB6_2929
; %bb.2922:                             ;   in Loop: Header=BB6_2849 Depth=4
	v_bfrev_b32_e32 v15, 1
	s_mov_b32 s74, exec_lo
	v_cmpx_ne_u16_e32 0x80, v0
	s_cbranch_execz .LBB6_2928
; %bb.2923:                             ;   in Loop: Header=BB6_2849 Depth=4
	v_and_b32_e32 v16, 0x7f, v66
	v_mov_b32_e32 v15, 0x7f800001
	s_mov_b32 s75, exec_lo
	s_delay_alu instid0(VALU_DEP_2)
	v_cmpx_ne_u32_e32 0x7f, v16
	s_cbranch_execz .LBB6_2927
; %bb.2924:                             ;   in Loop: Header=BB6_2849 Depth=4
	v_and_b32_e32 v2, 7, v0
	v_lshrrev_b32_e32 v0, 3, v16
	s_mov_b32 s76, exec_lo
	v_cmpx_gt_u32_e32 8, v16
; %bb.2925:                             ;   in Loop: Header=BB6_2849 Depth=4
	s_delay_alu instid0(VALU_DEP_3) | instskip(NEXT) | instid1(VALU_DEP_1)
	v_clz_i32_u32_e32 v0, v2
	v_min_u32_e32 v0, 32, v0
	s_delay_alu instid0(VALU_DEP_1) | instskip(SKIP_1) | instid1(VALU_DEP_2)
	v_subrev_nc_u32_e32 v15, 28, v0
	v_sub_nc_u32_e32 v0, 29, v0
	v_lshlrev_b64_e32 v[16:17], v15, v[2:3]
	s_delay_alu instid0(VALU_DEP_1)
	v_and_b32_e32 v2, 7, v16
; %bb.2926:                             ;   in Loop: Header=BB6_2849 Depth=4
	s_or_b32 exec_lo, exec_lo, s76
	v_lshlrev_b32_e32 v15, 24, v66
	s_delay_alu instid0(VALU_DEP_2) | instskip(SKIP_1) | instid1(VALU_DEP_3)
	v_lshlrev_b32_e32 v2, 20, v2
	v_lshl_add_u32 v0, v0, 23, 0x3c000000
	v_and_b32_e32 v15, 0x80000000, v15
	s_delay_alu instid0(VALU_DEP_1)
	v_or3_b32 v15, v2, v15, v0
.LBB6_2927:                             ;   in Loop: Header=BB6_2849 Depth=4
	s_or_b32 exec_lo, exec_lo, s75
.LBB6_2928:                             ;   in Loop: Header=BB6_2849 Depth=4
	s_delay_alu instid0(SALU_CYCLE_1)
	s_or_b32 exec_lo, exec_lo, s74
.LBB6_2929:                             ;   in Loop: Header=BB6_2849 Depth=4
	s_delay_alu instid0(SALU_CYCLE_1) | instskip(SKIP_3) | instid1(VALU_DEP_1)
	s_or_b32 exec_lo, exec_lo, s13
	s_wait_loadcnt_dscnt 0x1d1d
	v_and_b32_e32 v0, 0xff, v29
	s_mov_b32 s13, exec_lo
	v_cmpx_ne_u16_e32 0, v0
	s_cbranch_execz .LBB6_2937
; %bb.2930:                             ;   in Loop: Header=BB6_2849 Depth=4
	v_bfrev_b32_e32 v14, 1
	s_mov_b32 s74, exec_lo
	v_cmpx_ne_u16_e32 0x80, v0
	s_cbranch_execz .LBB6_2936
; %bb.2931:                             ;   in Loop: Header=BB6_2849 Depth=4
	v_and_b32_e32 v16, 0x7f, v29
	v_mov_b32_e32 v14, 0x7f800001
	s_mov_b32 s75, exec_lo
	s_delay_alu instid0(VALU_DEP_2)
	v_cmpx_ne_u32_e32 0x7f, v16
	s_cbranch_execz .LBB6_2935
; %bb.2932:                             ;   in Loop: Header=BB6_2849 Depth=4
	v_and_b32_e32 v2, 7, v0
	v_lshrrev_b32_e32 v0, 3, v16
	s_mov_b32 s76, exec_lo
	v_cmpx_gt_u32_e32 8, v16
; %bb.2933:                             ;   in Loop: Header=BB6_2849 Depth=4
	s_delay_alu instid0(VALU_DEP_3) | instskip(NEXT) | instid1(VALU_DEP_1)
	v_clz_i32_u32_e32 v0, v2
	v_min_u32_e32 v0, 32, v0
	s_delay_alu instid0(VALU_DEP_1) | instskip(SKIP_1) | instid1(VALU_DEP_2)
	v_subrev_nc_u32_e32 v14, 28, v0
	v_sub_nc_u32_e32 v0, 29, v0
	v_lshlrev_b64_e32 v[16:17], v14, v[2:3]
	s_delay_alu instid0(VALU_DEP_1)
	v_and_b32_e32 v2, 7, v16
; %bb.2934:                             ;   in Loop: Header=BB6_2849 Depth=4
	s_or_b32 exec_lo, exec_lo, s76
	s_delay_alu instid0(VALU_DEP_1) | instskip(SKIP_1) | instid1(VALU_DEP_2)
	v_dual_lshlrev_b32 v14, 24, v29 :: v_dual_lshlrev_b32 v2, 20, v2
	v_lshl_add_u32 v0, v0, 23, 0x3c000000
	v_and_b32_e32 v14, 0x80000000, v14
	s_delay_alu instid0(VALU_DEP_1)
	v_or3_b32 v14, v2, v14, v0
.LBB6_2935:                             ;   in Loop: Header=BB6_2849 Depth=4
	s_or_b32 exec_lo, exec_lo, s75
.LBB6_2936:                             ;   in Loop: Header=BB6_2849 Depth=4
	s_delay_alu instid0(SALU_CYCLE_1)
	s_or_b32 exec_lo, exec_lo, s74
.LBB6_2937:                             ;   in Loop: Header=BB6_2849 Depth=4
	s_delay_alu instid0(SALU_CYCLE_1) | instskip(NEXT) | instid1(VALU_DEP_1)
	s_or_b32 exec_lo, exec_lo, s13
	v_add_f32_e32 v0, v15, v14
                                        ; implicit-def: $vgpr29
	s_mov_b32 s13, exec_lo
	s_delay_alu instid0(VALU_DEP_1) | instskip(SKIP_1) | instid1(VALU_DEP_2)
	v_and_b32_e32 v2, 0x7f800000, v0
	v_lshrrev_b32_e32 v14, 24, v0
	v_cmpx_ne_u64_e32 0x7f800000, v[2:3]
	s_xor_b32 s74, exec_lo, s13
	s_cbranch_execz .LBB6_2955
; %bb.2938:                             ;   in Loop: Header=BB6_2849 Depth=4
	v_and_b32_e32 v2, 0x7fffffff, v0
	v_and_b32_e32 v66, 0x80, v14
                                        ; implicit-def: $vgpr29
	s_mov_b32 s13, exec_lo
	s_delay_alu instid0(VALU_DEP_2)
	v_cmpx_gt_u64_e32 0x43e00001, v[2:3]
	s_xor_b32 s75, exec_lo, s13
	s_cbranch_execz .LBB6_2952
; %bb.2939:                             ;   in Loop: Header=BB6_2849 Depth=4
	v_mov_b32_e32 v29, 0
	s_mov_b32 s76, exec_lo
	v_cmpx_ne_u32_e32 0, v0
	s_cbranch_execz .LBB6_2951
; %bb.2940:                             ;   in Loop: Header=BB6_2849 Depth=4
	v_and_b32_e32 v2, 0x7fffff, v0
	v_bfe_u32 v0, v0, 23, 8
	s_delay_alu instid0(VALU_DEP_2) | instskip(NEXT) | instid1(VALU_DEP_2)
	v_or_b32_e32 v15, 0x800000, v2
	v_cmp_gt_u32_e64 s13, 0x7a, v0
	v_sub_nc_u32_e32 v14, 0x79, v0
	v_cmp_eq_u32_e32 vcc_lo, 0, v0
	s_delay_alu instid0(VALU_DEP_2) | instskip(NEXT) | instid1(VALU_DEP_1)
	v_cndmask_b32_e64 v14, 0, v14, s13
	v_cndmask_b32_e64 v29, v14, 0x78, vcc_lo
	s_delay_alu instid0(VALU_DEP_1) | instskip(SKIP_1) | instid1(VALU_DEP_2)
	v_dual_cndmask_b32 v2, v15, v2, vcc_lo :: v_dual_add_nc_u32 v14, 20, v29
	v_add_nc_u32_e32 v16, 19, v29
	v_lshlrev_b64_e64 v[14:15], v14, -1
	s_delay_alu instid0(VALU_DEP_2) | instskip(NEXT) | instid1(VALU_DEP_2)
	v_lshlrev_b64_e64 v[16:17], v16, 1
	v_bfi_b32 v15, v15, 0, 0
	s_delay_alu instid0(VALU_DEP_3) | instskip(NEXT) | instid1(VALU_DEP_1)
	v_bfi_b32 v14, v14, 0, v2
	v_cmp_eq_u64_e64 s13, v[14:15], v[16:17]
	v_lshrrev_b64 v[14:15], v29, v[2:3]
	s_delay_alu instid0(VALU_DEP_1)
	v_mov_b64_e32 v[16:17], v[14:15]
	s_and_saveexec_b32 s77, s13
; %bb.2941:                             ;   in Loop: Header=BB6_2849 Depth=4
	v_bfe_u32 v2, v14, 20, 1
	s_delay_alu instid0(VALU_DEP_1) | instskip(NEXT) | instid1(VALU_DEP_1)
	v_add_nc_u64_e32 v[16:17], v[14:15], v[2:3]
	v_add_nc_u64_e32 v[16:17], -1, v[16:17]
; %bb.2942:                             ;   in Loop: Header=BB6_2849 Depth=4
	s_or_b32 exec_lo, exec_lo, s77
	v_add_nc_u32_e32 v0, 0xffffff81, v0
	v_lshrrev_b32_e32 v2, 23, v14
	s_mov_b32 s13, exec_lo
	s_delay_alu instid0(VALU_DEP_2) | instskip(NEXT) | instid1(VALU_DEP_1)
	v_cndmask_b32_e64 v0, v0, 0xffffff82, vcc_lo
	v_add3_u32 v17, v29, v0, v2
	v_and_b32_e32 v0, 0xfffff, v16
	s_delay_alu instid0(VALU_DEP_1) | instskip(NEXT) | instid1(VALU_DEP_1)
	v_dual_add_nc_u32 v16, 6, v17 :: v_dual_add_nc_u32 v2, v0, v14
                                        ; implicit-def: $vgpr14_vgpr15
                                        ; implicit-def: $vgpr0
	v_cmpx_ne_u32_e32 0, v16
	s_xor_b32 s13, exec_lo, s13
; %bb.2943:                             ;   in Loop: Header=BB6_2849 Depth=4
	s_delay_alu instid0(VALU_DEP_2) | instskip(SKIP_2) | instid1(VALU_DEP_2)
	v_cmp_lt_u64_e32 vcc_lo, 0xffffff, v[2:3]
	v_add_nc_u32_e32 v0, 7, v17
	v_cndmask_b32_e64 v14, 0, 1, vcc_lo
	v_cndmask_b32_e32 v0, v16, v0, vcc_lo
	s_delay_alu instid0(VALU_DEP_2)
	v_lshrrev_b64 v[14:15], v14, v[2:3]
; %bb.2944:                             ;   in Loop: Header=BB6_2849 Depth=4
	s_and_not1_saveexec_b32 s13, s13
; %bb.2945:                             ;   in Loop: Header=BB6_2849 Depth=4
	v_mov_b64_e32 v[14:15], v[2:3]
	v_bfe_u32 v0, v2, 23, 1
; %bb.2946:                             ;   in Loop: Header=BB6_2849 Depth=4
	s_or_b32 exec_lo, exec_lo, s13
	s_delay_alu instid0(VALU_DEP_2) | instskip(NEXT) | instid1(VALU_DEP_2)
	v_lshrrev_b64 v[14:15], 20, v[14:15]
	v_cmp_gt_i32_e32 vcc_lo, 16, v0
	v_cmp_ne_u32_e64 s13, 0, v0
                                        ; implicit-def: $vgpr29
	s_delay_alu instid0(VALU_DEP_3) | instskip(NEXT) | instid1(VALU_DEP_1)
	v_dual_cndmask_b32 v15, 0, v15 :: v_dual_cndmask_b32 v14, 7, v14
	v_cmp_ne_u64_e32 vcc_lo, 0, v[14:15]
	s_or_b32 s13, s13, vcc_lo
	s_delay_alu instid0(SALU_CYCLE_1) | instskip(NEXT) | instid1(SALU_CYCLE_1)
	s_and_saveexec_b32 s77, s13
	s_xor_b32 s13, exec_lo, s77
; %bb.2947:                             ;   in Loop: Header=BB6_2849 Depth=4
	v_min_i32_e32 v0, 15, v0
	s_delay_alu instid0(VALU_DEP_1) | instskip(NEXT) | instid1(VALU_DEP_1)
	v_lshl_or_b32 v0, v0, 3, v66
                                        ; implicit-def: $vgpr66
	v_and_or_b32 v29, v14, 7, v0
; %bb.2948:                             ;   in Loop: Header=BB6_2849 Depth=4
	s_and_not1_saveexec_b32 s13, s13
; %bb.2949:                             ;   in Loop: Header=BB6_2849 Depth=4
	v_mov_b32_e32 v29, v66
; %bb.2950:                             ;   in Loop: Header=BB6_2849 Depth=4
	s_or_b32 exec_lo, exec_lo, s13
.LBB6_2951:                             ;   in Loop: Header=BB6_2849 Depth=4
	s_delay_alu instid0(SALU_CYCLE_1)
	s_or_b32 exec_lo, exec_lo, s76
                                        ; implicit-def: $vgpr66
.LBB6_2952:                             ;   in Loop: Header=BB6_2849 Depth=4
	s_and_not1_saveexec_b32 s13, s75
; %bb.2953:                             ;   in Loop: Header=BB6_2849 Depth=4
	v_or_b32_e32 v29, 0x7e, v66
; %bb.2954:                             ;   in Loop: Header=BB6_2849 Depth=4
	s_or_b32 exec_lo, exec_lo, s13
                                        ; implicit-def: $vgpr14
.LBB6_2955:                             ;   in Loop: Header=BB6_2849 Depth=4
	s_and_not1_saveexec_b32 s13, s74
; %bb.2956:                             ;   in Loop: Header=BB6_2849 Depth=4
	v_or_b32_e32 v29, 0x7f, v14
; %bb.2957:                             ;   in Loop: Header=BB6_2849 Depth=4
	s_or_b32 exec_lo, exec_lo, s13
	v_and_b32_e32 v0, 0xff, v43
	v_dual_mov_b32 v14, 0 :: v_dual_mov_b32 v15, 0
	s_mov_b32 s13, exec_lo
	s_delay_alu instid0(VALU_DEP_2)
	v_cmpx_ne_u16_e32 0, v0
	s_cbranch_execz .LBB6_2965
; %bb.2958:                             ;   in Loop: Header=BB6_2849 Depth=4
	v_bfrev_b32_e32 v15, 1
	s_mov_b32 s74, exec_lo
	v_cmpx_ne_u16_e32 0x80, v0
	s_cbranch_execz .LBB6_2964
; %bb.2959:                             ;   in Loop: Header=BB6_2849 Depth=4
	v_and_b32_e32 v16, 0x7f, v43
	v_mov_b32_e32 v15, 0x7f800001
	s_mov_b32 s75, exec_lo
	s_delay_alu instid0(VALU_DEP_2)
	v_cmpx_ne_u32_e32 0x7f, v16
	s_cbranch_execz .LBB6_2963
; %bb.2960:                             ;   in Loop: Header=BB6_2849 Depth=4
	v_and_b32_e32 v2, 7, v0
	v_lshrrev_b32_e32 v0, 3, v16
	s_mov_b32 s76, exec_lo
	v_cmpx_gt_u32_e32 8, v16
; %bb.2961:                             ;   in Loop: Header=BB6_2849 Depth=4
	s_delay_alu instid0(VALU_DEP_3) | instskip(NEXT) | instid1(VALU_DEP_1)
	v_clz_i32_u32_e32 v0, v2
	v_min_u32_e32 v0, 32, v0
	s_delay_alu instid0(VALU_DEP_1) | instskip(SKIP_1) | instid1(VALU_DEP_2)
	v_subrev_nc_u32_e32 v15, 28, v0
	v_sub_nc_u32_e32 v0, 29, v0
	v_lshlrev_b64_e32 v[16:17], v15, v[2:3]
	s_delay_alu instid0(VALU_DEP_1)
	v_and_b32_e32 v2, 7, v16
; %bb.2962:                             ;   in Loop: Header=BB6_2849 Depth=4
	s_or_b32 exec_lo, exec_lo, s76
	s_delay_alu instid0(VALU_DEP_1) | instskip(SKIP_1) | instid1(VALU_DEP_2)
	v_dual_lshlrev_b32 v15, 24, v43 :: v_dual_lshlrev_b32 v2, 20, v2
	v_lshl_add_u32 v0, v0, 23, 0x3c000000
	v_and_b32_e32 v15, 0x80000000, v15
	s_delay_alu instid0(VALU_DEP_1)
	v_or3_b32 v15, v2, v15, v0
.LBB6_2963:                             ;   in Loop: Header=BB6_2849 Depth=4
	s_or_b32 exec_lo, exec_lo, s75
.LBB6_2964:                             ;   in Loop: Header=BB6_2849 Depth=4
	s_delay_alu instid0(SALU_CYCLE_1)
	s_or_b32 exec_lo, exec_lo, s74
.LBB6_2965:                             ;   in Loop: Header=BB6_2849 Depth=4
	s_delay_alu instid0(SALU_CYCLE_1) | instskip(SKIP_3) | instid1(VALU_DEP_1)
	s_or_b32 exec_lo, exec_lo, s13
	s_wait_loadcnt_dscnt 0x1c1c
	v_and_b32_e32 v0, 0xff, v33
	s_mov_b32 s13, exec_lo
	v_cmpx_ne_u16_e32 0, v0
	s_cbranch_execz .LBB6_2973
; %bb.2966:                             ;   in Loop: Header=BB6_2849 Depth=4
	v_bfrev_b32_e32 v14, 1
	s_mov_b32 s74, exec_lo
	v_cmpx_ne_u16_e32 0x80, v0
	s_cbranch_execz .LBB6_2972
; %bb.2967:                             ;   in Loop: Header=BB6_2849 Depth=4
	v_and_b32_e32 v16, 0x7f, v33
	v_mov_b32_e32 v14, 0x7f800001
	s_mov_b32 s75, exec_lo
	s_delay_alu instid0(VALU_DEP_2)
	v_cmpx_ne_u32_e32 0x7f, v16
	s_cbranch_execz .LBB6_2971
; %bb.2968:                             ;   in Loop: Header=BB6_2849 Depth=4
	v_and_b32_e32 v2, 7, v0
	v_lshrrev_b32_e32 v0, 3, v16
	s_mov_b32 s76, exec_lo
	v_cmpx_gt_u32_e32 8, v16
; %bb.2969:                             ;   in Loop: Header=BB6_2849 Depth=4
	s_delay_alu instid0(VALU_DEP_3) | instskip(NEXT) | instid1(VALU_DEP_1)
	v_clz_i32_u32_e32 v0, v2
	v_min_u32_e32 v0, 32, v0
	s_delay_alu instid0(VALU_DEP_1) | instskip(SKIP_1) | instid1(VALU_DEP_2)
	v_subrev_nc_u32_e32 v14, 28, v0
	v_sub_nc_u32_e32 v0, 29, v0
	v_lshlrev_b64_e32 v[16:17], v14, v[2:3]
	s_delay_alu instid0(VALU_DEP_1)
	v_and_b32_e32 v2, 7, v16
; %bb.2970:                             ;   in Loop: Header=BB6_2849 Depth=4
	s_or_b32 exec_lo, exec_lo, s76
	s_delay_alu instid0(VALU_DEP_1) | instskip(SKIP_1) | instid1(VALU_DEP_2)
	v_dual_lshlrev_b32 v14, 24, v33 :: v_dual_lshlrev_b32 v2, 20, v2
	v_lshl_add_u32 v0, v0, 23, 0x3c000000
	v_and_b32_e32 v14, 0x80000000, v14
	s_delay_alu instid0(VALU_DEP_1)
	v_or3_b32 v14, v2, v14, v0
.LBB6_2971:                             ;   in Loop: Header=BB6_2849 Depth=4
	s_or_b32 exec_lo, exec_lo, s75
.LBB6_2972:                             ;   in Loop: Header=BB6_2849 Depth=4
	s_delay_alu instid0(SALU_CYCLE_1)
	s_or_b32 exec_lo, exec_lo, s74
.LBB6_2973:                             ;   in Loop: Header=BB6_2849 Depth=4
	s_delay_alu instid0(SALU_CYCLE_1) | instskip(NEXT) | instid1(VALU_DEP_1)
	s_or_b32 exec_lo, exec_lo, s13
	v_add_f32_e32 v0, v15, v14
                                        ; implicit-def: $vgpr33
	s_mov_b32 s13, exec_lo
	s_delay_alu instid0(VALU_DEP_1) | instskip(SKIP_1) | instid1(VALU_DEP_2)
	v_and_b32_e32 v2, 0x7f800000, v0
	v_lshrrev_b32_e32 v14, 24, v0
	v_cmpx_ne_u64_e32 0x7f800000, v[2:3]
	s_xor_b32 s74, exec_lo, s13
	s_cbranch_execz .LBB6_2991
; %bb.2974:                             ;   in Loop: Header=BB6_2849 Depth=4
	v_and_b32_e32 v2, 0x7fffffff, v0
	v_and_b32_e32 v66, 0x80, v14
                                        ; implicit-def: $vgpr33
	s_mov_b32 s13, exec_lo
	s_delay_alu instid0(VALU_DEP_2)
	v_cmpx_gt_u64_e32 0x43e00001, v[2:3]
	s_xor_b32 s75, exec_lo, s13
	s_cbranch_execz .LBB6_2988
; %bb.2975:                             ;   in Loop: Header=BB6_2849 Depth=4
	v_mov_b32_e32 v33, 0
	s_mov_b32 s76, exec_lo
	v_cmpx_ne_u32_e32 0, v0
	s_cbranch_execz .LBB6_2987
; %bb.2976:                             ;   in Loop: Header=BB6_2849 Depth=4
	v_and_b32_e32 v2, 0x7fffff, v0
	v_bfe_u32 v0, v0, 23, 8
	s_delay_alu instid0(VALU_DEP_2) | instskip(NEXT) | instid1(VALU_DEP_2)
	v_or_b32_e32 v15, 0x800000, v2
	v_cmp_gt_u32_e64 s13, 0x7a, v0
	v_sub_nc_u32_e32 v14, 0x79, v0
	v_cmp_eq_u32_e32 vcc_lo, 0, v0
	s_delay_alu instid0(VALU_DEP_2) | instskip(NEXT) | instid1(VALU_DEP_1)
	v_cndmask_b32_e64 v14, 0, v14, s13
	v_cndmask_b32_e64 v33, v14, 0x78, vcc_lo
	s_delay_alu instid0(VALU_DEP_1) | instskip(SKIP_1) | instid1(VALU_DEP_2)
	v_dual_cndmask_b32 v2, v15, v2, vcc_lo :: v_dual_add_nc_u32 v14, 20, v33
	v_add_nc_u32_e32 v16, 19, v33
	v_lshlrev_b64_e64 v[14:15], v14, -1
	s_delay_alu instid0(VALU_DEP_2) | instskip(NEXT) | instid1(VALU_DEP_2)
	v_lshlrev_b64_e64 v[16:17], v16, 1
	v_bfi_b32 v15, v15, 0, 0
	s_delay_alu instid0(VALU_DEP_3) | instskip(NEXT) | instid1(VALU_DEP_1)
	v_bfi_b32 v14, v14, 0, v2
	v_cmp_eq_u64_e64 s13, v[14:15], v[16:17]
	v_lshrrev_b64 v[14:15], v33, v[2:3]
	s_delay_alu instid0(VALU_DEP_1)
	v_mov_b64_e32 v[16:17], v[14:15]
	s_and_saveexec_b32 s77, s13
; %bb.2977:                             ;   in Loop: Header=BB6_2849 Depth=4
	v_bfe_u32 v2, v14, 20, 1
	s_delay_alu instid0(VALU_DEP_1) | instskip(NEXT) | instid1(VALU_DEP_1)
	v_add_nc_u64_e32 v[16:17], v[14:15], v[2:3]
	v_add_nc_u64_e32 v[16:17], -1, v[16:17]
; %bb.2978:                             ;   in Loop: Header=BB6_2849 Depth=4
	s_or_b32 exec_lo, exec_lo, s77
	v_add_nc_u32_e32 v0, 0xffffff81, v0
	v_lshrrev_b32_e32 v2, 23, v14
	s_mov_b32 s13, exec_lo
	s_delay_alu instid0(VALU_DEP_2) | instskip(NEXT) | instid1(VALU_DEP_1)
	v_cndmask_b32_e64 v0, v0, 0xffffff82, vcc_lo
	v_add3_u32 v17, v33, v0, v2
	v_and_b32_e32 v0, 0xfffff, v16
	s_delay_alu instid0(VALU_DEP_1) | instskip(NEXT) | instid1(VALU_DEP_1)
	v_dual_add_nc_u32 v16, 6, v17 :: v_dual_add_nc_u32 v2, v0, v14
                                        ; implicit-def: $vgpr14_vgpr15
                                        ; implicit-def: $vgpr0
	v_cmpx_ne_u32_e32 0, v16
	s_xor_b32 s13, exec_lo, s13
; %bb.2979:                             ;   in Loop: Header=BB6_2849 Depth=4
	s_delay_alu instid0(VALU_DEP_2) | instskip(SKIP_2) | instid1(VALU_DEP_2)
	v_cmp_lt_u64_e32 vcc_lo, 0xffffff, v[2:3]
	v_add_nc_u32_e32 v0, 7, v17
	v_cndmask_b32_e64 v14, 0, 1, vcc_lo
	v_cndmask_b32_e32 v0, v16, v0, vcc_lo
	s_delay_alu instid0(VALU_DEP_2)
	v_lshrrev_b64 v[14:15], v14, v[2:3]
; %bb.2980:                             ;   in Loop: Header=BB6_2849 Depth=4
	s_and_not1_saveexec_b32 s13, s13
; %bb.2981:                             ;   in Loop: Header=BB6_2849 Depth=4
	v_mov_b64_e32 v[14:15], v[2:3]
	v_bfe_u32 v0, v2, 23, 1
; %bb.2982:                             ;   in Loop: Header=BB6_2849 Depth=4
	s_or_b32 exec_lo, exec_lo, s13
	s_delay_alu instid0(VALU_DEP_2) | instskip(NEXT) | instid1(VALU_DEP_2)
	v_lshrrev_b64 v[14:15], 20, v[14:15]
	v_cmp_gt_i32_e32 vcc_lo, 16, v0
	v_cmp_ne_u32_e64 s13, 0, v0
                                        ; implicit-def: $vgpr33
	s_delay_alu instid0(VALU_DEP_3) | instskip(NEXT) | instid1(VALU_DEP_1)
	v_dual_cndmask_b32 v15, 0, v15 :: v_dual_cndmask_b32 v14, 7, v14
	v_cmp_ne_u64_e32 vcc_lo, 0, v[14:15]
	s_or_b32 s13, s13, vcc_lo
	s_delay_alu instid0(SALU_CYCLE_1) | instskip(NEXT) | instid1(SALU_CYCLE_1)
	s_and_saveexec_b32 s77, s13
	s_xor_b32 s13, exec_lo, s77
; %bb.2983:                             ;   in Loop: Header=BB6_2849 Depth=4
	v_min_i32_e32 v0, 15, v0
	s_delay_alu instid0(VALU_DEP_1) | instskip(NEXT) | instid1(VALU_DEP_1)
	v_lshl_or_b32 v0, v0, 3, v66
                                        ; implicit-def: $vgpr66
	v_and_or_b32 v33, v14, 7, v0
; %bb.2984:                             ;   in Loop: Header=BB6_2849 Depth=4
	s_and_not1_saveexec_b32 s13, s13
; %bb.2985:                             ;   in Loop: Header=BB6_2849 Depth=4
	v_mov_b32_e32 v33, v66
; %bb.2986:                             ;   in Loop: Header=BB6_2849 Depth=4
	s_or_b32 exec_lo, exec_lo, s13
.LBB6_2987:                             ;   in Loop: Header=BB6_2849 Depth=4
	s_delay_alu instid0(SALU_CYCLE_1)
	s_or_b32 exec_lo, exec_lo, s76
                                        ; implicit-def: $vgpr66
.LBB6_2988:                             ;   in Loop: Header=BB6_2849 Depth=4
	s_and_not1_saveexec_b32 s13, s75
; %bb.2989:                             ;   in Loop: Header=BB6_2849 Depth=4
	v_or_b32_e32 v33, 0x7e, v66
; %bb.2990:                             ;   in Loop: Header=BB6_2849 Depth=4
	s_or_b32 exec_lo, exec_lo, s13
                                        ; implicit-def: $vgpr14
.LBB6_2991:                             ;   in Loop: Header=BB6_2849 Depth=4
	s_and_not1_saveexec_b32 s13, s74
; %bb.2992:                             ;   in Loop: Header=BB6_2849 Depth=4
	v_or_b32_e32 v33, 0x7f, v14
; %bb.2993:                             ;   in Loop: Header=BB6_2849 Depth=4
	s_or_b32 exec_lo, exec_lo, s13
	v_and_b32_e32 v0, 0xff, v42
	v_dual_mov_b32 v14, 0 :: v_dual_mov_b32 v15, 0
	s_mov_b32 s13, exec_lo
	s_delay_alu instid0(VALU_DEP_2)
	v_cmpx_ne_u16_e32 0, v0
	s_cbranch_execz .LBB6_3001
; %bb.2994:                             ;   in Loop: Header=BB6_2849 Depth=4
	v_bfrev_b32_e32 v15, 1
	s_mov_b32 s74, exec_lo
	v_cmpx_ne_u16_e32 0x80, v0
	s_cbranch_execz .LBB6_3000
; %bb.2995:                             ;   in Loop: Header=BB6_2849 Depth=4
	v_and_b32_e32 v16, 0x7f, v42
	v_mov_b32_e32 v15, 0x7f800001
	s_mov_b32 s75, exec_lo
	s_delay_alu instid0(VALU_DEP_2)
	v_cmpx_ne_u32_e32 0x7f, v16
	s_cbranch_execz .LBB6_2999
; %bb.2996:                             ;   in Loop: Header=BB6_2849 Depth=4
	v_and_b32_e32 v2, 7, v0
	v_lshrrev_b32_e32 v0, 3, v16
	s_mov_b32 s76, exec_lo
	v_cmpx_gt_u32_e32 8, v16
; %bb.2997:                             ;   in Loop: Header=BB6_2849 Depth=4
	s_delay_alu instid0(VALU_DEP_3) | instskip(NEXT) | instid1(VALU_DEP_1)
	v_clz_i32_u32_e32 v0, v2
	v_min_u32_e32 v0, 32, v0
	s_delay_alu instid0(VALU_DEP_1) | instskip(SKIP_1) | instid1(VALU_DEP_2)
	v_subrev_nc_u32_e32 v15, 28, v0
	v_sub_nc_u32_e32 v0, 29, v0
	v_lshlrev_b64_e32 v[16:17], v15, v[2:3]
	s_delay_alu instid0(VALU_DEP_1)
	v_and_b32_e32 v2, 7, v16
; %bb.2998:                             ;   in Loop: Header=BB6_2849 Depth=4
	s_or_b32 exec_lo, exec_lo, s76
	v_lshlrev_b32_e32 v15, 24, v42
	s_delay_alu instid0(VALU_DEP_2) | instskip(SKIP_1) | instid1(VALU_DEP_3)
	v_lshlrev_b32_e32 v2, 20, v2
	v_lshl_add_u32 v0, v0, 23, 0x3c000000
	v_and_b32_e32 v15, 0x80000000, v15
	s_delay_alu instid0(VALU_DEP_1)
	v_or3_b32 v15, v2, v15, v0
.LBB6_2999:                             ;   in Loop: Header=BB6_2849 Depth=4
	s_or_b32 exec_lo, exec_lo, s75
.LBB6_3000:                             ;   in Loop: Header=BB6_2849 Depth=4
	s_delay_alu instid0(SALU_CYCLE_1)
	s_or_b32 exec_lo, exec_lo, s74
.LBB6_3001:                             ;   in Loop: Header=BB6_2849 Depth=4
	s_delay_alu instid0(SALU_CYCLE_1) | instskip(SKIP_3) | instid1(VALU_DEP_1)
	s_or_b32 exec_lo, exec_lo, s13
	s_wait_loadcnt_dscnt 0x1b1b
	v_and_b32_e32 v0, 0xff, v36
	s_mov_b32 s13, exec_lo
	v_cmpx_ne_u16_e32 0, v0
	s_cbranch_execz .LBB6_3009
; %bb.3002:                             ;   in Loop: Header=BB6_2849 Depth=4
	v_bfrev_b32_e32 v14, 1
	s_mov_b32 s74, exec_lo
	v_cmpx_ne_u16_e32 0x80, v0
	s_cbranch_execz .LBB6_3008
; %bb.3003:                             ;   in Loop: Header=BB6_2849 Depth=4
	v_and_b32_e32 v16, 0x7f, v36
	v_mov_b32_e32 v14, 0x7f800001
	s_mov_b32 s75, exec_lo
	s_delay_alu instid0(VALU_DEP_2)
	v_cmpx_ne_u32_e32 0x7f, v16
	s_cbranch_execz .LBB6_3007
; %bb.3004:                             ;   in Loop: Header=BB6_2849 Depth=4
	v_and_b32_e32 v2, 7, v0
	v_lshrrev_b32_e32 v0, 3, v16
	s_mov_b32 s76, exec_lo
	v_cmpx_gt_u32_e32 8, v16
; %bb.3005:                             ;   in Loop: Header=BB6_2849 Depth=4
	s_delay_alu instid0(VALU_DEP_3) | instskip(NEXT) | instid1(VALU_DEP_1)
	v_clz_i32_u32_e32 v0, v2
	v_min_u32_e32 v0, 32, v0
	s_delay_alu instid0(VALU_DEP_1) | instskip(SKIP_1) | instid1(VALU_DEP_2)
	v_subrev_nc_u32_e32 v14, 28, v0
	v_sub_nc_u32_e32 v0, 29, v0
	v_lshlrev_b64_e32 v[16:17], v14, v[2:3]
	s_delay_alu instid0(VALU_DEP_1)
	v_and_b32_e32 v2, 7, v16
; %bb.3006:                             ;   in Loop: Header=BB6_2849 Depth=4
	s_or_b32 exec_lo, exec_lo, s76
	s_delay_alu instid0(VALU_DEP_1) | instskip(SKIP_1) | instid1(VALU_DEP_2)
	v_dual_lshlrev_b32 v14, 24, v36 :: v_dual_lshlrev_b32 v2, 20, v2
	v_lshl_add_u32 v0, v0, 23, 0x3c000000
	v_and_b32_e32 v14, 0x80000000, v14
	s_delay_alu instid0(VALU_DEP_1)
	v_or3_b32 v14, v2, v14, v0
.LBB6_3007:                             ;   in Loop: Header=BB6_2849 Depth=4
	s_or_b32 exec_lo, exec_lo, s75
.LBB6_3008:                             ;   in Loop: Header=BB6_2849 Depth=4
	s_delay_alu instid0(SALU_CYCLE_1)
	s_or_b32 exec_lo, exec_lo, s74
.LBB6_3009:                             ;   in Loop: Header=BB6_2849 Depth=4
	s_delay_alu instid0(SALU_CYCLE_1) | instskip(NEXT) | instid1(VALU_DEP_1)
	s_or_b32 exec_lo, exec_lo, s13
	v_add_f32_e32 v0, v15, v14
                                        ; implicit-def: $vgpr36
	s_mov_b32 s13, exec_lo
	s_delay_alu instid0(VALU_DEP_1) | instskip(SKIP_1) | instid1(VALU_DEP_2)
	v_and_b32_e32 v2, 0x7f800000, v0
	v_lshrrev_b32_e32 v14, 24, v0
	v_cmpx_ne_u64_e32 0x7f800000, v[2:3]
	s_xor_b32 s74, exec_lo, s13
	s_cbranch_execz .LBB6_3027
; %bb.3010:                             ;   in Loop: Header=BB6_2849 Depth=4
	v_and_b32_e32 v2, 0x7fffffff, v0
	v_and_b32_e32 v66, 0x80, v14
                                        ; implicit-def: $vgpr36
	s_mov_b32 s13, exec_lo
	s_delay_alu instid0(VALU_DEP_2)
	v_cmpx_gt_u64_e32 0x43e00001, v[2:3]
	s_xor_b32 s75, exec_lo, s13
	s_cbranch_execz .LBB6_3024
; %bb.3011:                             ;   in Loop: Header=BB6_2849 Depth=4
	v_mov_b32_e32 v36, 0
	s_mov_b32 s76, exec_lo
	v_cmpx_ne_u32_e32 0, v0
	s_cbranch_execz .LBB6_3023
; %bb.3012:                             ;   in Loop: Header=BB6_2849 Depth=4
	v_and_b32_e32 v2, 0x7fffff, v0
	v_bfe_u32 v0, v0, 23, 8
	s_delay_alu instid0(VALU_DEP_2) | instskip(NEXT) | instid1(VALU_DEP_2)
	v_or_b32_e32 v15, 0x800000, v2
	v_cmp_gt_u32_e64 s13, 0x7a, v0
	v_sub_nc_u32_e32 v14, 0x79, v0
	v_cmp_eq_u32_e32 vcc_lo, 0, v0
	s_delay_alu instid0(VALU_DEP_2) | instskip(NEXT) | instid1(VALU_DEP_1)
	v_cndmask_b32_e64 v14, 0, v14, s13
	v_cndmask_b32_e64 v36, v14, 0x78, vcc_lo
	s_delay_alu instid0(VALU_DEP_1) | instskip(SKIP_1) | instid1(VALU_DEP_2)
	v_dual_cndmask_b32 v2, v15, v2, vcc_lo :: v_dual_add_nc_u32 v14, 20, v36
	v_add_nc_u32_e32 v16, 19, v36
	v_lshlrev_b64_e64 v[14:15], v14, -1
	s_delay_alu instid0(VALU_DEP_2) | instskip(NEXT) | instid1(VALU_DEP_2)
	v_lshlrev_b64_e64 v[16:17], v16, 1
	v_bfi_b32 v15, v15, 0, 0
	s_delay_alu instid0(VALU_DEP_3) | instskip(NEXT) | instid1(VALU_DEP_1)
	v_bfi_b32 v14, v14, 0, v2
	v_cmp_eq_u64_e64 s13, v[14:15], v[16:17]
	v_lshrrev_b64 v[14:15], v36, v[2:3]
	s_delay_alu instid0(VALU_DEP_1)
	v_mov_b64_e32 v[16:17], v[14:15]
	s_and_saveexec_b32 s77, s13
; %bb.3013:                             ;   in Loop: Header=BB6_2849 Depth=4
	v_bfe_u32 v2, v14, 20, 1
	s_delay_alu instid0(VALU_DEP_1) | instskip(NEXT) | instid1(VALU_DEP_1)
	v_add_nc_u64_e32 v[16:17], v[14:15], v[2:3]
	v_add_nc_u64_e32 v[16:17], -1, v[16:17]
; %bb.3014:                             ;   in Loop: Header=BB6_2849 Depth=4
	s_or_b32 exec_lo, exec_lo, s77
	v_add_nc_u32_e32 v0, 0xffffff81, v0
	v_lshrrev_b32_e32 v2, 23, v14
	s_mov_b32 s13, exec_lo
	s_delay_alu instid0(VALU_DEP_2) | instskip(NEXT) | instid1(VALU_DEP_1)
	v_cndmask_b32_e64 v0, v0, 0xffffff82, vcc_lo
	v_add3_u32 v17, v36, v0, v2
	v_and_b32_e32 v0, 0xfffff, v16
	s_delay_alu instid0(VALU_DEP_1) | instskip(NEXT) | instid1(VALU_DEP_1)
	v_dual_add_nc_u32 v16, 6, v17 :: v_dual_add_nc_u32 v2, v0, v14
                                        ; implicit-def: $vgpr14_vgpr15
                                        ; implicit-def: $vgpr0
	v_cmpx_ne_u32_e32 0, v16
	s_xor_b32 s13, exec_lo, s13
; %bb.3015:                             ;   in Loop: Header=BB6_2849 Depth=4
	s_delay_alu instid0(VALU_DEP_2) | instskip(SKIP_2) | instid1(VALU_DEP_2)
	v_cmp_lt_u64_e32 vcc_lo, 0xffffff, v[2:3]
	v_add_nc_u32_e32 v0, 7, v17
	v_cndmask_b32_e64 v14, 0, 1, vcc_lo
	v_cndmask_b32_e32 v0, v16, v0, vcc_lo
	s_delay_alu instid0(VALU_DEP_2)
	v_lshrrev_b64 v[14:15], v14, v[2:3]
; %bb.3016:                             ;   in Loop: Header=BB6_2849 Depth=4
	s_and_not1_saveexec_b32 s13, s13
; %bb.3017:                             ;   in Loop: Header=BB6_2849 Depth=4
	v_mov_b64_e32 v[14:15], v[2:3]
	v_bfe_u32 v0, v2, 23, 1
; %bb.3018:                             ;   in Loop: Header=BB6_2849 Depth=4
	s_or_b32 exec_lo, exec_lo, s13
	s_delay_alu instid0(VALU_DEP_2) | instskip(NEXT) | instid1(VALU_DEP_2)
	v_lshrrev_b64 v[14:15], 20, v[14:15]
	v_cmp_gt_i32_e32 vcc_lo, 16, v0
	v_cmp_ne_u32_e64 s13, 0, v0
                                        ; implicit-def: $vgpr36
	s_delay_alu instid0(VALU_DEP_3) | instskip(NEXT) | instid1(VALU_DEP_1)
	v_dual_cndmask_b32 v15, 0, v15 :: v_dual_cndmask_b32 v14, 7, v14
	v_cmp_ne_u64_e32 vcc_lo, 0, v[14:15]
	s_or_b32 s13, s13, vcc_lo
	s_delay_alu instid0(SALU_CYCLE_1) | instskip(NEXT) | instid1(SALU_CYCLE_1)
	s_and_saveexec_b32 s77, s13
	s_xor_b32 s13, exec_lo, s77
; %bb.3019:                             ;   in Loop: Header=BB6_2849 Depth=4
	v_min_i32_e32 v0, 15, v0
	s_delay_alu instid0(VALU_DEP_1) | instskip(NEXT) | instid1(VALU_DEP_1)
	v_lshl_or_b32 v0, v0, 3, v66
                                        ; implicit-def: $vgpr66
	v_and_or_b32 v36, v14, 7, v0
; %bb.3020:                             ;   in Loop: Header=BB6_2849 Depth=4
	s_and_not1_saveexec_b32 s13, s13
; %bb.3021:                             ;   in Loop: Header=BB6_2849 Depth=4
	v_mov_b32_e32 v36, v66
; %bb.3022:                             ;   in Loop: Header=BB6_2849 Depth=4
	s_or_b32 exec_lo, exec_lo, s13
.LBB6_3023:                             ;   in Loop: Header=BB6_2849 Depth=4
	s_delay_alu instid0(SALU_CYCLE_1)
	s_or_b32 exec_lo, exec_lo, s76
                                        ; implicit-def: $vgpr66
.LBB6_3024:                             ;   in Loop: Header=BB6_2849 Depth=4
	s_and_not1_saveexec_b32 s13, s75
; %bb.3025:                             ;   in Loop: Header=BB6_2849 Depth=4
	v_or_b32_e32 v36, 0x7e, v66
; %bb.3026:                             ;   in Loop: Header=BB6_2849 Depth=4
	s_or_b32 exec_lo, exec_lo, s13
                                        ; implicit-def: $vgpr14
.LBB6_3027:                             ;   in Loop: Header=BB6_2849 Depth=4
	s_and_not1_saveexec_b32 s13, s74
; %bb.3028:                             ;   in Loop: Header=BB6_2849 Depth=4
	v_or_b32_e32 v36, 0x7f, v14
; %bb.3029:                             ;   in Loop: Header=BB6_2849 Depth=4
	s_or_b32 exec_lo, exec_lo, s13
	v_and_b32_e32 v0, 0xff, v121
	v_dual_mov_b32 v14, 0 :: v_dual_mov_b32 v15, 0
	s_mov_b32 s13, exec_lo
	s_delay_alu instid0(VALU_DEP_2)
	v_cmpx_ne_u16_e32 0, v0
	s_cbranch_execz .LBB6_3037
; %bb.3030:                             ;   in Loop: Header=BB6_2849 Depth=4
	v_bfrev_b32_e32 v15, 1
	s_mov_b32 s74, exec_lo
	v_cmpx_ne_u16_e32 0x80, v0
	s_cbranch_execz .LBB6_3036
; %bb.3031:                             ;   in Loop: Header=BB6_2849 Depth=4
	v_and_b32_e32 v16, 0x7f, v121
	v_mov_b32_e32 v15, 0x7f800001
	s_mov_b32 s75, exec_lo
	s_delay_alu instid0(VALU_DEP_2)
	v_cmpx_ne_u32_e32 0x7f, v16
	s_cbranch_execz .LBB6_3035
; %bb.3032:                             ;   in Loop: Header=BB6_2849 Depth=4
	v_and_b32_e32 v2, 7, v0
	v_lshrrev_b32_e32 v0, 3, v16
	s_mov_b32 s76, exec_lo
	v_cmpx_gt_u32_e32 8, v16
; %bb.3033:                             ;   in Loop: Header=BB6_2849 Depth=4
	s_delay_alu instid0(VALU_DEP_3) | instskip(NEXT) | instid1(VALU_DEP_1)
	v_clz_i32_u32_e32 v0, v2
	v_min_u32_e32 v0, 32, v0
	s_delay_alu instid0(VALU_DEP_1) | instskip(SKIP_1) | instid1(VALU_DEP_2)
	v_subrev_nc_u32_e32 v15, 28, v0
	v_sub_nc_u32_e32 v0, 29, v0
	v_lshlrev_b64_e32 v[16:17], v15, v[2:3]
	s_delay_alu instid0(VALU_DEP_1)
	v_and_b32_e32 v2, 7, v16
; %bb.3034:                             ;   in Loop: Header=BB6_2849 Depth=4
	s_or_b32 exec_lo, exec_lo, s76
	s_delay_alu instid0(VALU_DEP_1) | instskip(SKIP_1) | instid1(VALU_DEP_2)
	v_dual_lshlrev_b32 v15, 24, v121 :: v_dual_lshlrev_b32 v2, 20, v2
	v_lshl_add_u32 v0, v0, 23, 0x3c000000
	v_and_b32_e32 v15, 0x80000000, v15
	s_delay_alu instid0(VALU_DEP_1)
	v_or3_b32 v15, v2, v15, v0
.LBB6_3035:                             ;   in Loop: Header=BB6_2849 Depth=4
	s_or_b32 exec_lo, exec_lo, s75
.LBB6_3036:                             ;   in Loop: Header=BB6_2849 Depth=4
	s_delay_alu instid0(SALU_CYCLE_1)
	s_or_b32 exec_lo, exec_lo, s74
.LBB6_3037:                             ;   in Loop: Header=BB6_2849 Depth=4
	s_delay_alu instid0(SALU_CYCLE_1) | instskip(SKIP_3) | instid1(VALU_DEP_1)
	s_or_b32 exec_lo, exec_lo, s13
	s_wait_loadcnt_dscnt 0x1a1a
	v_and_b32_e32 v0, 0xff, v39
	s_mov_b32 s13, exec_lo
	v_cmpx_ne_u16_e32 0, v0
	s_cbranch_execz .LBB6_3045
; %bb.3038:                             ;   in Loop: Header=BB6_2849 Depth=4
	v_bfrev_b32_e32 v14, 1
	s_mov_b32 s74, exec_lo
	v_cmpx_ne_u16_e32 0x80, v0
	s_cbranch_execz .LBB6_3044
; %bb.3039:                             ;   in Loop: Header=BB6_2849 Depth=4
	v_and_b32_e32 v16, 0x7f, v39
	v_mov_b32_e32 v14, 0x7f800001
	s_mov_b32 s75, exec_lo
	s_delay_alu instid0(VALU_DEP_2)
	v_cmpx_ne_u32_e32 0x7f, v16
	s_cbranch_execz .LBB6_3043
; %bb.3040:                             ;   in Loop: Header=BB6_2849 Depth=4
	v_and_b32_e32 v2, 7, v0
	v_lshrrev_b32_e32 v0, 3, v16
	s_mov_b32 s76, exec_lo
	v_cmpx_gt_u32_e32 8, v16
; %bb.3041:                             ;   in Loop: Header=BB6_2849 Depth=4
	s_delay_alu instid0(VALU_DEP_3) | instskip(NEXT) | instid1(VALU_DEP_1)
	v_clz_i32_u32_e32 v0, v2
	v_min_u32_e32 v0, 32, v0
	s_delay_alu instid0(VALU_DEP_1) | instskip(SKIP_1) | instid1(VALU_DEP_2)
	v_subrev_nc_u32_e32 v14, 28, v0
	v_sub_nc_u32_e32 v0, 29, v0
	v_lshlrev_b64_e32 v[16:17], v14, v[2:3]
	s_delay_alu instid0(VALU_DEP_1)
	v_and_b32_e32 v2, 7, v16
; %bb.3042:                             ;   in Loop: Header=BB6_2849 Depth=4
	s_or_b32 exec_lo, exec_lo, s76
	s_delay_alu instid0(VALU_DEP_1) | instskip(SKIP_1) | instid1(VALU_DEP_2)
	v_dual_lshlrev_b32 v14, 24, v39 :: v_dual_lshlrev_b32 v2, 20, v2
	v_lshl_add_u32 v0, v0, 23, 0x3c000000
	v_and_b32_e32 v14, 0x80000000, v14
	s_delay_alu instid0(VALU_DEP_1)
	v_or3_b32 v14, v2, v14, v0
.LBB6_3043:                             ;   in Loop: Header=BB6_2849 Depth=4
	s_or_b32 exec_lo, exec_lo, s75
.LBB6_3044:                             ;   in Loop: Header=BB6_2849 Depth=4
	s_delay_alu instid0(SALU_CYCLE_1)
	s_or_b32 exec_lo, exec_lo, s74
.LBB6_3045:                             ;   in Loop: Header=BB6_2849 Depth=4
	s_delay_alu instid0(SALU_CYCLE_1) | instskip(NEXT) | instid1(VALU_DEP_1)
	s_or_b32 exec_lo, exec_lo, s13
	v_add_f32_e32 v0, v15, v14
                                        ; implicit-def: $vgpr39
	s_mov_b32 s13, exec_lo
	s_delay_alu instid0(VALU_DEP_1) | instskip(SKIP_1) | instid1(VALU_DEP_2)
	v_and_b32_e32 v2, 0x7f800000, v0
	v_lshrrev_b32_e32 v14, 24, v0
	v_cmpx_ne_u64_e32 0x7f800000, v[2:3]
	s_xor_b32 s74, exec_lo, s13
	s_cbranch_execz .LBB6_3063
; %bb.3046:                             ;   in Loop: Header=BB6_2849 Depth=4
	v_and_b32_e32 v2, 0x7fffffff, v0
	v_and_b32_e32 v66, 0x80, v14
                                        ; implicit-def: $vgpr39
	s_mov_b32 s13, exec_lo
	s_delay_alu instid0(VALU_DEP_2)
	v_cmpx_gt_u64_e32 0x43e00001, v[2:3]
	s_xor_b32 s75, exec_lo, s13
	s_cbranch_execz .LBB6_3060
; %bb.3047:                             ;   in Loop: Header=BB6_2849 Depth=4
	v_mov_b32_e32 v39, 0
	s_mov_b32 s76, exec_lo
	v_cmpx_ne_u32_e32 0, v0
	s_cbranch_execz .LBB6_3059
; %bb.3048:                             ;   in Loop: Header=BB6_2849 Depth=4
	v_and_b32_e32 v2, 0x7fffff, v0
	v_bfe_u32 v0, v0, 23, 8
	s_delay_alu instid0(VALU_DEP_2) | instskip(NEXT) | instid1(VALU_DEP_2)
	v_or_b32_e32 v15, 0x800000, v2
	v_cmp_gt_u32_e64 s13, 0x7a, v0
	v_sub_nc_u32_e32 v14, 0x79, v0
	v_cmp_eq_u32_e32 vcc_lo, 0, v0
	s_delay_alu instid0(VALU_DEP_2) | instskip(NEXT) | instid1(VALU_DEP_1)
	v_cndmask_b32_e64 v14, 0, v14, s13
	v_cndmask_b32_e64 v39, v14, 0x78, vcc_lo
	s_delay_alu instid0(VALU_DEP_1) | instskip(SKIP_1) | instid1(VALU_DEP_2)
	v_dual_cndmask_b32 v2, v15, v2, vcc_lo :: v_dual_add_nc_u32 v14, 20, v39
	v_add_nc_u32_e32 v16, 19, v39
	v_lshlrev_b64_e64 v[14:15], v14, -1
	s_delay_alu instid0(VALU_DEP_2) | instskip(NEXT) | instid1(VALU_DEP_2)
	v_lshlrev_b64_e64 v[16:17], v16, 1
	v_bfi_b32 v15, v15, 0, 0
	s_delay_alu instid0(VALU_DEP_3) | instskip(NEXT) | instid1(VALU_DEP_1)
	v_bfi_b32 v14, v14, 0, v2
	v_cmp_eq_u64_e64 s13, v[14:15], v[16:17]
	v_lshrrev_b64 v[14:15], v39, v[2:3]
	s_delay_alu instid0(VALU_DEP_1)
	v_mov_b64_e32 v[16:17], v[14:15]
	s_and_saveexec_b32 s77, s13
; %bb.3049:                             ;   in Loop: Header=BB6_2849 Depth=4
	v_bfe_u32 v2, v14, 20, 1
	s_delay_alu instid0(VALU_DEP_1) | instskip(NEXT) | instid1(VALU_DEP_1)
	v_add_nc_u64_e32 v[16:17], v[14:15], v[2:3]
	v_add_nc_u64_e32 v[16:17], -1, v[16:17]
; %bb.3050:                             ;   in Loop: Header=BB6_2849 Depth=4
	s_or_b32 exec_lo, exec_lo, s77
	v_add_nc_u32_e32 v0, 0xffffff81, v0
	v_lshrrev_b32_e32 v2, 23, v14
	s_mov_b32 s13, exec_lo
	s_delay_alu instid0(VALU_DEP_2) | instskip(NEXT) | instid1(VALU_DEP_1)
	v_cndmask_b32_e64 v0, v0, 0xffffff82, vcc_lo
	v_add3_u32 v17, v39, v0, v2
	v_and_b32_e32 v0, 0xfffff, v16
	s_delay_alu instid0(VALU_DEP_1) | instskip(NEXT) | instid1(VALU_DEP_1)
	v_dual_add_nc_u32 v16, 6, v17 :: v_dual_add_nc_u32 v2, v0, v14
                                        ; implicit-def: $vgpr14_vgpr15
                                        ; implicit-def: $vgpr0
	v_cmpx_ne_u32_e32 0, v16
	s_xor_b32 s13, exec_lo, s13
; %bb.3051:                             ;   in Loop: Header=BB6_2849 Depth=4
	s_delay_alu instid0(VALU_DEP_2) | instskip(SKIP_2) | instid1(VALU_DEP_2)
	v_cmp_lt_u64_e32 vcc_lo, 0xffffff, v[2:3]
	v_add_nc_u32_e32 v0, 7, v17
	v_cndmask_b32_e64 v14, 0, 1, vcc_lo
	v_cndmask_b32_e32 v0, v16, v0, vcc_lo
	s_delay_alu instid0(VALU_DEP_2)
	v_lshrrev_b64 v[14:15], v14, v[2:3]
; %bb.3052:                             ;   in Loop: Header=BB6_2849 Depth=4
	s_and_not1_saveexec_b32 s13, s13
; %bb.3053:                             ;   in Loop: Header=BB6_2849 Depth=4
	v_mov_b64_e32 v[14:15], v[2:3]
	v_bfe_u32 v0, v2, 23, 1
; %bb.3054:                             ;   in Loop: Header=BB6_2849 Depth=4
	s_or_b32 exec_lo, exec_lo, s13
	s_delay_alu instid0(VALU_DEP_2) | instskip(NEXT) | instid1(VALU_DEP_2)
	v_lshrrev_b64 v[14:15], 20, v[14:15]
	v_cmp_gt_i32_e32 vcc_lo, 16, v0
	v_cmp_ne_u32_e64 s13, 0, v0
                                        ; implicit-def: $vgpr39
	s_delay_alu instid0(VALU_DEP_3) | instskip(NEXT) | instid1(VALU_DEP_1)
	v_dual_cndmask_b32 v15, 0, v15 :: v_dual_cndmask_b32 v14, 7, v14
	v_cmp_ne_u64_e32 vcc_lo, 0, v[14:15]
	s_or_b32 s13, s13, vcc_lo
	s_delay_alu instid0(SALU_CYCLE_1) | instskip(NEXT) | instid1(SALU_CYCLE_1)
	s_and_saveexec_b32 s77, s13
	s_xor_b32 s13, exec_lo, s77
; %bb.3055:                             ;   in Loop: Header=BB6_2849 Depth=4
	v_min_i32_e32 v0, 15, v0
	s_delay_alu instid0(VALU_DEP_1) | instskip(NEXT) | instid1(VALU_DEP_1)
	v_lshl_or_b32 v0, v0, 3, v66
                                        ; implicit-def: $vgpr66
	v_and_or_b32 v39, v14, 7, v0
; %bb.3056:                             ;   in Loop: Header=BB6_2849 Depth=4
	s_and_not1_saveexec_b32 s13, s13
; %bb.3057:                             ;   in Loop: Header=BB6_2849 Depth=4
	v_mov_b32_e32 v39, v66
; %bb.3058:                             ;   in Loop: Header=BB6_2849 Depth=4
	s_or_b32 exec_lo, exec_lo, s13
.LBB6_3059:                             ;   in Loop: Header=BB6_2849 Depth=4
	s_delay_alu instid0(SALU_CYCLE_1)
	s_or_b32 exec_lo, exec_lo, s76
                                        ; implicit-def: $vgpr66
.LBB6_3060:                             ;   in Loop: Header=BB6_2849 Depth=4
	s_and_not1_saveexec_b32 s13, s75
; %bb.3061:                             ;   in Loop: Header=BB6_2849 Depth=4
	v_or_b32_e32 v39, 0x7e, v66
; %bb.3062:                             ;   in Loop: Header=BB6_2849 Depth=4
	s_or_b32 exec_lo, exec_lo, s13
                                        ; implicit-def: $vgpr14
.LBB6_3063:                             ;   in Loop: Header=BB6_2849 Depth=4
	s_and_not1_saveexec_b32 s13, s74
; %bb.3064:                             ;   in Loop: Header=BB6_2849 Depth=4
	v_or_b32_e32 v39, 0x7f, v14
; %bb.3065:                             ;   in Loop: Header=BB6_2849 Depth=4
	s_or_b32 exec_lo, exec_lo, s13
	v_and_b32_e32 v0, 0xff, v120
	v_dual_mov_b32 v14, 0 :: v_dual_mov_b32 v15, 0
	s_mov_b32 s13, exec_lo
	s_delay_alu instid0(VALU_DEP_2)
	v_cmpx_ne_u16_e32 0, v0
	s_cbranch_execz .LBB6_3073
; %bb.3066:                             ;   in Loop: Header=BB6_2849 Depth=4
	v_bfrev_b32_e32 v15, 1
	s_mov_b32 s74, exec_lo
	v_cmpx_ne_u16_e32 0x80, v0
	s_cbranch_execz .LBB6_3072
; %bb.3067:                             ;   in Loop: Header=BB6_2849 Depth=4
	v_and_b32_e32 v16, 0x7f, v120
	v_mov_b32_e32 v15, 0x7f800001
	s_mov_b32 s75, exec_lo
	s_delay_alu instid0(VALU_DEP_2)
	v_cmpx_ne_u32_e32 0x7f, v16
	s_cbranch_execz .LBB6_3071
; %bb.3068:                             ;   in Loop: Header=BB6_2849 Depth=4
	v_and_b32_e32 v2, 7, v0
	v_lshrrev_b32_e32 v0, 3, v16
	s_mov_b32 s76, exec_lo
	v_cmpx_gt_u32_e32 8, v16
; %bb.3069:                             ;   in Loop: Header=BB6_2849 Depth=4
	s_delay_alu instid0(VALU_DEP_3) | instskip(NEXT) | instid1(VALU_DEP_1)
	v_clz_i32_u32_e32 v0, v2
	v_min_u32_e32 v0, 32, v0
	s_delay_alu instid0(VALU_DEP_1) | instskip(SKIP_1) | instid1(VALU_DEP_2)
	v_subrev_nc_u32_e32 v15, 28, v0
	v_sub_nc_u32_e32 v0, 29, v0
	v_lshlrev_b64_e32 v[16:17], v15, v[2:3]
	s_delay_alu instid0(VALU_DEP_1)
	v_and_b32_e32 v2, 7, v16
; %bb.3070:                             ;   in Loop: Header=BB6_2849 Depth=4
	s_or_b32 exec_lo, exec_lo, s76
	s_delay_alu instid0(VALU_DEP_1) | instskip(SKIP_1) | instid1(VALU_DEP_2)
	v_dual_lshlrev_b32 v15, 24, v120 :: v_dual_lshlrev_b32 v2, 20, v2
	v_lshl_add_u32 v0, v0, 23, 0x3c000000
	v_and_b32_e32 v15, 0x80000000, v15
	s_delay_alu instid0(VALU_DEP_1)
	v_or3_b32 v15, v2, v15, v0
.LBB6_3071:                             ;   in Loop: Header=BB6_2849 Depth=4
	s_or_b32 exec_lo, exec_lo, s75
.LBB6_3072:                             ;   in Loop: Header=BB6_2849 Depth=4
	s_delay_alu instid0(SALU_CYCLE_1)
	s_or_b32 exec_lo, exec_lo, s74
.LBB6_3073:                             ;   in Loop: Header=BB6_2849 Depth=4
	s_delay_alu instid0(SALU_CYCLE_1) | instskip(SKIP_3) | instid1(VALU_DEP_1)
	s_or_b32 exec_lo, exec_lo, s13
	s_wait_loadcnt_dscnt 0x1919
	v_and_b32_e32 v0, 0xff, v50
	s_mov_b32 s13, exec_lo
	v_cmpx_ne_u16_e32 0, v0
	s_cbranch_execz .LBB6_3081
; %bb.3074:                             ;   in Loop: Header=BB6_2849 Depth=4
	v_bfrev_b32_e32 v14, 1
	s_mov_b32 s74, exec_lo
	v_cmpx_ne_u16_e32 0x80, v0
	s_cbranch_execz .LBB6_3080
; %bb.3075:                             ;   in Loop: Header=BB6_2849 Depth=4
	v_and_b32_e32 v16, 0x7f, v50
	v_mov_b32_e32 v14, 0x7f800001
	s_mov_b32 s75, exec_lo
	s_delay_alu instid0(VALU_DEP_2)
	v_cmpx_ne_u32_e32 0x7f, v16
	s_cbranch_execz .LBB6_3079
; %bb.3076:                             ;   in Loop: Header=BB6_2849 Depth=4
	v_and_b32_e32 v2, 7, v0
	v_lshrrev_b32_e32 v0, 3, v16
	s_mov_b32 s76, exec_lo
	v_cmpx_gt_u32_e32 8, v16
; %bb.3077:                             ;   in Loop: Header=BB6_2849 Depth=4
	s_delay_alu instid0(VALU_DEP_3) | instskip(NEXT) | instid1(VALU_DEP_1)
	v_clz_i32_u32_e32 v0, v2
	v_min_u32_e32 v0, 32, v0
	s_delay_alu instid0(VALU_DEP_1) | instskip(SKIP_1) | instid1(VALU_DEP_2)
	v_subrev_nc_u32_e32 v14, 28, v0
	v_sub_nc_u32_e32 v0, 29, v0
	v_lshlrev_b64_e32 v[16:17], v14, v[2:3]
	s_delay_alu instid0(VALU_DEP_1)
	v_and_b32_e32 v2, 7, v16
; %bb.3078:                             ;   in Loop: Header=BB6_2849 Depth=4
	s_or_b32 exec_lo, exec_lo, s76
	v_lshlrev_b32_e32 v14, 24, v50
	s_delay_alu instid0(VALU_DEP_2) | instskip(SKIP_1) | instid1(VALU_DEP_3)
	v_lshlrev_b32_e32 v2, 20, v2
	v_lshl_add_u32 v0, v0, 23, 0x3c000000
	v_and_b32_e32 v14, 0x80000000, v14
	s_delay_alu instid0(VALU_DEP_1)
	v_or3_b32 v14, v2, v14, v0
.LBB6_3079:                             ;   in Loop: Header=BB6_2849 Depth=4
	s_or_b32 exec_lo, exec_lo, s75
.LBB6_3080:                             ;   in Loop: Header=BB6_2849 Depth=4
	s_delay_alu instid0(SALU_CYCLE_1)
	s_or_b32 exec_lo, exec_lo, s74
.LBB6_3081:                             ;   in Loop: Header=BB6_2849 Depth=4
	s_delay_alu instid0(SALU_CYCLE_1) | instskip(NEXT) | instid1(VALU_DEP_1)
	s_or_b32 exec_lo, exec_lo, s13
	v_add_f32_e32 v0, v15, v14
                                        ; implicit-def: $vgpr50
	s_mov_b32 s13, exec_lo
	s_delay_alu instid0(VALU_DEP_1) | instskip(SKIP_1) | instid1(VALU_DEP_2)
	v_and_b32_e32 v2, 0x7f800000, v0
	v_lshrrev_b32_e32 v14, 24, v0
	v_cmpx_ne_u64_e32 0x7f800000, v[2:3]
	s_xor_b32 s74, exec_lo, s13
	s_cbranch_execz .LBB6_3099
; %bb.3082:                             ;   in Loop: Header=BB6_2849 Depth=4
	v_and_b32_e32 v2, 0x7fffffff, v0
	v_and_b32_e32 v66, 0x80, v14
                                        ; implicit-def: $vgpr50
	s_mov_b32 s13, exec_lo
	s_delay_alu instid0(VALU_DEP_2)
	v_cmpx_gt_u64_e32 0x43e00001, v[2:3]
	s_xor_b32 s75, exec_lo, s13
	s_cbranch_execz .LBB6_3096
; %bb.3083:                             ;   in Loop: Header=BB6_2849 Depth=4
	v_mov_b32_e32 v50, 0
	s_mov_b32 s76, exec_lo
	v_cmpx_ne_u32_e32 0, v0
	s_cbranch_execz .LBB6_3095
; %bb.3084:                             ;   in Loop: Header=BB6_2849 Depth=4
	v_and_b32_e32 v2, 0x7fffff, v0
	v_bfe_u32 v0, v0, 23, 8
	s_delay_alu instid0(VALU_DEP_2) | instskip(NEXT) | instid1(VALU_DEP_2)
	v_or_b32_e32 v15, 0x800000, v2
	v_cmp_gt_u32_e64 s13, 0x7a, v0
	v_sub_nc_u32_e32 v14, 0x79, v0
	v_cmp_eq_u32_e32 vcc_lo, 0, v0
	s_delay_alu instid0(VALU_DEP_2) | instskip(SKIP_1) | instid1(VALU_DEP_2)
	v_cndmask_b32_e64 v14, 0, v14, s13
	v_cndmask_b32_e32 v2, v15, v2, vcc_lo
	v_cndmask_b32_e64 v50, v14, 0x78, vcc_lo
	s_delay_alu instid0(VALU_DEP_1) | instskip(NEXT) | instid1(VALU_DEP_1)
	v_dual_add_nc_u32 v14, 20, v50 :: v_dual_add_nc_u32 v16, 19, v50
	v_lshlrev_b64_e64 v[14:15], v14, -1
	s_delay_alu instid0(VALU_DEP_2) | instskip(NEXT) | instid1(VALU_DEP_2)
	v_lshlrev_b64_e64 v[16:17], v16, 1
	v_bfi_b32 v15, v15, 0, 0
	s_delay_alu instid0(VALU_DEP_3) | instskip(NEXT) | instid1(VALU_DEP_1)
	v_bfi_b32 v14, v14, 0, v2
	v_cmp_eq_u64_e64 s13, v[14:15], v[16:17]
	v_lshrrev_b64 v[14:15], v50, v[2:3]
	s_delay_alu instid0(VALU_DEP_1)
	v_mov_b64_e32 v[16:17], v[14:15]
	s_and_saveexec_b32 s77, s13
; %bb.3085:                             ;   in Loop: Header=BB6_2849 Depth=4
	v_bfe_u32 v2, v14, 20, 1
	s_delay_alu instid0(VALU_DEP_1) | instskip(NEXT) | instid1(VALU_DEP_1)
	v_add_nc_u64_e32 v[16:17], v[14:15], v[2:3]
	v_add_nc_u64_e32 v[16:17], -1, v[16:17]
; %bb.3086:                             ;   in Loop: Header=BB6_2849 Depth=4
	s_or_b32 exec_lo, exec_lo, s77
	v_add_nc_u32_e32 v0, 0xffffff81, v0
	v_lshrrev_b32_e32 v2, 23, v14
	s_mov_b32 s13, exec_lo
	s_delay_alu instid0(VALU_DEP_2) | instskip(NEXT) | instid1(VALU_DEP_1)
	v_cndmask_b32_e64 v0, v0, 0xffffff82, vcc_lo
	v_add3_u32 v17, v50, v0, v2
	v_and_b32_e32 v0, 0xfffff, v16
	s_delay_alu instid0(VALU_DEP_1) | instskip(NEXT) | instid1(VALU_DEP_1)
	v_dual_add_nc_u32 v16, 6, v17 :: v_dual_add_nc_u32 v2, v0, v14
                                        ; implicit-def: $vgpr14_vgpr15
                                        ; implicit-def: $vgpr0
	v_cmpx_ne_u32_e32 0, v16
	s_xor_b32 s13, exec_lo, s13
; %bb.3087:                             ;   in Loop: Header=BB6_2849 Depth=4
	s_delay_alu instid0(VALU_DEP_2) | instskip(SKIP_2) | instid1(VALU_DEP_2)
	v_cmp_lt_u64_e32 vcc_lo, 0xffffff, v[2:3]
	v_add_nc_u32_e32 v0, 7, v17
	v_cndmask_b32_e64 v14, 0, 1, vcc_lo
	v_cndmask_b32_e32 v0, v16, v0, vcc_lo
	s_delay_alu instid0(VALU_DEP_2)
	v_lshrrev_b64 v[14:15], v14, v[2:3]
; %bb.3088:                             ;   in Loop: Header=BB6_2849 Depth=4
	s_and_not1_saveexec_b32 s13, s13
; %bb.3089:                             ;   in Loop: Header=BB6_2849 Depth=4
	v_mov_b64_e32 v[14:15], v[2:3]
	v_bfe_u32 v0, v2, 23, 1
; %bb.3090:                             ;   in Loop: Header=BB6_2849 Depth=4
	s_or_b32 exec_lo, exec_lo, s13
	s_delay_alu instid0(VALU_DEP_2) | instskip(NEXT) | instid1(VALU_DEP_2)
	v_lshrrev_b64 v[14:15], 20, v[14:15]
	v_cmp_gt_i32_e32 vcc_lo, 16, v0
	v_cmp_ne_u32_e64 s13, 0, v0
                                        ; implicit-def: $vgpr50
	s_delay_alu instid0(VALU_DEP_3) | instskip(NEXT) | instid1(VALU_DEP_1)
	v_dual_cndmask_b32 v15, 0, v15 :: v_dual_cndmask_b32 v14, 7, v14
	v_cmp_ne_u64_e32 vcc_lo, 0, v[14:15]
	s_or_b32 s13, s13, vcc_lo
	s_delay_alu instid0(SALU_CYCLE_1) | instskip(NEXT) | instid1(SALU_CYCLE_1)
	s_and_saveexec_b32 s77, s13
	s_xor_b32 s13, exec_lo, s77
; %bb.3091:                             ;   in Loop: Header=BB6_2849 Depth=4
	v_min_i32_e32 v0, 15, v0
	s_delay_alu instid0(VALU_DEP_1) | instskip(NEXT) | instid1(VALU_DEP_1)
	v_lshl_or_b32 v0, v0, 3, v66
                                        ; implicit-def: $vgpr66
	v_and_or_b32 v50, v14, 7, v0
; %bb.3092:                             ;   in Loop: Header=BB6_2849 Depth=4
	s_and_not1_saveexec_b32 s13, s13
; %bb.3093:                             ;   in Loop: Header=BB6_2849 Depth=4
	v_mov_b32_e32 v50, v66
; %bb.3094:                             ;   in Loop: Header=BB6_2849 Depth=4
	s_or_b32 exec_lo, exec_lo, s13
.LBB6_3095:                             ;   in Loop: Header=BB6_2849 Depth=4
	s_delay_alu instid0(SALU_CYCLE_1)
	s_or_b32 exec_lo, exec_lo, s76
                                        ; implicit-def: $vgpr66
.LBB6_3096:                             ;   in Loop: Header=BB6_2849 Depth=4
	s_and_not1_saveexec_b32 s13, s75
; %bb.3097:                             ;   in Loop: Header=BB6_2849 Depth=4
	v_or_b32_e32 v50, 0x7e, v66
; %bb.3098:                             ;   in Loop: Header=BB6_2849 Depth=4
	s_or_b32 exec_lo, exec_lo, s13
                                        ; implicit-def: $vgpr14
.LBB6_3099:                             ;   in Loop: Header=BB6_2849 Depth=4
	s_and_not1_saveexec_b32 s13, s74
; %bb.3100:                             ;   in Loop: Header=BB6_2849 Depth=4
	v_or_b32_e32 v50, 0x7f, v14
; %bb.3101:                             ;   in Loop: Header=BB6_2849 Depth=4
	s_or_b32 exec_lo, exec_lo, s13
	v_and_b32_e32 v0, 0xff, v111
	v_dual_mov_b32 v14, 0 :: v_dual_mov_b32 v15, 0
	s_mov_b32 s13, exec_lo
	s_delay_alu instid0(VALU_DEP_2)
	v_cmpx_ne_u16_e32 0, v0
	s_cbranch_execz .LBB6_3109
; %bb.3102:                             ;   in Loop: Header=BB6_2849 Depth=4
	v_bfrev_b32_e32 v15, 1
	s_mov_b32 s74, exec_lo
	v_cmpx_ne_u16_e32 0x80, v0
	s_cbranch_execz .LBB6_3108
; %bb.3103:                             ;   in Loop: Header=BB6_2849 Depth=4
	v_and_b32_e32 v16, 0x7f, v111
	v_mov_b32_e32 v15, 0x7f800001
	s_mov_b32 s75, exec_lo
	s_delay_alu instid0(VALU_DEP_2)
	v_cmpx_ne_u32_e32 0x7f, v16
	s_cbranch_execz .LBB6_3107
; %bb.3104:                             ;   in Loop: Header=BB6_2849 Depth=4
	v_and_b32_e32 v2, 7, v0
	v_lshrrev_b32_e32 v0, 3, v16
	s_mov_b32 s76, exec_lo
	v_cmpx_gt_u32_e32 8, v16
; %bb.3105:                             ;   in Loop: Header=BB6_2849 Depth=4
	s_delay_alu instid0(VALU_DEP_3) | instskip(NEXT) | instid1(VALU_DEP_1)
	v_clz_i32_u32_e32 v0, v2
	v_min_u32_e32 v0, 32, v0
	s_delay_alu instid0(VALU_DEP_1) | instskip(SKIP_1) | instid1(VALU_DEP_2)
	v_subrev_nc_u32_e32 v15, 28, v0
	v_sub_nc_u32_e32 v0, 29, v0
	v_lshlrev_b64_e32 v[16:17], v15, v[2:3]
	s_delay_alu instid0(VALU_DEP_1)
	v_and_b32_e32 v2, 7, v16
; %bb.3106:                             ;   in Loop: Header=BB6_2849 Depth=4
	s_or_b32 exec_lo, exec_lo, s76
	s_delay_alu instid0(VALU_DEP_1) | instskip(SKIP_1) | instid1(VALU_DEP_2)
	v_dual_lshlrev_b32 v15, 24, v111 :: v_dual_lshlrev_b32 v2, 20, v2
	v_lshl_add_u32 v0, v0, 23, 0x3c000000
	v_and_b32_e32 v15, 0x80000000, v15
	s_delay_alu instid0(VALU_DEP_1)
	v_or3_b32 v15, v2, v15, v0
.LBB6_3107:                             ;   in Loop: Header=BB6_2849 Depth=4
	s_or_b32 exec_lo, exec_lo, s75
.LBB6_3108:                             ;   in Loop: Header=BB6_2849 Depth=4
	s_delay_alu instid0(SALU_CYCLE_1)
	s_or_b32 exec_lo, exec_lo, s74
.LBB6_3109:                             ;   in Loop: Header=BB6_2849 Depth=4
	s_delay_alu instid0(SALU_CYCLE_1) | instskip(SKIP_3) | instid1(VALU_DEP_1)
	s_or_b32 exec_lo, exec_lo, s13
	s_wait_loadcnt_dscnt 0x1818
	v_and_b32_e32 v0, 0xff, v54
	s_mov_b32 s13, exec_lo
	v_cmpx_ne_u16_e32 0, v0
	s_cbranch_execz .LBB6_3117
; %bb.3110:                             ;   in Loop: Header=BB6_2849 Depth=4
	v_bfrev_b32_e32 v14, 1
	s_mov_b32 s74, exec_lo
	v_cmpx_ne_u16_e32 0x80, v0
	s_cbranch_execz .LBB6_3116
; %bb.3111:                             ;   in Loop: Header=BB6_2849 Depth=4
	v_and_b32_e32 v16, 0x7f, v54
	v_mov_b32_e32 v14, 0x7f800001
	s_mov_b32 s75, exec_lo
	s_delay_alu instid0(VALU_DEP_2)
	v_cmpx_ne_u32_e32 0x7f, v16
	s_cbranch_execz .LBB6_3115
; %bb.3112:                             ;   in Loop: Header=BB6_2849 Depth=4
	v_and_b32_e32 v2, 7, v0
	v_lshrrev_b32_e32 v0, 3, v16
	s_mov_b32 s76, exec_lo
	v_cmpx_gt_u32_e32 8, v16
; %bb.3113:                             ;   in Loop: Header=BB6_2849 Depth=4
	s_delay_alu instid0(VALU_DEP_3) | instskip(NEXT) | instid1(VALU_DEP_1)
	v_clz_i32_u32_e32 v0, v2
	v_min_u32_e32 v0, 32, v0
	s_delay_alu instid0(VALU_DEP_1) | instskip(SKIP_1) | instid1(VALU_DEP_2)
	v_subrev_nc_u32_e32 v14, 28, v0
	v_sub_nc_u32_e32 v0, 29, v0
	v_lshlrev_b64_e32 v[16:17], v14, v[2:3]
	s_delay_alu instid0(VALU_DEP_1)
	v_and_b32_e32 v2, 7, v16
; %bb.3114:                             ;   in Loop: Header=BB6_2849 Depth=4
	s_or_b32 exec_lo, exec_lo, s76
	v_lshlrev_b32_e32 v14, 24, v54
	s_delay_alu instid0(VALU_DEP_2) | instskip(SKIP_1) | instid1(VALU_DEP_3)
	v_lshlrev_b32_e32 v2, 20, v2
	v_lshl_add_u32 v0, v0, 23, 0x3c000000
	v_and_b32_e32 v14, 0x80000000, v14
	s_delay_alu instid0(VALU_DEP_1)
	v_or3_b32 v14, v2, v14, v0
.LBB6_3115:                             ;   in Loop: Header=BB6_2849 Depth=4
	s_or_b32 exec_lo, exec_lo, s75
.LBB6_3116:                             ;   in Loop: Header=BB6_2849 Depth=4
	s_delay_alu instid0(SALU_CYCLE_1)
	s_or_b32 exec_lo, exec_lo, s74
.LBB6_3117:                             ;   in Loop: Header=BB6_2849 Depth=4
	s_delay_alu instid0(SALU_CYCLE_1) | instskip(NEXT) | instid1(VALU_DEP_1)
	s_or_b32 exec_lo, exec_lo, s13
	v_add_f32_e32 v0, v15, v14
                                        ; implicit-def: $vgpr54
	s_mov_b32 s13, exec_lo
	s_delay_alu instid0(VALU_DEP_1) | instskip(SKIP_1) | instid1(VALU_DEP_2)
	v_and_b32_e32 v2, 0x7f800000, v0
	v_lshrrev_b32_e32 v14, 24, v0
	v_cmpx_ne_u64_e32 0x7f800000, v[2:3]
	s_xor_b32 s74, exec_lo, s13
	s_cbranch_execz .LBB6_3135
; %bb.3118:                             ;   in Loop: Header=BB6_2849 Depth=4
	v_and_b32_e32 v2, 0x7fffffff, v0
	v_and_b32_e32 v66, 0x80, v14
                                        ; implicit-def: $vgpr54
	s_mov_b32 s13, exec_lo
	s_delay_alu instid0(VALU_DEP_2)
	v_cmpx_gt_u64_e32 0x43e00001, v[2:3]
	s_xor_b32 s75, exec_lo, s13
	s_cbranch_execz .LBB6_3132
; %bb.3119:                             ;   in Loop: Header=BB6_2849 Depth=4
	v_mov_b32_e32 v54, 0
	s_mov_b32 s76, exec_lo
	v_cmpx_ne_u32_e32 0, v0
	s_cbranch_execz .LBB6_3131
; %bb.3120:                             ;   in Loop: Header=BB6_2849 Depth=4
	v_and_b32_e32 v2, 0x7fffff, v0
	v_bfe_u32 v0, v0, 23, 8
	s_delay_alu instid0(VALU_DEP_2) | instskip(NEXT) | instid1(VALU_DEP_2)
	v_or_b32_e32 v15, 0x800000, v2
	v_cmp_gt_u32_e64 s13, 0x7a, v0
	v_sub_nc_u32_e32 v14, 0x79, v0
	v_cmp_eq_u32_e32 vcc_lo, 0, v0
	s_delay_alu instid0(VALU_DEP_2) | instskip(NEXT) | instid1(VALU_DEP_1)
	v_cndmask_b32_e64 v14, 0, v14, s13
	v_cndmask_b32_e64 v52, v14, 0x78, vcc_lo
	s_delay_alu instid0(VALU_DEP_1) | instskip(SKIP_1) | instid1(VALU_DEP_2)
	v_dual_cndmask_b32 v2, v15, v2, vcc_lo :: v_dual_add_nc_u32 v14, 20, v52
	v_add_nc_u32_e32 v16, 19, v52
	v_lshlrev_b64_e64 v[14:15], v14, -1
	s_delay_alu instid0(VALU_DEP_2) | instskip(NEXT) | instid1(VALU_DEP_2)
	v_lshlrev_b64_e64 v[16:17], v16, 1
	v_bfi_b32 v15, v15, 0, 0
	s_delay_alu instid0(VALU_DEP_3) | instskip(NEXT) | instid1(VALU_DEP_1)
	v_bfi_b32 v14, v14, 0, v2
	v_cmp_eq_u64_e64 s13, v[14:15], v[16:17]
	v_lshrrev_b64 v[14:15], v52, v[2:3]
	s_delay_alu instid0(VALU_DEP_1)
	v_mov_b64_e32 v[16:17], v[14:15]
	s_and_saveexec_b32 s77, s13
; %bb.3121:                             ;   in Loop: Header=BB6_2849 Depth=4
	v_bfe_u32 v2, v14, 20, 1
	s_delay_alu instid0(VALU_DEP_1) | instskip(NEXT) | instid1(VALU_DEP_1)
	v_add_nc_u64_e32 v[16:17], v[14:15], v[2:3]
	v_add_nc_u64_e32 v[16:17], -1, v[16:17]
; %bb.3122:                             ;   in Loop: Header=BB6_2849 Depth=4
	s_or_b32 exec_lo, exec_lo, s77
	v_add_nc_u32_e32 v0, 0xffffff81, v0
	v_lshrrev_b32_e32 v2, 23, v14
	s_mov_b32 s13, exec_lo
	s_delay_alu instid0(VALU_DEP_2) | instskip(NEXT) | instid1(VALU_DEP_1)
	v_cndmask_b32_e64 v0, v0, 0xffffff82, vcc_lo
	v_add3_u32 v17, v52, v0, v2
	v_and_b32_e32 v0, 0xfffff, v16
	s_delay_alu instid0(VALU_DEP_1) | instskip(NEXT) | instid1(VALU_DEP_1)
	v_dual_add_nc_u32 v16, 6, v17 :: v_dual_add_nc_u32 v2, v0, v14
                                        ; implicit-def: $vgpr14_vgpr15
                                        ; implicit-def: $vgpr0
	v_cmpx_ne_u32_e32 0, v16
	s_xor_b32 s13, exec_lo, s13
; %bb.3123:                             ;   in Loop: Header=BB6_2849 Depth=4
	s_delay_alu instid0(VALU_DEP_2) | instskip(SKIP_2) | instid1(VALU_DEP_2)
	v_cmp_lt_u64_e32 vcc_lo, 0xffffff, v[2:3]
	v_add_nc_u32_e32 v0, 7, v17
	v_cndmask_b32_e64 v14, 0, 1, vcc_lo
	v_cndmask_b32_e32 v0, v16, v0, vcc_lo
	s_delay_alu instid0(VALU_DEP_2)
	v_lshrrev_b64 v[14:15], v14, v[2:3]
; %bb.3124:                             ;   in Loop: Header=BB6_2849 Depth=4
	s_and_not1_saveexec_b32 s13, s13
; %bb.3125:                             ;   in Loop: Header=BB6_2849 Depth=4
	v_mov_b64_e32 v[14:15], v[2:3]
	v_bfe_u32 v0, v2, 23, 1
; %bb.3126:                             ;   in Loop: Header=BB6_2849 Depth=4
	s_or_b32 exec_lo, exec_lo, s13
	s_delay_alu instid0(VALU_DEP_2) | instskip(NEXT) | instid1(VALU_DEP_2)
	v_lshrrev_b64 v[14:15], 20, v[14:15]
	v_cmp_gt_i32_e32 vcc_lo, 16, v0
	v_cmp_ne_u32_e64 s13, 0, v0
                                        ; implicit-def: $vgpr54
	s_delay_alu instid0(VALU_DEP_3) | instskip(NEXT) | instid1(VALU_DEP_1)
	v_dual_cndmask_b32 v15, 0, v15 :: v_dual_cndmask_b32 v14, 7, v14
	v_cmp_ne_u64_e32 vcc_lo, 0, v[14:15]
	s_or_b32 s13, s13, vcc_lo
	s_delay_alu instid0(SALU_CYCLE_1) | instskip(NEXT) | instid1(SALU_CYCLE_1)
	s_and_saveexec_b32 s77, s13
	s_xor_b32 s13, exec_lo, s77
; %bb.3127:                             ;   in Loop: Header=BB6_2849 Depth=4
	v_min_i32_e32 v0, 15, v0
	s_delay_alu instid0(VALU_DEP_1) | instskip(NEXT) | instid1(VALU_DEP_1)
	v_lshl_or_b32 v0, v0, 3, v66
                                        ; implicit-def: $vgpr66
	v_and_or_b32 v54, v14, 7, v0
; %bb.3128:                             ;   in Loop: Header=BB6_2849 Depth=4
	s_and_not1_saveexec_b32 s13, s13
; %bb.3129:                             ;   in Loop: Header=BB6_2849 Depth=4
	v_mov_b32_e32 v54, v66
; %bb.3130:                             ;   in Loop: Header=BB6_2849 Depth=4
	s_or_b32 exec_lo, exec_lo, s13
.LBB6_3131:                             ;   in Loop: Header=BB6_2849 Depth=4
	s_delay_alu instid0(SALU_CYCLE_1)
	s_or_b32 exec_lo, exec_lo, s76
                                        ; implicit-def: $vgpr66
.LBB6_3132:                             ;   in Loop: Header=BB6_2849 Depth=4
	s_and_not1_saveexec_b32 s13, s75
; %bb.3133:                             ;   in Loop: Header=BB6_2849 Depth=4
	v_or_b32_e32 v54, 0x7e, v66
; %bb.3134:                             ;   in Loop: Header=BB6_2849 Depth=4
	s_or_b32 exec_lo, exec_lo, s13
                                        ; implicit-def: $vgpr14
.LBB6_3135:                             ;   in Loop: Header=BB6_2849 Depth=4
	s_and_not1_saveexec_b32 s13, s74
; %bb.3136:                             ;   in Loop: Header=BB6_2849 Depth=4
	v_or_b32_e32 v54, 0x7f, v14
; %bb.3137:                             ;   in Loop: Header=BB6_2849 Depth=4
	s_or_b32 exec_lo, exec_lo, s13
	v_and_b32_e32 v0, 0xff, v109
	v_dual_mov_b32 v14, 0 :: v_dual_mov_b32 v15, 0
	s_mov_b32 s13, exec_lo
	s_delay_alu instid0(VALU_DEP_2)
	v_cmpx_ne_u16_e32 0, v0
	s_cbranch_execz .LBB6_3145
; %bb.3138:                             ;   in Loop: Header=BB6_2849 Depth=4
	v_bfrev_b32_e32 v15, 1
	s_mov_b32 s74, exec_lo
	v_cmpx_ne_u16_e32 0x80, v0
	s_cbranch_execz .LBB6_3144
; %bb.3139:                             ;   in Loop: Header=BB6_2849 Depth=4
	v_and_b32_e32 v16, 0x7f, v109
	v_mov_b32_e32 v15, 0x7f800001
	s_mov_b32 s75, exec_lo
	s_delay_alu instid0(VALU_DEP_2)
	v_cmpx_ne_u32_e32 0x7f, v16
	s_cbranch_execz .LBB6_3143
; %bb.3140:                             ;   in Loop: Header=BB6_2849 Depth=4
	v_and_b32_e32 v2, 7, v0
	v_lshrrev_b32_e32 v0, 3, v16
	s_mov_b32 s76, exec_lo
	v_cmpx_gt_u32_e32 8, v16
; %bb.3141:                             ;   in Loop: Header=BB6_2849 Depth=4
	s_delay_alu instid0(VALU_DEP_3) | instskip(NEXT) | instid1(VALU_DEP_1)
	v_clz_i32_u32_e32 v0, v2
	v_min_u32_e32 v0, 32, v0
	s_delay_alu instid0(VALU_DEP_1) | instskip(SKIP_1) | instid1(VALU_DEP_2)
	v_subrev_nc_u32_e32 v15, 28, v0
	v_sub_nc_u32_e32 v0, 29, v0
	v_lshlrev_b64_e32 v[16:17], v15, v[2:3]
	s_delay_alu instid0(VALU_DEP_1)
	v_and_b32_e32 v2, 7, v16
; %bb.3142:                             ;   in Loop: Header=BB6_2849 Depth=4
	s_or_b32 exec_lo, exec_lo, s76
	s_delay_alu instid0(VALU_DEP_1) | instskip(SKIP_1) | instid1(VALU_DEP_2)
	v_dual_lshlrev_b32 v15, 24, v109 :: v_dual_lshlrev_b32 v2, 20, v2
	v_lshl_add_u32 v0, v0, 23, 0x3c000000
	v_and_b32_e32 v15, 0x80000000, v15
	s_delay_alu instid0(VALU_DEP_1)
	v_or3_b32 v15, v2, v15, v0
.LBB6_3143:                             ;   in Loop: Header=BB6_2849 Depth=4
	s_or_b32 exec_lo, exec_lo, s75
.LBB6_3144:                             ;   in Loop: Header=BB6_2849 Depth=4
	s_delay_alu instid0(SALU_CYCLE_1)
	s_or_b32 exec_lo, exec_lo, s74
.LBB6_3145:                             ;   in Loop: Header=BB6_2849 Depth=4
	s_delay_alu instid0(SALU_CYCLE_1) | instskip(SKIP_3) | instid1(VALU_DEP_1)
	s_or_b32 exec_lo, exec_lo, s13
	s_wait_loadcnt_dscnt 0x1717
	v_and_b32_e32 v0, 0xff, v97
	s_mov_b32 s13, exec_lo
	v_cmpx_ne_u16_e32 0, v0
	s_cbranch_execz .LBB6_3153
; %bb.3146:                             ;   in Loop: Header=BB6_2849 Depth=4
	v_bfrev_b32_e32 v14, 1
	s_mov_b32 s74, exec_lo
	v_cmpx_ne_u16_e32 0x80, v0
	s_cbranch_execz .LBB6_3152
; %bb.3147:                             ;   in Loop: Header=BB6_2849 Depth=4
	v_and_b32_e32 v16, 0x7f, v97
	v_mov_b32_e32 v14, 0x7f800001
	s_mov_b32 s75, exec_lo
	s_delay_alu instid0(VALU_DEP_2)
	v_cmpx_ne_u32_e32 0x7f, v16
	s_cbranch_execz .LBB6_3151
; %bb.3148:                             ;   in Loop: Header=BB6_2849 Depth=4
	v_and_b32_e32 v2, 7, v0
	v_lshrrev_b32_e32 v0, 3, v16
	s_mov_b32 s76, exec_lo
	v_cmpx_gt_u32_e32 8, v16
; %bb.3149:                             ;   in Loop: Header=BB6_2849 Depth=4
	s_delay_alu instid0(VALU_DEP_3) | instskip(NEXT) | instid1(VALU_DEP_1)
	v_clz_i32_u32_e32 v0, v2
	v_min_u32_e32 v0, 32, v0
	s_delay_alu instid0(VALU_DEP_1) | instskip(SKIP_1) | instid1(VALU_DEP_2)
	v_subrev_nc_u32_e32 v14, 28, v0
	v_sub_nc_u32_e32 v0, 29, v0
	v_lshlrev_b64_e32 v[16:17], v14, v[2:3]
	s_delay_alu instid0(VALU_DEP_1)
	v_and_b32_e32 v2, 7, v16
; %bb.3150:                             ;   in Loop: Header=BB6_2849 Depth=4
	s_or_b32 exec_lo, exec_lo, s76
	s_delay_alu instid0(VALU_DEP_1) | instskip(SKIP_1) | instid1(VALU_DEP_2)
	v_dual_lshlrev_b32 v14, 24, v97 :: v_dual_lshlrev_b32 v2, 20, v2
	v_lshl_add_u32 v0, v0, 23, 0x3c000000
	v_and_b32_e32 v14, 0x80000000, v14
	s_delay_alu instid0(VALU_DEP_1)
	v_or3_b32 v14, v2, v14, v0
.LBB6_3151:                             ;   in Loop: Header=BB6_2849 Depth=4
	s_or_b32 exec_lo, exec_lo, s75
.LBB6_3152:                             ;   in Loop: Header=BB6_2849 Depth=4
	s_delay_alu instid0(SALU_CYCLE_1)
	s_or_b32 exec_lo, exec_lo, s74
.LBB6_3153:                             ;   in Loop: Header=BB6_2849 Depth=4
	s_delay_alu instid0(SALU_CYCLE_1) | instskip(NEXT) | instid1(VALU_DEP_1)
	s_or_b32 exec_lo, exec_lo, s13
	v_add_f32_e32 v0, v15, v14
                                        ; implicit-def: $vgpr97
	s_mov_b32 s13, exec_lo
	s_delay_alu instid0(VALU_DEP_1) | instskip(SKIP_1) | instid1(VALU_DEP_2)
	v_and_b32_e32 v2, 0x7f800000, v0
	v_lshrrev_b32_e32 v14, 24, v0
	v_cmpx_ne_u64_e32 0x7f800000, v[2:3]
	s_xor_b32 s74, exec_lo, s13
	s_cbranch_execz .LBB6_3171
; %bb.3154:                             ;   in Loop: Header=BB6_2849 Depth=4
	v_and_b32_e32 v2, 0x7fffffff, v0
	v_and_b32_e32 v66, 0x80, v14
                                        ; implicit-def: $vgpr97
	s_mov_b32 s13, exec_lo
	s_delay_alu instid0(VALU_DEP_2)
	v_cmpx_gt_u64_e32 0x43e00001, v[2:3]
	s_xor_b32 s75, exec_lo, s13
	s_cbranch_execz .LBB6_3168
; %bb.3155:                             ;   in Loop: Header=BB6_2849 Depth=4
	v_mov_b32_e32 v97, 0
	s_mov_b32 s76, exec_lo
	v_cmpx_ne_u32_e32 0, v0
	s_cbranch_execz .LBB6_3167
; %bb.3156:                             ;   in Loop: Header=BB6_2849 Depth=4
	v_and_b32_e32 v2, 0x7fffff, v0
	v_bfe_u32 v0, v0, 23, 8
	s_delay_alu instid0(VALU_DEP_2) | instskip(NEXT) | instid1(VALU_DEP_2)
	v_or_b32_e32 v15, 0x800000, v2
	v_cmp_gt_u32_e64 s13, 0x7a, v0
	v_sub_nc_u32_e32 v14, 0x79, v0
	v_cmp_eq_u32_e32 vcc_lo, 0, v0
	s_delay_alu instid0(VALU_DEP_2) | instskip(NEXT) | instid1(VALU_DEP_1)
	v_cndmask_b32_e64 v14, 0, v14, s13
	v_cndmask_b32_e64 v52, v14, 0x78, vcc_lo
	s_delay_alu instid0(VALU_DEP_1) | instskip(SKIP_1) | instid1(VALU_DEP_2)
	v_dual_cndmask_b32 v2, v15, v2, vcc_lo :: v_dual_add_nc_u32 v14, 20, v52
	v_add_nc_u32_e32 v16, 19, v52
	v_lshlrev_b64_e64 v[14:15], v14, -1
	s_delay_alu instid0(VALU_DEP_2) | instskip(NEXT) | instid1(VALU_DEP_2)
	v_lshlrev_b64_e64 v[16:17], v16, 1
	v_bfi_b32 v15, v15, 0, 0
	s_delay_alu instid0(VALU_DEP_3) | instskip(NEXT) | instid1(VALU_DEP_1)
	v_bfi_b32 v14, v14, 0, v2
	v_cmp_eq_u64_e64 s13, v[14:15], v[16:17]
	v_lshrrev_b64 v[14:15], v52, v[2:3]
	s_delay_alu instid0(VALU_DEP_1)
	v_mov_b64_e32 v[16:17], v[14:15]
	s_and_saveexec_b32 s77, s13
; %bb.3157:                             ;   in Loop: Header=BB6_2849 Depth=4
	v_bfe_u32 v2, v14, 20, 1
	s_delay_alu instid0(VALU_DEP_1) | instskip(NEXT) | instid1(VALU_DEP_1)
	v_add_nc_u64_e32 v[16:17], v[14:15], v[2:3]
	v_add_nc_u64_e32 v[16:17], -1, v[16:17]
; %bb.3158:                             ;   in Loop: Header=BB6_2849 Depth=4
	s_or_b32 exec_lo, exec_lo, s77
	v_add_nc_u32_e32 v0, 0xffffff81, v0
	v_lshrrev_b32_e32 v2, 23, v14
	s_mov_b32 s13, exec_lo
	s_delay_alu instid0(VALU_DEP_2) | instskip(NEXT) | instid1(VALU_DEP_1)
	v_cndmask_b32_e64 v0, v0, 0xffffff82, vcc_lo
	v_add3_u32 v17, v52, v0, v2
	v_and_b32_e32 v0, 0xfffff, v16
	s_delay_alu instid0(VALU_DEP_1) | instskip(NEXT) | instid1(VALU_DEP_1)
	v_dual_add_nc_u32 v16, 6, v17 :: v_dual_add_nc_u32 v2, v0, v14
                                        ; implicit-def: $vgpr14_vgpr15
                                        ; implicit-def: $vgpr0
	v_cmpx_ne_u32_e32 0, v16
	s_xor_b32 s13, exec_lo, s13
; %bb.3159:                             ;   in Loop: Header=BB6_2849 Depth=4
	s_delay_alu instid0(VALU_DEP_2) | instskip(SKIP_2) | instid1(VALU_DEP_2)
	v_cmp_lt_u64_e32 vcc_lo, 0xffffff, v[2:3]
	v_add_nc_u32_e32 v0, 7, v17
	v_cndmask_b32_e64 v14, 0, 1, vcc_lo
	v_cndmask_b32_e32 v0, v16, v0, vcc_lo
	s_delay_alu instid0(VALU_DEP_2)
	v_lshrrev_b64 v[14:15], v14, v[2:3]
; %bb.3160:                             ;   in Loop: Header=BB6_2849 Depth=4
	s_and_not1_saveexec_b32 s13, s13
; %bb.3161:                             ;   in Loop: Header=BB6_2849 Depth=4
	v_mov_b64_e32 v[14:15], v[2:3]
	v_bfe_u32 v0, v2, 23, 1
; %bb.3162:                             ;   in Loop: Header=BB6_2849 Depth=4
	s_or_b32 exec_lo, exec_lo, s13
	s_delay_alu instid0(VALU_DEP_2) | instskip(NEXT) | instid1(VALU_DEP_2)
	v_lshrrev_b64 v[14:15], 20, v[14:15]
	v_cmp_gt_i32_e32 vcc_lo, 16, v0
	v_cmp_ne_u32_e64 s13, 0, v0
                                        ; implicit-def: $vgpr97
	s_delay_alu instid0(VALU_DEP_3) | instskip(NEXT) | instid1(VALU_DEP_1)
	v_dual_cndmask_b32 v15, 0, v15 :: v_dual_cndmask_b32 v14, 7, v14
	v_cmp_ne_u64_e32 vcc_lo, 0, v[14:15]
	s_or_b32 s13, s13, vcc_lo
	s_delay_alu instid0(SALU_CYCLE_1) | instskip(NEXT) | instid1(SALU_CYCLE_1)
	s_and_saveexec_b32 s77, s13
	s_xor_b32 s13, exec_lo, s77
; %bb.3163:                             ;   in Loop: Header=BB6_2849 Depth=4
	v_min_i32_e32 v0, 15, v0
	s_delay_alu instid0(VALU_DEP_1) | instskip(NEXT) | instid1(VALU_DEP_1)
	v_lshl_or_b32 v0, v0, 3, v66
                                        ; implicit-def: $vgpr66
	v_and_or_b32 v97, v14, 7, v0
; %bb.3164:                             ;   in Loop: Header=BB6_2849 Depth=4
	s_and_not1_saveexec_b32 s13, s13
; %bb.3165:                             ;   in Loop: Header=BB6_2849 Depth=4
	v_mov_b32_e32 v97, v66
; %bb.3166:                             ;   in Loop: Header=BB6_2849 Depth=4
	s_or_b32 exec_lo, exec_lo, s13
.LBB6_3167:                             ;   in Loop: Header=BB6_2849 Depth=4
	s_delay_alu instid0(SALU_CYCLE_1)
	s_or_b32 exec_lo, exec_lo, s76
                                        ; implicit-def: $vgpr66
.LBB6_3168:                             ;   in Loop: Header=BB6_2849 Depth=4
	s_and_not1_saveexec_b32 s13, s75
; %bb.3169:                             ;   in Loop: Header=BB6_2849 Depth=4
	v_or_b32_e32 v97, 0x7e, v66
; %bb.3170:                             ;   in Loop: Header=BB6_2849 Depth=4
	s_or_b32 exec_lo, exec_lo, s13
                                        ; implicit-def: $vgpr14
.LBB6_3171:                             ;   in Loop: Header=BB6_2849 Depth=4
	s_and_not1_saveexec_b32 s13, s74
; %bb.3172:                             ;   in Loop: Header=BB6_2849 Depth=4
	v_or_b32_e32 v97, 0x7f, v14
; %bb.3173:                             ;   in Loop: Header=BB6_2849 Depth=4
	s_or_b32 exec_lo, exec_lo, s13
	v_and_b32_e32 v0, 0xff, v108
	v_dual_mov_b32 v14, 0 :: v_dual_mov_b32 v15, 0
	s_mov_b32 s13, exec_lo
	s_delay_alu instid0(VALU_DEP_2)
	v_cmpx_ne_u16_e32 0, v0
	s_cbranch_execz .LBB6_3181
; %bb.3174:                             ;   in Loop: Header=BB6_2849 Depth=4
	v_bfrev_b32_e32 v15, 1
	s_mov_b32 s74, exec_lo
	v_cmpx_ne_u16_e32 0x80, v0
	s_cbranch_execz .LBB6_3180
; %bb.3175:                             ;   in Loop: Header=BB6_2849 Depth=4
	v_and_b32_e32 v16, 0x7f, v108
	v_mov_b32_e32 v15, 0x7f800001
	s_mov_b32 s75, exec_lo
	s_delay_alu instid0(VALU_DEP_2)
	v_cmpx_ne_u32_e32 0x7f, v16
	s_cbranch_execz .LBB6_3179
; %bb.3176:                             ;   in Loop: Header=BB6_2849 Depth=4
	v_and_b32_e32 v2, 7, v0
	v_lshrrev_b32_e32 v0, 3, v16
	s_mov_b32 s76, exec_lo
	v_cmpx_gt_u32_e32 8, v16
; %bb.3177:                             ;   in Loop: Header=BB6_2849 Depth=4
	s_delay_alu instid0(VALU_DEP_3) | instskip(NEXT) | instid1(VALU_DEP_1)
	v_clz_i32_u32_e32 v0, v2
	v_min_u32_e32 v0, 32, v0
	s_delay_alu instid0(VALU_DEP_1) | instskip(SKIP_1) | instid1(VALU_DEP_2)
	v_subrev_nc_u32_e32 v15, 28, v0
	v_sub_nc_u32_e32 v0, 29, v0
	v_lshlrev_b64_e32 v[16:17], v15, v[2:3]
	s_delay_alu instid0(VALU_DEP_1)
	v_and_b32_e32 v2, 7, v16
; %bb.3178:                             ;   in Loop: Header=BB6_2849 Depth=4
	s_or_b32 exec_lo, exec_lo, s76
	s_delay_alu instid0(VALU_DEP_1) | instskip(SKIP_1) | instid1(VALU_DEP_2)
	v_dual_lshlrev_b32 v15, 24, v108 :: v_dual_lshlrev_b32 v2, 20, v2
	v_lshl_add_u32 v0, v0, 23, 0x3c000000
	v_and_b32_e32 v15, 0x80000000, v15
	s_delay_alu instid0(VALU_DEP_1)
	v_or3_b32 v15, v2, v15, v0
.LBB6_3179:                             ;   in Loop: Header=BB6_2849 Depth=4
	s_or_b32 exec_lo, exec_lo, s75
.LBB6_3180:                             ;   in Loop: Header=BB6_2849 Depth=4
	s_delay_alu instid0(SALU_CYCLE_1)
	s_or_b32 exec_lo, exec_lo, s74
.LBB6_3181:                             ;   in Loop: Header=BB6_2849 Depth=4
	s_delay_alu instid0(SALU_CYCLE_1) | instskip(SKIP_3) | instid1(VALU_DEP_1)
	s_or_b32 exec_lo, exec_lo, s13
	s_wait_loadcnt_dscnt 0x1616
	v_and_b32_e32 v0, 0xff, v100
	s_mov_b32 s13, exec_lo
	v_cmpx_ne_u16_e32 0, v0
	s_cbranch_execz .LBB6_3189
; %bb.3182:                             ;   in Loop: Header=BB6_2849 Depth=4
	v_bfrev_b32_e32 v14, 1
	s_mov_b32 s74, exec_lo
	v_cmpx_ne_u16_e32 0x80, v0
	s_cbranch_execz .LBB6_3188
; %bb.3183:                             ;   in Loop: Header=BB6_2849 Depth=4
	v_and_b32_e32 v16, 0x7f, v100
	v_mov_b32_e32 v14, 0x7f800001
	s_mov_b32 s75, exec_lo
	s_delay_alu instid0(VALU_DEP_2)
	v_cmpx_ne_u32_e32 0x7f, v16
	s_cbranch_execz .LBB6_3187
; %bb.3184:                             ;   in Loop: Header=BB6_2849 Depth=4
	v_and_b32_e32 v2, 7, v0
	v_lshrrev_b32_e32 v0, 3, v16
	s_mov_b32 s76, exec_lo
	v_cmpx_gt_u32_e32 8, v16
; %bb.3185:                             ;   in Loop: Header=BB6_2849 Depth=4
	s_delay_alu instid0(VALU_DEP_3) | instskip(NEXT) | instid1(VALU_DEP_1)
	v_clz_i32_u32_e32 v0, v2
	v_min_u32_e32 v0, 32, v0
	s_delay_alu instid0(VALU_DEP_1) | instskip(SKIP_1) | instid1(VALU_DEP_2)
	v_subrev_nc_u32_e32 v14, 28, v0
	v_sub_nc_u32_e32 v0, 29, v0
	v_lshlrev_b64_e32 v[16:17], v14, v[2:3]
	s_delay_alu instid0(VALU_DEP_1)
	v_and_b32_e32 v2, 7, v16
; %bb.3186:                             ;   in Loop: Header=BB6_2849 Depth=4
	s_or_b32 exec_lo, exec_lo, s76
	s_delay_alu instid0(VALU_DEP_1) | instskip(SKIP_1) | instid1(VALU_DEP_2)
	v_dual_lshlrev_b32 v14, 24, v100 :: v_dual_lshlrev_b32 v2, 20, v2
	v_lshl_add_u32 v0, v0, 23, 0x3c000000
	v_and_b32_e32 v14, 0x80000000, v14
	s_delay_alu instid0(VALU_DEP_1)
	v_or3_b32 v14, v2, v14, v0
.LBB6_3187:                             ;   in Loop: Header=BB6_2849 Depth=4
	s_or_b32 exec_lo, exec_lo, s75
.LBB6_3188:                             ;   in Loop: Header=BB6_2849 Depth=4
	s_delay_alu instid0(SALU_CYCLE_1)
	s_or_b32 exec_lo, exec_lo, s74
.LBB6_3189:                             ;   in Loop: Header=BB6_2849 Depth=4
	s_delay_alu instid0(SALU_CYCLE_1) | instskip(NEXT) | instid1(VALU_DEP_1)
	s_or_b32 exec_lo, exec_lo, s13
	v_add_f32_e32 v0, v15, v14
                                        ; implicit-def: $vgpr100
	s_mov_b32 s13, exec_lo
	s_delay_alu instid0(VALU_DEP_1) | instskip(SKIP_1) | instid1(VALU_DEP_2)
	v_and_b32_e32 v2, 0x7f800000, v0
	v_lshrrev_b32_e32 v14, 24, v0
	v_cmpx_ne_u64_e32 0x7f800000, v[2:3]
	s_xor_b32 s74, exec_lo, s13
	s_cbranch_execz .LBB6_3207
; %bb.3190:                             ;   in Loop: Header=BB6_2849 Depth=4
	v_and_b32_e32 v2, 0x7fffffff, v0
	v_and_b32_e32 v66, 0x80, v14
                                        ; implicit-def: $vgpr100
	s_mov_b32 s13, exec_lo
	s_delay_alu instid0(VALU_DEP_2)
	v_cmpx_gt_u64_e32 0x43e00001, v[2:3]
	s_xor_b32 s75, exec_lo, s13
	s_cbranch_execz .LBB6_3204
; %bb.3191:                             ;   in Loop: Header=BB6_2849 Depth=4
	v_mov_b32_e32 v100, 0
	s_mov_b32 s76, exec_lo
	v_cmpx_ne_u32_e32 0, v0
	s_cbranch_execz .LBB6_3203
; %bb.3192:                             ;   in Loop: Header=BB6_2849 Depth=4
	v_and_b32_e32 v2, 0x7fffff, v0
	v_bfe_u32 v0, v0, 23, 8
	s_delay_alu instid0(VALU_DEP_2) | instskip(NEXT) | instid1(VALU_DEP_2)
	v_or_b32_e32 v15, 0x800000, v2
	v_cmp_gt_u32_e64 s13, 0x7a, v0
	v_sub_nc_u32_e32 v14, 0x79, v0
	v_cmp_eq_u32_e32 vcc_lo, 0, v0
	s_delay_alu instid0(VALU_DEP_2) | instskip(NEXT) | instid1(VALU_DEP_1)
	v_cndmask_b32_e64 v14, 0, v14, s13
	v_cndmask_b32_e64 v52, v14, 0x78, vcc_lo
	s_delay_alu instid0(VALU_DEP_1) | instskip(SKIP_1) | instid1(VALU_DEP_2)
	v_dual_cndmask_b32 v2, v15, v2, vcc_lo :: v_dual_add_nc_u32 v14, 20, v52
	v_add_nc_u32_e32 v16, 19, v52
	v_lshlrev_b64_e64 v[14:15], v14, -1
	s_delay_alu instid0(VALU_DEP_2) | instskip(NEXT) | instid1(VALU_DEP_2)
	v_lshlrev_b64_e64 v[16:17], v16, 1
	v_bfi_b32 v15, v15, 0, 0
	s_delay_alu instid0(VALU_DEP_3) | instskip(NEXT) | instid1(VALU_DEP_1)
	v_bfi_b32 v14, v14, 0, v2
	v_cmp_eq_u64_e64 s13, v[14:15], v[16:17]
	v_lshrrev_b64 v[14:15], v52, v[2:3]
	s_delay_alu instid0(VALU_DEP_1)
	v_mov_b64_e32 v[16:17], v[14:15]
	s_and_saveexec_b32 s77, s13
; %bb.3193:                             ;   in Loop: Header=BB6_2849 Depth=4
	v_bfe_u32 v2, v14, 20, 1
	s_delay_alu instid0(VALU_DEP_1) | instskip(NEXT) | instid1(VALU_DEP_1)
	v_add_nc_u64_e32 v[16:17], v[14:15], v[2:3]
	v_add_nc_u64_e32 v[16:17], -1, v[16:17]
; %bb.3194:                             ;   in Loop: Header=BB6_2849 Depth=4
	s_or_b32 exec_lo, exec_lo, s77
	v_add_nc_u32_e32 v0, 0xffffff81, v0
	v_lshrrev_b32_e32 v2, 23, v14
	s_mov_b32 s13, exec_lo
	s_delay_alu instid0(VALU_DEP_2) | instskip(NEXT) | instid1(VALU_DEP_1)
	v_cndmask_b32_e64 v0, v0, 0xffffff82, vcc_lo
	v_add3_u32 v17, v52, v0, v2
	v_and_b32_e32 v0, 0xfffff, v16
	s_delay_alu instid0(VALU_DEP_1) | instskip(NEXT) | instid1(VALU_DEP_1)
	v_dual_add_nc_u32 v16, 6, v17 :: v_dual_add_nc_u32 v2, v0, v14
                                        ; implicit-def: $vgpr14_vgpr15
                                        ; implicit-def: $vgpr0
	v_cmpx_ne_u32_e32 0, v16
	s_xor_b32 s13, exec_lo, s13
; %bb.3195:                             ;   in Loop: Header=BB6_2849 Depth=4
	s_delay_alu instid0(VALU_DEP_2) | instskip(SKIP_2) | instid1(VALU_DEP_2)
	v_cmp_lt_u64_e32 vcc_lo, 0xffffff, v[2:3]
	v_add_nc_u32_e32 v0, 7, v17
	v_cndmask_b32_e64 v14, 0, 1, vcc_lo
	v_cndmask_b32_e32 v0, v16, v0, vcc_lo
	s_delay_alu instid0(VALU_DEP_2)
	v_lshrrev_b64 v[14:15], v14, v[2:3]
; %bb.3196:                             ;   in Loop: Header=BB6_2849 Depth=4
	s_and_not1_saveexec_b32 s13, s13
; %bb.3197:                             ;   in Loop: Header=BB6_2849 Depth=4
	v_mov_b64_e32 v[14:15], v[2:3]
	v_bfe_u32 v0, v2, 23, 1
; %bb.3198:                             ;   in Loop: Header=BB6_2849 Depth=4
	s_or_b32 exec_lo, exec_lo, s13
	s_delay_alu instid0(VALU_DEP_2) | instskip(NEXT) | instid1(VALU_DEP_2)
	v_lshrrev_b64 v[14:15], 20, v[14:15]
	v_cmp_gt_i32_e32 vcc_lo, 16, v0
	v_cmp_ne_u32_e64 s13, 0, v0
                                        ; implicit-def: $vgpr100
	s_delay_alu instid0(VALU_DEP_3) | instskip(NEXT) | instid1(VALU_DEP_1)
	v_dual_cndmask_b32 v15, 0, v15 :: v_dual_cndmask_b32 v14, 7, v14
	v_cmp_ne_u64_e32 vcc_lo, 0, v[14:15]
	s_or_b32 s13, s13, vcc_lo
	s_delay_alu instid0(SALU_CYCLE_1) | instskip(NEXT) | instid1(SALU_CYCLE_1)
	s_and_saveexec_b32 s77, s13
	s_xor_b32 s13, exec_lo, s77
; %bb.3199:                             ;   in Loop: Header=BB6_2849 Depth=4
	v_min_i32_e32 v0, 15, v0
	s_delay_alu instid0(VALU_DEP_1) | instskip(NEXT) | instid1(VALU_DEP_1)
	v_lshl_or_b32 v0, v0, 3, v66
                                        ; implicit-def: $vgpr66
	v_and_or_b32 v100, v14, 7, v0
; %bb.3200:                             ;   in Loop: Header=BB6_2849 Depth=4
	s_and_not1_saveexec_b32 s13, s13
; %bb.3201:                             ;   in Loop: Header=BB6_2849 Depth=4
	v_mov_b32_e32 v100, v66
; %bb.3202:                             ;   in Loop: Header=BB6_2849 Depth=4
	s_or_b32 exec_lo, exec_lo, s13
.LBB6_3203:                             ;   in Loop: Header=BB6_2849 Depth=4
	s_delay_alu instid0(SALU_CYCLE_1)
	s_or_b32 exec_lo, exec_lo, s76
                                        ; implicit-def: $vgpr66
.LBB6_3204:                             ;   in Loop: Header=BB6_2849 Depth=4
	s_and_not1_saveexec_b32 s13, s75
; %bb.3205:                             ;   in Loop: Header=BB6_2849 Depth=4
	v_or_b32_e32 v100, 0x7e, v66
; %bb.3206:                             ;   in Loop: Header=BB6_2849 Depth=4
	s_or_b32 exec_lo, exec_lo, s13
                                        ; implicit-def: $vgpr14
.LBB6_3207:                             ;   in Loop: Header=BB6_2849 Depth=4
	s_and_not1_saveexec_b32 s13, s74
; %bb.3208:                             ;   in Loop: Header=BB6_2849 Depth=4
	v_or_b32_e32 v100, 0x7f, v14
; %bb.3209:                             ;   in Loop: Header=BB6_2849 Depth=4
	s_or_b32 exec_lo, exec_lo, s13
	v_and_b32_e32 v0, 0xff, v107
	v_dual_mov_b32 v14, 0 :: v_dual_mov_b32 v15, 0
	s_mov_b32 s13, exec_lo
	s_delay_alu instid0(VALU_DEP_2)
	v_cmpx_ne_u16_e32 0, v0
	s_cbranch_execz .LBB6_3217
; %bb.3210:                             ;   in Loop: Header=BB6_2849 Depth=4
	v_bfrev_b32_e32 v15, 1
	s_mov_b32 s74, exec_lo
	v_cmpx_ne_u16_e32 0x80, v0
	s_cbranch_execz .LBB6_3216
; %bb.3211:                             ;   in Loop: Header=BB6_2849 Depth=4
	v_and_b32_e32 v16, 0x7f, v107
	v_mov_b32_e32 v15, 0x7f800001
	s_mov_b32 s75, exec_lo
	s_delay_alu instid0(VALU_DEP_2)
	v_cmpx_ne_u32_e32 0x7f, v16
	s_cbranch_execz .LBB6_3215
; %bb.3212:                             ;   in Loop: Header=BB6_2849 Depth=4
	v_and_b32_e32 v2, 7, v0
	v_lshrrev_b32_e32 v0, 3, v16
	s_mov_b32 s76, exec_lo
	v_cmpx_gt_u32_e32 8, v16
; %bb.3213:                             ;   in Loop: Header=BB6_2849 Depth=4
	s_delay_alu instid0(VALU_DEP_3) | instskip(NEXT) | instid1(VALU_DEP_1)
	v_clz_i32_u32_e32 v0, v2
	v_min_u32_e32 v0, 32, v0
	s_delay_alu instid0(VALU_DEP_1) | instskip(SKIP_1) | instid1(VALU_DEP_2)
	v_subrev_nc_u32_e32 v15, 28, v0
	v_sub_nc_u32_e32 v0, 29, v0
	v_lshlrev_b64_e32 v[16:17], v15, v[2:3]
	s_delay_alu instid0(VALU_DEP_1)
	v_and_b32_e32 v2, 7, v16
; %bb.3214:                             ;   in Loop: Header=BB6_2849 Depth=4
	s_or_b32 exec_lo, exec_lo, s76
	s_delay_alu instid0(VALU_DEP_1) | instskip(SKIP_1) | instid1(VALU_DEP_2)
	v_dual_lshlrev_b32 v15, 24, v107 :: v_dual_lshlrev_b32 v2, 20, v2
	v_lshl_add_u32 v0, v0, 23, 0x3c000000
	v_and_b32_e32 v15, 0x80000000, v15
	s_delay_alu instid0(VALU_DEP_1)
	v_or3_b32 v15, v2, v15, v0
.LBB6_3215:                             ;   in Loop: Header=BB6_2849 Depth=4
	s_or_b32 exec_lo, exec_lo, s75
.LBB6_3216:                             ;   in Loop: Header=BB6_2849 Depth=4
	s_delay_alu instid0(SALU_CYCLE_1)
	s_or_b32 exec_lo, exec_lo, s74
.LBB6_3217:                             ;   in Loop: Header=BB6_2849 Depth=4
	s_delay_alu instid0(SALU_CYCLE_1) | instskip(SKIP_3) | instid1(VALU_DEP_1)
	s_or_b32 exec_lo, exec_lo, s13
	s_wait_loadcnt_dscnt 0x1515
	v_and_b32_e32 v0, 0xff, v59
	s_mov_b32 s13, exec_lo
	v_cmpx_ne_u16_e32 0, v0
	s_cbranch_execz .LBB6_3225
; %bb.3218:                             ;   in Loop: Header=BB6_2849 Depth=4
	v_bfrev_b32_e32 v14, 1
	s_mov_b32 s74, exec_lo
	v_cmpx_ne_u16_e32 0x80, v0
	s_cbranch_execz .LBB6_3224
; %bb.3219:                             ;   in Loop: Header=BB6_2849 Depth=4
	v_and_b32_e32 v16, 0x7f, v59
	v_mov_b32_e32 v14, 0x7f800001
	s_mov_b32 s75, exec_lo
	s_delay_alu instid0(VALU_DEP_2)
	v_cmpx_ne_u32_e32 0x7f, v16
	s_cbranch_execz .LBB6_3223
; %bb.3220:                             ;   in Loop: Header=BB6_2849 Depth=4
	v_and_b32_e32 v2, 7, v0
	v_lshrrev_b32_e32 v0, 3, v16
	s_mov_b32 s76, exec_lo
	v_cmpx_gt_u32_e32 8, v16
; %bb.3221:                             ;   in Loop: Header=BB6_2849 Depth=4
	s_delay_alu instid0(VALU_DEP_3) | instskip(NEXT) | instid1(VALU_DEP_1)
	v_clz_i32_u32_e32 v0, v2
	v_min_u32_e32 v0, 32, v0
	s_delay_alu instid0(VALU_DEP_1) | instskip(SKIP_1) | instid1(VALU_DEP_2)
	v_subrev_nc_u32_e32 v14, 28, v0
	v_sub_nc_u32_e32 v0, 29, v0
	v_lshlrev_b64_e32 v[16:17], v14, v[2:3]
	s_delay_alu instid0(VALU_DEP_1)
	v_and_b32_e32 v2, 7, v16
; %bb.3222:                             ;   in Loop: Header=BB6_2849 Depth=4
	s_or_b32 exec_lo, exec_lo, s76
	s_delay_alu instid0(VALU_DEP_1) | instskip(SKIP_1) | instid1(VALU_DEP_2)
	v_dual_lshlrev_b32 v14, 24, v59 :: v_dual_lshlrev_b32 v2, 20, v2
	v_lshl_add_u32 v0, v0, 23, 0x3c000000
	v_and_b32_e32 v14, 0x80000000, v14
	s_delay_alu instid0(VALU_DEP_1)
	v_or3_b32 v14, v2, v14, v0
.LBB6_3223:                             ;   in Loop: Header=BB6_2849 Depth=4
	s_or_b32 exec_lo, exec_lo, s75
.LBB6_3224:                             ;   in Loop: Header=BB6_2849 Depth=4
	s_delay_alu instid0(SALU_CYCLE_1)
	s_or_b32 exec_lo, exec_lo, s74
.LBB6_3225:                             ;   in Loop: Header=BB6_2849 Depth=4
	s_delay_alu instid0(SALU_CYCLE_1) | instskip(NEXT) | instid1(VALU_DEP_1)
	s_or_b32 exec_lo, exec_lo, s13
	v_add_f32_e32 v0, v15, v14
                                        ; implicit-def: $vgpr59
	s_mov_b32 s13, exec_lo
	s_delay_alu instid0(VALU_DEP_1) | instskip(SKIP_1) | instid1(VALU_DEP_2)
	v_and_b32_e32 v2, 0x7f800000, v0
	v_lshrrev_b32_e32 v14, 24, v0
	v_cmpx_ne_u64_e32 0x7f800000, v[2:3]
	s_xor_b32 s74, exec_lo, s13
	s_cbranch_execz .LBB6_3243
; %bb.3226:                             ;   in Loop: Header=BB6_2849 Depth=4
	v_and_b32_e32 v2, 0x7fffffff, v0
	v_and_b32_e32 v66, 0x80, v14
                                        ; implicit-def: $vgpr59
	s_mov_b32 s13, exec_lo
	s_delay_alu instid0(VALU_DEP_2)
	v_cmpx_gt_u64_e32 0x43e00001, v[2:3]
	s_xor_b32 s75, exec_lo, s13
	s_cbranch_execz .LBB6_3240
; %bb.3227:                             ;   in Loop: Header=BB6_2849 Depth=4
	v_mov_b32_e32 v59, 0
	s_mov_b32 s76, exec_lo
	v_cmpx_ne_u32_e32 0, v0
	s_cbranch_execz .LBB6_3239
; %bb.3228:                             ;   in Loop: Header=BB6_2849 Depth=4
	v_and_b32_e32 v2, 0x7fffff, v0
	v_bfe_u32 v0, v0, 23, 8
	s_delay_alu instid0(VALU_DEP_2) | instskip(NEXT) | instid1(VALU_DEP_2)
	v_or_b32_e32 v15, 0x800000, v2
	v_cmp_gt_u32_e64 s13, 0x7a, v0
	v_sub_nc_u32_e32 v14, 0x79, v0
	v_cmp_eq_u32_e32 vcc_lo, 0, v0
	s_delay_alu instid0(VALU_DEP_2) | instskip(NEXT) | instid1(VALU_DEP_1)
	v_cndmask_b32_e64 v14, 0, v14, s13
	v_cndmask_b32_e64 v52, v14, 0x78, vcc_lo
	s_delay_alu instid0(VALU_DEP_1) | instskip(SKIP_1) | instid1(VALU_DEP_2)
	v_dual_cndmask_b32 v2, v15, v2, vcc_lo :: v_dual_add_nc_u32 v14, 20, v52
	v_add_nc_u32_e32 v16, 19, v52
	v_lshlrev_b64_e64 v[14:15], v14, -1
	s_delay_alu instid0(VALU_DEP_2) | instskip(NEXT) | instid1(VALU_DEP_2)
	v_lshlrev_b64_e64 v[16:17], v16, 1
	v_bfi_b32 v15, v15, 0, 0
	s_delay_alu instid0(VALU_DEP_3) | instskip(NEXT) | instid1(VALU_DEP_1)
	v_bfi_b32 v14, v14, 0, v2
	v_cmp_eq_u64_e64 s13, v[14:15], v[16:17]
	v_lshrrev_b64 v[14:15], v52, v[2:3]
	s_delay_alu instid0(VALU_DEP_1)
	v_mov_b64_e32 v[16:17], v[14:15]
	s_and_saveexec_b32 s77, s13
; %bb.3229:                             ;   in Loop: Header=BB6_2849 Depth=4
	v_bfe_u32 v2, v14, 20, 1
	s_delay_alu instid0(VALU_DEP_1) | instskip(NEXT) | instid1(VALU_DEP_1)
	v_add_nc_u64_e32 v[16:17], v[14:15], v[2:3]
	v_add_nc_u64_e32 v[16:17], -1, v[16:17]
; %bb.3230:                             ;   in Loop: Header=BB6_2849 Depth=4
	s_or_b32 exec_lo, exec_lo, s77
	v_add_nc_u32_e32 v0, 0xffffff81, v0
	v_lshrrev_b32_e32 v2, 23, v14
	s_mov_b32 s13, exec_lo
	s_delay_alu instid0(VALU_DEP_2) | instskip(NEXT) | instid1(VALU_DEP_1)
	v_cndmask_b32_e64 v0, v0, 0xffffff82, vcc_lo
	v_add3_u32 v17, v52, v0, v2
	v_and_b32_e32 v0, 0xfffff, v16
	s_delay_alu instid0(VALU_DEP_1) | instskip(NEXT) | instid1(VALU_DEP_1)
	v_dual_add_nc_u32 v16, 6, v17 :: v_dual_add_nc_u32 v2, v0, v14
                                        ; implicit-def: $vgpr14_vgpr15
                                        ; implicit-def: $vgpr0
	v_cmpx_ne_u32_e32 0, v16
	s_xor_b32 s13, exec_lo, s13
; %bb.3231:                             ;   in Loop: Header=BB6_2849 Depth=4
	s_delay_alu instid0(VALU_DEP_2) | instskip(SKIP_2) | instid1(VALU_DEP_2)
	v_cmp_lt_u64_e32 vcc_lo, 0xffffff, v[2:3]
	v_add_nc_u32_e32 v0, 7, v17
	v_cndmask_b32_e64 v14, 0, 1, vcc_lo
	v_cndmask_b32_e32 v0, v16, v0, vcc_lo
	s_delay_alu instid0(VALU_DEP_2)
	v_lshrrev_b64 v[14:15], v14, v[2:3]
; %bb.3232:                             ;   in Loop: Header=BB6_2849 Depth=4
	s_and_not1_saveexec_b32 s13, s13
; %bb.3233:                             ;   in Loop: Header=BB6_2849 Depth=4
	v_mov_b64_e32 v[14:15], v[2:3]
	v_bfe_u32 v0, v2, 23, 1
; %bb.3234:                             ;   in Loop: Header=BB6_2849 Depth=4
	s_or_b32 exec_lo, exec_lo, s13
	s_delay_alu instid0(VALU_DEP_2) | instskip(NEXT) | instid1(VALU_DEP_2)
	v_lshrrev_b64 v[14:15], 20, v[14:15]
	v_cmp_gt_i32_e32 vcc_lo, 16, v0
	v_cmp_ne_u32_e64 s13, 0, v0
                                        ; implicit-def: $vgpr59
	s_delay_alu instid0(VALU_DEP_3) | instskip(NEXT) | instid1(VALU_DEP_1)
	v_dual_cndmask_b32 v15, 0, v15 :: v_dual_cndmask_b32 v14, 7, v14
	v_cmp_ne_u64_e32 vcc_lo, 0, v[14:15]
	s_or_b32 s13, s13, vcc_lo
	s_delay_alu instid0(SALU_CYCLE_1) | instskip(NEXT) | instid1(SALU_CYCLE_1)
	s_and_saveexec_b32 s77, s13
	s_xor_b32 s13, exec_lo, s77
; %bb.3235:                             ;   in Loop: Header=BB6_2849 Depth=4
	v_min_i32_e32 v0, 15, v0
	s_delay_alu instid0(VALU_DEP_1) | instskip(NEXT) | instid1(VALU_DEP_1)
	v_lshl_or_b32 v0, v0, 3, v66
                                        ; implicit-def: $vgpr66
	v_and_or_b32 v59, v14, 7, v0
; %bb.3236:                             ;   in Loop: Header=BB6_2849 Depth=4
	s_and_not1_saveexec_b32 s13, s13
; %bb.3237:                             ;   in Loop: Header=BB6_2849 Depth=4
	v_mov_b32_e32 v59, v66
; %bb.3238:                             ;   in Loop: Header=BB6_2849 Depth=4
	s_or_b32 exec_lo, exec_lo, s13
.LBB6_3239:                             ;   in Loop: Header=BB6_2849 Depth=4
	s_delay_alu instid0(SALU_CYCLE_1)
	s_or_b32 exec_lo, exec_lo, s76
                                        ; implicit-def: $vgpr66
.LBB6_3240:                             ;   in Loop: Header=BB6_2849 Depth=4
	s_and_not1_saveexec_b32 s13, s75
; %bb.3241:                             ;   in Loop: Header=BB6_2849 Depth=4
	v_or_b32_e32 v59, 0x7e, v66
; %bb.3242:                             ;   in Loop: Header=BB6_2849 Depth=4
	s_or_b32 exec_lo, exec_lo, s13
                                        ; implicit-def: $vgpr14
.LBB6_3243:                             ;   in Loop: Header=BB6_2849 Depth=4
	s_and_not1_saveexec_b32 s13, s74
; %bb.3244:                             ;   in Loop: Header=BB6_2849 Depth=4
	v_or_b32_e32 v59, 0x7f, v14
; %bb.3245:                             ;   in Loop: Header=BB6_2849 Depth=4
	s_or_b32 exec_lo, exec_lo, s13
	v_and_b32_e32 v0, 0xff, v88
	v_dual_mov_b32 v14, 0 :: v_dual_mov_b32 v15, 0
	s_mov_b32 s13, exec_lo
	s_delay_alu instid0(VALU_DEP_2)
	v_cmpx_ne_u16_e32 0, v0
	s_cbranch_execz .LBB6_3253
; %bb.3246:                             ;   in Loop: Header=BB6_2849 Depth=4
	v_bfrev_b32_e32 v15, 1
	s_mov_b32 s74, exec_lo
	v_cmpx_ne_u16_e32 0x80, v0
	s_cbranch_execz .LBB6_3252
; %bb.3247:                             ;   in Loop: Header=BB6_2849 Depth=4
	v_and_b32_e32 v16, 0x7f, v88
	v_mov_b32_e32 v15, 0x7f800001
	s_mov_b32 s75, exec_lo
	s_delay_alu instid0(VALU_DEP_2)
	v_cmpx_ne_u32_e32 0x7f, v16
	s_cbranch_execz .LBB6_3251
; %bb.3248:                             ;   in Loop: Header=BB6_2849 Depth=4
	v_and_b32_e32 v2, 7, v0
	v_lshrrev_b32_e32 v0, 3, v16
	s_mov_b32 s76, exec_lo
	v_cmpx_gt_u32_e32 8, v16
; %bb.3249:                             ;   in Loop: Header=BB6_2849 Depth=4
	s_delay_alu instid0(VALU_DEP_3) | instskip(NEXT) | instid1(VALU_DEP_1)
	v_clz_i32_u32_e32 v0, v2
	v_min_u32_e32 v0, 32, v0
	s_delay_alu instid0(VALU_DEP_1) | instskip(SKIP_1) | instid1(VALU_DEP_2)
	v_subrev_nc_u32_e32 v15, 28, v0
	v_sub_nc_u32_e32 v0, 29, v0
	v_lshlrev_b64_e32 v[16:17], v15, v[2:3]
	s_delay_alu instid0(VALU_DEP_1)
	v_and_b32_e32 v2, 7, v16
; %bb.3250:                             ;   in Loop: Header=BB6_2849 Depth=4
	s_or_b32 exec_lo, exec_lo, s76
	s_delay_alu instid0(VALU_DEP_1) | instskip(SKIP_1) | instid1(VALU_DEP_2)
	v_dual_lshlrev_b32 v15, 24, v88 :: v_dual_lshlrev_b32 v2, 20, v2
	v_lshl_add_u32 v0, v0, 23, 0x3c000000
	v_and_b32_e32 v15, 0x80000000, v15
	s_delay_alu instid0(VALU_DEP_1)
	v_or3_b32 v15, v2, v15, v0
.LBB6_3251:                             ;   in Loop: Header=BB6_2849 Depth=4
	s_or_b32 exec_lo, exec_lo, s75
.LBB6_3252:                             ;   in Loop: Header=BB6_2849 Depth=4
	s_delay_alu instid0(SALU_CYCLE_1)
	s_or_b32 exec_lo, exec_lo, s74
.LBB6_3253:                             ;   in Loop: Header=BB6_2849 Depth=4
	s_delay_alu instid0(SALU_CYCLE_1) | instskip(SKIP_3) | instid1(VALU_DEP_1)
	s_or_b32 exec_lo, exec_lo, s13
	s_wait_loadcnt_dscnt 0x1414
	v_and_b32_e32 v0, 0xff, v72
	s_mov_b32 s13, exec_lo
	v_cmpx_ne_u16_e32 0, v0
	s_cbranch_execz .LBB6_3261
; %bb.3254:                             ;   in Loop: Header=BB6_2849 Depth=4
	v_bfrev_b32_e32 v14, 1
	s_mov_b32 s74, exec_lo
	v_cmpx_ne_u16_e32 0x80, v0
	s_cbranch_execz .LBB6_3260
; %bb.3255:                             ;   in Loop: Header=BB6_2849 Depth=4
	v_and_b32_e32 v16, 0x7f, v72
	v_mov_b32_e32 v14, 0x7f800001
	s_mov_b32 s75, exec_lo
	s_delay_alu instid0(VALU_DEP_2)
	v_cmpx_ne_u32_e32 0x7f, v16
	s_cbranch_execz .LBB6_3259
; %bb.3256:                             ;   in Loop: Header=BB6_2849 Depth=4
	v_and_b32_e32 v2, 7, v0
	v_lshrrev_b32_e32 v0, 3, v16
	s_mov_b32 s76, exec_lo
	v_cmpx_gt_u32_e32 8, v16
; %bb.3257:                             ;   in Loop: Header=BB6_2849 Depth=4
	s_delay_alu instid0(VALU_DEP_3) | instskip(NEXT) | instid1(VALU_DEP_1)
	v_clz_i32_u32_e32 v0, v2
	v_min_u32_e32 v0, 32, v0
	s_delay_alu instid0(VALU_DEP_1) | instskip(SKIP_1) | instid1(VALU_DEP_2)
	v_subrev_nc_u32_e32 v14, 28, v0
	v_sub_nc_u32_e32 v0, 29, v0
	v_lshlrev_b64_e32 v[16:17], v14, v[2:3]
	s_delay_alu instid0(VALU_DEP_1)
	v_and_b32_e32 v2, 7, v16
; %bb.3258:                             ;   in Loop: Header=BB6_2849 Depth=4
	s_or_b32 exec_lo, exec_lo, s76
	s_delay_alu instid0(VALU_DEP_1) | instskip(SKIP_1) | instid1(VALU_DEP_2)
	v_dual_lshlrev_b32 v14, 24, v72 :: v_dual_lshlrev_b32 v2, 20, v2
	v_lshl_add_u32 v0, v0, 23, 0x3c000000
	v_and_b32_e32 v14, 0x80000000, v14
	s_delay_alu instid0(VALU_DEP_1)
	v_or3_b32 v14, v2, v14, v0
.LBB6_3259:                             ;   in Loop: Header=BB6_2849 Depth=4
	s_or_b32 exec_lo, exec_lo, s75
.LBB6_3260:                             ;   in Loop: Header=BB6_2849 Depth=4
	s_delay_alu instid0(SALU_CYCLE_1)
	s_or_b32 exec_lo, exec_lo, s74
.LBB6_3261:                             ;   in Loop: Header=BB6_2849 Depth=4
	s_delay_alu instid0(SALU_CYCLE_1) | instskip(NEXT) | instid1(VALU_DEP_1)
	s_or_b32 exec_lo, exec_lo, s13
	v_add_f32_e32 v0, v15, v14
                                        ; implicit-def: $vgpr72
	s_mov_b32 s13, exec_lo
	s_delay_alu instid0(VALU_DEP_1) | instskip(SKIP_1) | instid1(VALU_DEP_2)
	v_and_b32_e32 v2, 0x7f800000, v0
	v_lshrrev_b32_e32 v14, 24, v0
	v_cmpx_ne_u64_e32 0x7f800000, v[2:3]
	s_xor_b32 s74, exec_lo, s13
	s_cbranch_execz .LBB6_3279
; %bb.3262:                             ;   in Loop: Header=BB6_2849 Depth=4
	v_and_b32_e32 v2, 0x7fffffff, v0
	v_and_b32_e32 v66, 0x80, v14
                                        ; implicit-def: $vgpr72
	s_mov_b32 s13, exec_lo
	s_delay_alu instid0(VALU_DEP_2)
	v_cmpx_gt_u64_e32 0x43e00001, v[2:3]
	s_xor_b32 s75, exec_lo, s13
	s_cbranch_execz .LBB6_3276
; %bb.3263:                             ;   in Loop: Header=BB6_2849 Depth=4
	v_mov_b32_e32 v72, 0
	s_mov_b32 s76, exec_lo
	v_cmpx_ne_u32_e32 0, v0
	s_cbranch_execz .LBB6_3275
; %bb.3264:                             ;   in Loop: Header=BB6_2849 Depth=4
	v_and_b32_e32 v2, 0x7fffff, v0
	v_bfe_u32 v0, v0, 23, 8
	s_delay_alu instid0(VALU_DEP_2) | instskip(NEXT) | instid1(VALU_DEP_2)
	v_or_b32_e32 v15, 0x800000, v2
	v_cmp_gt_u32_e64 s13, 0x7a, v0
	v_sub_nc_u32_e32 v14, 0x79, v0
	v_cmp_eq_u32_e32 vcc_lo, 0, v0
	s_delay_alu instid0(VALU_DEP_2) | instskip(NEXT) | instid1(VALU_DEP_1)
	v_cndmask_b32_e64 v14, 0, v14, s13
	v_cndmask_b32_e64 v52, v14, 0x78, vcc_lo
	s_delay_alu instid0(VALU_DEP_1) | instskip(SKIP_1) | instid1(VALU_DEP_2)
	v_dual_cndmask_b32 v2, v15, v2, vcc_lo :: v_dual_add_nc_u32 v14, 20, v52
	v_add_nc_u32_e32 v16, 19, v52
	v_lshlrev_b64_e64 v[14:15], v14, -1
	s_delay_alu instid0(VALU_DEP_2) | instskip(NEXT) | instid1(VALU_DEP_2)
	v_lshlrev_b64_e64 v[16:17], v16, 1
	v_bfi_b32 v15, v15, 0, 0
	s_delay_alu instid0(VALU_DEP_3) | instskip(NEXT) | instid1(VALU_DEP_1)
	v_bfi_b32 v14, v14, 0, v2
	v_cmp_eq_u64_e64 s13, v[14:15], v[16:17]
	v_lshrrev_b64 v[14:15], v52, v[2:3]
	s_delay_alu instid0(VALU_DEP_1)
	v_mov_b64_e32 v[16:17], v[14:15]
	s_and_saveexec_b32 s77, s13
; %bb.3265:                             ;   in Loop: Header=BB6_2849 Depth=4
	v_bfe_u32 v2, v14, 20, 1
	s_delay_alu instid0(VALU_DEP_1) | instskip(NEXT) | instid1(VALU_DEP_1)
	v_add_nc_u64_e32 v[16:17], v[14:15], v[2:3]
	v_add_nc_u64_e32 v[16:17], -1, v[16:17]
; %bb.3266:                             ;   in Loop: Header=BB6_2849 Depth=4
	s_or_b32 exec_lo, exec_lo, s77
	v_add_nc_u32_e32 v0, 0xffffff81, v0
	v_lshrrev_b32_e32 v2, 23, v14
	s_mov_b32 s13, exec_lo
	s_delay_alu instid0(VALU_DEP_2) | instskip(NEXT) | instid1(VALU_DEP_1)
	v_cndmask_b32_e64 v0, v0, 0xffffff82, vcc_lo
	v_add3_u32 v17, v52, v0, v2
	v_and_b32_e32 v0, 0xfffff, v16
	s_delay_alu instid0(VALU_DEP_1) | instskip(NEXT) | instid1(VALU_DEP_1)
	v_dual_add_nc_u32 v16, 6, v17 :: v_dual_add_nc_u32 v2, v0, v14
                                        ; implicit-def: $vgpr14_vgpr15
                                        ; implicit-def: $vgpr0
	v_cmpx_ne_u32_e32 0, v16
	s_xor_b32 s13, exec_lo, s13
; %bb.3267:                             ;   in Loop: Header=BB6_2849 Depth=4
	s_delay_alu instid0(VALU_DEP_2) | instskip(SKIP_2) | instid1(VALU_DEP_2)
	v_cmp_lt_u64_e32 vcc_lo, 0xffffff, v[2:3]
	v_add_nc_u32_e32 v0, 7, v17
	v_cndmask_b32_e64 v14, 0, 1, vcc_lo
	v_cndmask_b32_e32 v0, v16, v0, vcc_lo
	s_delay_alu instid0(VALU_DEP_2)
	v_lshrrev_b64 v[14:15], v14, v[2:3]
; %bb.3268:                             ;   in Loop: Header=BB6_2849 Depth=4
	s_and_not1_saveexec_b32 s13, s13
; %bb.3269:                             ;   in Loop: Header=BB6_2849 Depth=4
	v_mov_b64_e32 v[14:15], v[2:3]
	v_bfe_u32 v0, v2, 23, 1
; %bb.3270:                             ;   in Loop: Header=BB6_2849 Depth=4
	s_or_b32 exec_lo, exec_lo, s13
	s_delay_alu instid0(VALU_DEP_2) | instskip(NEXT) | instid1(VALU_DEP_2)
	v_lshrrev_b64 v[14:15], 20, v[14:15]
	v_cmp_gt_i32_e32 vcc_lo, 16, v0
	v_cmp_ne_u32_e64 s13, 0, v0
                                        ; implicit-def: $vgpr72
	s_delay_alu instid0(VALU_DEP_3) | instskip(NEXT) | instid1(VALU_DEP_1)
	v_dual_cndmask_b32 v15, 0, v15 :: v_dual_cndmask_b32 v14, 7, v14
	v_cmp_ne_u64_e32 vcc_lo, 0, v[14:15]
	s_or_b32 s13, s13, vcc_lo
	s_delay_alu instid0(SALU_CYCLE_1) | instskip(NEXT) | instid1(SALU_CYCLE_1)
	s_and_saveexec_b32 s77, s13
	s_xor_b32 s13, exec_lo, s77
; %bb.3271:                             ;   in Loop: Header=BB6_2849 Depth=4
	v_min_i32_e32 v0, 15, v0
	s_delay_alu instid0(VALU_DEP_1) | instskip(NEXT) | instid1(VALU_DEP_1)
	v_lshl_or_b32 v0, v0, 3, v66
                                        ; implicit-def: $vgpr66
	v_and_or_b32 v72, v14, 7, v0
; %bb.3272:                             ;   in Loop: Header=BB6_2849 Depth=4
	s_and_not1_saveexec_b32 s13, s13
; %bb.3273:                             ;   in Loop: Header=BB6_2849 Depth=4
	v_mov_b32_e32 v72, v66
; %bb.3274:                             ;   in Loop: Header=BB6_2849 Depth=4
	s_or_b32 exec_lo, exec_lo, s13
.LBB6_3275:                             ;   in Loop: Header=BB6_2849 Depth=4
	s_delay_alu instid0(SALU_CYCLE_1)
	s_or_b32 exec_lo, exec_lo, s76
                                        ; implicit-def: $vgpr66
.LBB6_3276:                             ;   in Loop: Header=BB6_2849 Depth=4
	s_and_not1_saveexec_b32 s13, s75
; %bb.3277:                             ;   in Loop: Header=BB6_2849 Depth=4
	v_or_b32_e32 v72, 0x7e, v66
; %bb.3278:                             ;   in Loop: Header=BB6_2849 Depth=4
	s_or_b32 exec_lo, exec_lo, s13
                                        ; implicit-def: $vgpr14
.LBB6_3279:                             ;   in Loop: Header=BB6_2849 Depth=4
	s_and_not1_saveexec_b32 s13, s74
; %bb.3280:                             ;   in Loop: Header=BB6_2849 Depth=4
	v_or_b32_e32 v72, 0x7f, v14
; %bb.3281:                             ;   in Loop: Header=BB6_2849 Depth=4
	s_or_b32 exec_lo, exec_lo, s13
	v_and_b32_e32 v0, 0xff, v47
	v_dual_mov_b32 v14, 0 :: v_dual_mov_b32 v15, 0
	s_mov_b32 s13, exec_lo
	s_delay_alu instid0(VALU_DEP_2)
	v_cmpx_ne_u16_e32 0, v0
	s_cbranch_execz .LBB6_3289
; %bb.3282:                             ;   in Loop: Header=BB6_2849 Depth=4
	v_bfrev_b32_e32 v15, 1
	s_mov_b32 s74, exec_lo
	v_cmpx_ne_u16_e32 0x80, v0
	s_cbranch_execz .LBB6_3288
; %bb.3283:                             ;   in Loop: Header=BB6_2849 Depth=4
	v_and_b32_e32 v16, 0x7f, v47
	v_mov_b32_e32 v15, 0x7f800001
	s_mov_b32 s75, exec_lo
	s_delay_alu instid0(VALU_DEP_2)
	v_cmpx_ne_u32_e32 0x7f, v16
	s_cbranch_execz .LBB6_3287
; %bb.3284:                             ;   in Loop: Header=BB6_2849 Depth=4
	v_and_b32_e32 v2, 7, v0
	v_lshrrev_b32_e32 v0, 3, v16
	s_mov_b32 s76, exec_lo
	v_cmpx_gt_u32_e32 8, v16
; %bb.3285:                             ;   in Loop: Header=BB6_2849 Depth=4
	s_delay_alu instid0(VALU_DEP_3) | instskip(NEXT) | instid1(VALU_DEP_1)
	v_clz_i32_u32_e32 v0, v2
	v_min_u32_e32 v0, 32, v0
	s_delay_alu instid0(VALU_DEP_1) | instskip(SKIP_1) | instid1(VALU_DEP_2)
	v_subrev_nc_u32_e32 v15, 28, v0
	v_sub_nc_u32_e32 v0, 29, v0
	v_lshlrev_b64_e32 v[16:17], v15, v[2:3]
	s_delay_alu instid0(VALU_DEP_1)
	v_and_b32_e32 v2, 7, v16
; %bb.3286:                             ;   in Loop: Header=BB6_2849 Depth=4
	s_or_b32 exec_lo, exec_lo, s76
	s_delay_alu instid0(VALU_DEP_1) | instskip(SKIP_1) | instid1(VALU_DEP_2)
	v_dual_lshlrev_b32 v15, 24, v47 :: v_dual_lshlrev_b32 v2, 20, v2
	v_lshl_add_u32 v0, v0, 23, 0x3c000000
	v_and_b32_e32 v15, 0x80000000, v15
	s_delay_alu instid0(VALU_DEP_1)
	v_or3_b32 v15, v2, v15, v0
.LBB6_3287:                             ;   in Loop: Header=BB6_2849 Depth=4
	s_or_b32 exec_lo, exec_lo, s75
.LBB6_3288:                             ;   in Loop: Header=BB6_2849 Depth=4
	s_delay_alu instid0(SALU_CYCLE_1)
	s_or_b32 exec_lo, exec_lo, s74
.LBB6_3289:                             ;   in Loop: Header=BB6_2849 Depth=4
	s_delay_alu instid0(SALU_CYCLE_1) | instskip(SKIP_3) | instid1(VALU_DEP_1)
	s_or_b32 exec_lo, exec_lo, s13
	s_wait_loadcnt_dscnt 0x1313
	v_and_b32_e32 v0, 0xff, v46
	s_mov_b32 s13, exec_lo
	v_cmpx_ne_u16_e32 0, v0
	s_cbranch_execz .LBB6_3297
; %bb.3290:                             ;   in Loop: Header=BB6_2849 Depth=4
	v_bfrev_b32_e32 v14, 1
	s_mov_b32 s74, exec_lo
	v_cmpx_ne_u16_e32 0x80, v0
	s_cbranch_execz .LBB6_3296
; %bb.3291:                             ;   in Loop: Header=BB6_2849 Depth=4
	v_and_b32_e32 v16, 0x7f, v46
	v_mov_b32_e32 v14, 0x7f800001
	s_mov_b32 s75, exec_lo
	s_delay_alu instid0(VALU_DEP_2)
	v_cmpx_ne_u32_e32 0x7f, v16
	s_cbranch_execz .LBB6_3295
; %bb.3292:                             ;   in Loop: Header=BB6_2849 Depth=4
	v_and_b32_e32 v2, 7, v0
	v_lshrrev_b32_e32 v0, 3, v16
	s_mov_b32 s76, exec_lo
	v_cmpx_gt_u32_e32 8, v16
; %bb.3293:                             ;   in Loop: Header=BB6_2849 Depth=4
	s_delay_alu instid0(VALU_DEP_3) | instskip(NEXT) | instid1(VALU_DEP_1)
	v_clz_i32_u32_e32 v0, v2
	v_min_u32_e32 v0, 32, v0
	s_delay_alu instid0(VALU_DEP_1) | instskip(SKIP_1) | instid1(VALU_DEP_2)
	v_subrev_nc_u32_e32 v14, 28, v0
	v_sub_nc_u32_e32 v0, 29, v0
	v_lshlrev_b64_e32 v[16:17], v14, v[2:3]
	s_delay_alu instid0(VALU_DEP_1)
	v_and_b32_e32 v2, 7, v16
; %bb.3294:                             ;   in Loop: Header=BB6_2849 Depth=4
	s_or_b32 exec_lo, exec_lo, s76
	v_lshlrev_b32_e32 v14, 24, v46
	s_delay_alu instid0(VALU_DEP_2) | instskip(SKIP_1) | instid1(VALU_DEP_3)
	v_lshlrev_b32_e32 v2, 20, v2
	v_lshl_add_u32 v0, v0, 23, 0x3c000000
	v_and_b32_e32 v14, 0x80000000, v14
	s_delay_alu instid0(VALU_DEP_1)
	v_or3_b32 v14, v2, v14, v0
.LBB6_3295:                             ;   in Loop: Header=BB6_2849 Depth=4
	s_or_b32 exec_lo, exec_lo, s75
.LBB6_3296:                             ;   in Loop: Header=BB6_2849 Depth=4
	s_delay_alu instid0(SALU_CYCLE_1)
	s_or_b32 exec_lo, exec_lo, s74
.LBB6_3297:                             ;   in Loop: Header=BB6_2849 Depth=4
	s_delay_alu instid0(SALU_CYCLE_1) | instskip(NEXT) | instid1(VALU_DEP_1)
	s_or_b32 exec_lo, exec_lo, s13
	v_add_f32_e32 v0, v15, v14
                                        ; implicit-def: $vgpr88
	s_mov_b32 s13, exec_lo
	s_delay_alu instid0(VALU_DEP_1) | instskip(SKIP_1) | instid1(VALU_DEP_2)
	v_and_b32_e32 v2, 0x7f800000, v0
	v_lshrrev_b32_e32 v14, 24, v0
	v_cmpx_ne_u64_e32 0x7f800000, v[2:3]
	s_xor_b32 s74, exec_lo, s13
	s_cbranch_execz .LBB6_3315
; %bb.3298:                             ;   in Loop: Header=BB6_2849 Depth=4
	v_and_b32_e32 v2, 0x7fffffff, v0
	v_and_b32_e32 v66, 0x80, v14
                                        ; implicit-def: $vgpr88
	s_mov_b32 s13, exec_lo
	s_delay_alu instid0(VALU_DEP_2)
	v_cmpx_gt_u64_e32 0x43e00001, v[2:3]
	s_xor_b32 s75, exec_lo, s13
	s_cbranch_execz .LBB6_3312
; %bb.3299:                             ;   in Loop: Header=BB6_2849 Depth=4
	v_mov_b32_e32 v88, 0
	s_mov_b32 s76, exec_lo
	v_cmpx_ne_u32_e32 0, v0
	s_cbranch_execz .LBB6_3311
; %bb.3300:                             ;   in Loop: Header=BB6_2849 Depth=4
	v_and_b32_e32 v2, 0x7fffff, v0
	v_bfe_u32 v0, v0, 23, 8
	s_delay_alu instid0(VALU_DEP_2) | instskip(NEXT) | instid1(VALU_DEP_2)
	v_or_b32_e32 v15, 0x800000, v2
	v_cmp_gt_u32_e64 s13, 0x7a, v0
	v_sub_nc_u32_e32 v14, 0x79, v0
	v_cmp_eq_u32_e32 vcc_lo, 0, v0
	s_delay_alu instid0(VALU_DEP_2) | instskip(NEXT) | instid1(VALU_DEP_1)
	v_cndmask_b32_e64 v14, 0, v14, s13
	v_cndmask_b32_e64 v52, v14, 0x78, vcc_lo
	s_delay_alu instid0(VALU_DEP_1) | instskip(SKIP_1) | instid1(VALU_DEP_2)
	v_dual_cndmask_b32 v2, v15, v2, vcc_lo :: v_dual_add_nc_u32 v14, 20, v52
	v_add_nc_u32_e32 v16, 19, v52
	v_lshlrev_b64_e64 v[14:15], v14, -1
	s_delay_alu instid0(VALU_DEP_2) | instskip(NEXT) | instid1(VALU_DEP_2)
	v_lshlrev_b64_e64 v[16:17], v16, 1
	v_bfi_b32 v15, v15, 0, 0
	s_delay_alu instid0(VALU_DEP_3) | instskip(NEXT) | instid1(VALU_DEP_1)
	v_bfi_b32 v14, v14, 0, v2
	v_cmp_eq_u64_e64 s13, v[14:15], v[16:17]
	v_lshrrev_b64 v[14:15], v52, v[2:3]
	s_delay_alu instid0(VALU_DEP_1)
	v_mov_b64_e32 v[16:17], v[14:15]
	s_and_saveexec_b32 s77, s13
; %bb.3301:                             ;   in Loop: Header=BB6_2849 Depth=4
	v_bfe_u32 v2, v14, 20, 1
	s_delay_alu instid0(VALU_DEP_1) | instskip(NEXT) | instid1(VALU_DEP_1)
	v_add_nc_u64_e32 v[16:17], v[14:15], v[2:3]
	v_add_nc_u64_e32 v[16:17], -1, v[16:17]
; %bb.3302:                             ;   in Loop: Header=BB6_2849 Depth=4
	s_or_b32 exec_lo, exec_lo, s77
	v_add_nc_u32_e32 v0, 0xffffff81, v0
	v_lshrrev_b32_e32 v2, 23, v14
	s_mov_b32 s13, exec_lo
	s_delay_alu instid0(VALU_DEP_2) | instskip(NEXT) | instid1(VALU_DEP_1)
	v_cndmask_b32_e64 v0, v0, 0xffffff82, vcc_lo
	v_add3_u32 v17, v52, v0, v2
	v_and_b32_e32 v0, 0xfffff, v16
	s_delay_alu instid0(VALU_DEP_1) | instskip(NEXT) | instid1(VALU_DEP_1)
	v_dual_add_nc_u32 v16, 6, v17 :: v_dual_add_nc_u32 v2, v0, v14
                                        ; implicit-def: $vgpr14_vgpr15
                                        ; implicit-def: $vgpr0
	v_cmpx_ne_u32_e32 0, v16
	s_xor_b32 s13, exec_lo, s13
; %bb.3303:                             ;   in Loop: Header=BB6_2849 Depth=4
	s_delay_alu instid0(VALU_DEP_2) | instskip(SKIP_2) | instid1(VALU_DEP_2)
	v_cmp_lt_u64_e32 vcc_lo, 0xffffff, v[2:3]
	v_add_nc_u32_e32 v0, 7, v17
	v_cndmask_b32_e64 v14, 0, 1, vcc_lo
	v_cndmask_b32_e32 v0, v16, v0, vcc_lo
	s_delay_alu instid0(VALU_DEP_2)
	v_lshrrev_b64 v[14:15], v14, v[2:3]
; %bb.3304:                             ;   in Loop: Header=BB6_2849 Depth=4
	s_and_not1_saveexec_b32 s13, s13
; %bb.3305:                             ;   in Loop: Header=BB6_2849 Depth=4
	v_mov_b64_e32 v[14:15], v[2:3]
	v_bfe_u32 v0, v2, 23, 1
; %bb.3306:                             ;   in Loop: Header=BB6_2849 Depth=4
	s_or_b32 exec_lo, exec_lo, s13
	s_delay_alu instid0(VALU_DEP_2) | instskip(NEXT) | instid1(VALU_DEP_2)
	v_lshrrev_b64 v[14:15], 20, v[14:15]
	v_cmp_gt_i32_e32 vcc_lo, 16, v0
	v_cmp_ne_u32_e64 s13, 0, v0
                                        ; implicit-def: $vgpr88
	s_delay_alu instid0(VALU_DEP_3) | instskip(NEXT) | instid1(VALU_DEP_1)
	v_dual_cndmask_b32 v15, 0, v15 :: v_dual_cndmask_b32 v14, 7, v14
	v_cmp_ne_u64_e32 vcc_lo, 0, v[14:15]
	s_or_b32 s13, s13, vcc_lo
	s_delay_alu instid0(SALU_CYCLE_1) | instskip(NEXT) | instid1(SALU_CYCLE_1)
	s_and_saveexec_b32 s77, s13
	s_xor_b32 s13, exec_lo, s77
; %bb.3307:                             ;   in Loop: Header=BB6_2849 Depth=4
	v_min_i32_e32 v0, 15, v0
	s_delay_alu instid0(VALU_DEP_1) | instskip(NEXT) | instid1(VALU_DEP_1)
	v_lshl_or_b32 v0, v0, 3, v66
                                        ; implicit-def: $vgpr66
	v_and_or_b32 v88, v14, 7, v0
; %bb.3308:                             ;   in Loop: Header=BB6_2849 Depth=4
	s_and_not1_saveexec_b32 s13, s13
; %bb.3309:                             ;   in Loop: Header=BB6_2849 Depth=4
	v_mov_b32_e32 v88, v66
; %bb.3310:                             ;   in Loop: Header=BB6_2849 Depth=4
	s_or_b32 exec_lo, exec_lo, s13
.LBB6_3311:                             ;   in Loop: Header=BB6_2849 Depth=4
	s_delay_alu instid0(SALU_CYCLE_1)
	s_or_b32 exec_lo, exec_lo, s76
                                        ; implicit-def: $vgpr66
.LBB6_3312:                             ;   in Loop: Header=BB6_2849 Depth=4
	s_and_not1_saveexec_b32 s13, s75
; %bb.3313:                             ;   in Loop: Header=BB6_2849 Depth=4
	v_or_b32_e32 v88, 0x7e, v66
; %bb.3314:                             ;   in Loop: Header=BB6_2849 Depth=4
	s_or_b32 exec_lo, exec_lo, s13
                                        ; implicit-def: $vgpr14
.LBB6_3315:                             ;   in Loop: Header=BB6_2849 Depth=4
	s_and_not1_saveexec_b32 s13, s74
; %bb.3316:                             ;   in Loop: Header=BB6_2849 Depth=4
	v_or_b32_e32 v88, 0x7f, v14
; %bb.3317:                             ;   in Loop: Header=BB6_2849 Depth=4
	s_or_b32 exec_lo, exec_lo, s13
	v_and_b32_e32 v0, 0xff, v106
	v_dual_mov_b32 v14, 0 :: v_dual_mov_b32 v15, 0
	s_mov_b32 s13, exec_lo
	s_delay_alu instid0(VALU_DEP_2)
	v_cmpx_ne_u16_e32 0, v0
	s_cbranch_execz .LBB6_3325
; %bb.3318:                             ;   in Loop: Header=BB6_2849 Depth=4
	v_bfrev_b32_e32 v15, 1
	s_mov_b32 s74, exec_lo
	v_cmpx_ne_u16_e32 0x80, v0
	s_cbranch_execz .LBB6_3324
; %bb.3319:                             ;   in Loop: Header=BB6_2849 Depth=4
	v_and_b32_e32 v16, 0x7f, v106
	v_mov_b32_e32 v15, 0x7f800001
	s_mov_b32 s75, exec_lo
	s_delay_alu instid0(VALU_DEP_2)
	v_cmpx_ne_u32_e32 0x7f, v16
	s_cbranch_execz .LBB6_3323
; %bb.3320:                             ;   in Loop: Header=BB6_2849 Depth=4
	v_and_b32_e32 v2, 7, v0
	v_lshrrev_b32_e32 v0, 3, v16
	s_mov_b32 s76, exec_lo
	v_cmpx_gt_u32_e32 8, v16
; %bb.3321:                             ;   in Loop: Header=BB6_2849 Depth=4
	s_delay_alu instid0(VALU_DEP_3) | instskip(NEXT) | instid1(VALU_DEP_1)
	v_clz_i32_u32_e32 v0, v2
	v_min_u32_e32 v0, 32, v0
	s_delay_alu instid0(VALU_DEP_1) | instskip(SKIP_1) | instid1(VALU_DEP_2)
	v_subrev_nc_u32_e32 v15, 28, v0
	v_sub_nc_u32_e32 v0, 29, v0
	v_lshlrev_b64_e32 v[16:17], v15, v[2:3]
	s_delay_alu instid0(VALU_DEP_1)
	v_and_b32_e32 v2, 7, v16
; %bb.3322:                             ;   in Loop: Header=BB6_2849 Depth=4
	s_or_b32 exec_lo, exec_lo, s76
	v_lshlrev_b32_e32 v15, 24, v106
	s_delay_alu instid0(VALU_DEP_2) | instskip(SKIP_1) | instid1(VALU_DEP_3)
	v_lshlrev_b32_e32 v2, 20, v2
	v_lshl_add_u32 v0, v0, 23, 0x3c000000
	v_and_b32_e32 v15, 0x80000000, v15
	s_delay_alu instid0(VALU_DEP_1)
	v_or3_b32 v15, v2, v15, v0
.LBB6_3323:                             ;   in Loop: Header=BB6_2849 Depth=4
	s_or_b32 exec_lo, exec_lo, s75
.LBB6_3324:                             ;   in Loop: Header=BB6_2849 Depth=4
	s_delay_alu instid0(SALU_CYCLE_1)
	s_or_b32 exec_lo, exec_lo, s74
.LBB6_3325:                             ;   in Loop: Header=BB6_2849 Depth=4
	s_delay_alu instid0(SALU_CYCLE_1) | instskip(SKIP_3) | instid1(VALU_DEP_1)
	s_or_b32 exec_lo, exec_lo, s13
	s_wait_loadcnt_dscnt 0x1212
	v_and_b32_e32 v0, 0xff, v89
	s_mov_b32 s13, exec_lo
	v_cmpx_ne_u16_e32 0, v0
	s_cbranch_execz .LBB6_3333
; %bb.3326:                             ;   in Loop: Header=BB6_2849 Depth=4
	v_bfrev_b32_e32 v14, 1
	s_mov_b32 s74, exec_lo
	v_cmpx_ne_u16_e32 0x80, v0
	s_cbranch_execz .LBB6_3332
; %bb.3327:                             ;   in Loop: Header=BB6_2849 Depth=4
	v_and_b32_e32 v16, 0x7f, v89
	v_mov_b32_e32 v14, 0x7f800001
	s_mov_b32 s75, exec_lo
	s_delay_alu instid0(VALU_DEP_2)
	v_cmpx_ne_u32_e32 0x7f, v16
	s_cbranch_execz .LBB6_3331
; %bb.3328:                             ;   in Loop: Header=BB6_2849 Depth=4
	v_and_b32_e32 v2, 7, v0
	v_lshrrev_b32_e32 v0, 3, v16
	s_mov_b32 s76, exec_lo
	v_cmpx_gt_u32_e32 8, v16
; %bb.3329:                             ;   in Loop: Header=BB6_2849 Depth=4
	s_delay_alu instid0(VALU_DEP_3) | instskip(NEXT) | instid1(VALU_DEP_1)
	v_clz_i32_u32_e32 v0, v2
	v_min_u32_e32 v0, 32, v0
	s_delay_alu instid0(VALU_DEP_1) | instskip(SKIP_1) | instid1(VALU_DEP_2)
	v_subrev_nc_u32_e32 v14, 28, v0
	v_sub_nc_u32_e32 v0, 29, v0
	v_lshlrev_b64_e32 v[16:17], v14, v[2:3]
	s_delay_alu instid0(VALU_DEP_1)
	v_and_b32_e32 v2, 7, v16
; %bb.3330:                             ;   in Loop: Header=BB6_2849 Depth=4
	s_or_b32 exec_lo, exec_lo, s76
	s_delay_alu instid0(VALU_DEP_1) | instskip(SKIP_1) | instid1(VALU_DEP_2)
	v_dual_lshlrev_b32 v14, 24, v89 :: v_dual_lshlrev_b32 v2, 20, v2
	v_lshl_add_u32 v0, v0, 23, 0x3c000000
	v_and_b32_e32 v14, 0x80000000, v14
	s_delay_alu instid0(VALU_DEP_1)
	v_or3_b32 v14, v2, v14, v0
.LBB6_3331:                             ;   in Loop: Header=BB6_2849 Depth=4
	s_or_b32 exec_lo, exec_lo, s75
.LBB6_3332:                             ;   in Loop: Header=BB6_2849 Depth=4
	s_delay_alu instid0(SALU_CYCLE_1)
	s_or_b32 exec_lo, exec_lo, s74
.LBB6_3333:                             ;   in Loop: Header=BB6_2849 Depth=4
	s_delay_alu instid0(SALU_CYCLE_1) | instskip(NEXT) | instid1(VALU_DEP_1)
	s_or_b32 exec_lo, exec_lo, s13
	v_add_f32_e32 v0, v15, v14
                                        ; implicit-def: $vgpr89
	s_mov_b32 s13, exec_lo
	s_delay_alu instid0(VALU_DEP_1) | instskip(SKIP_1) | instid1(VALU_DEP_2)
	v_and_b32_e32 v2, 0x7f800000, v0
	v_lshrrev_b32_e32 v14, 24, v0
	v_cmpx_ne_u64_e32 0x7f800000, v[2:3]
	s_xor_b32 s74, exec_lo, s13
	s_cbranch_execz .LBB6_3351
; %bb.3334:                             ;   in Loop: Header=BB6_2849 Depth=4
	v_and_b32_e32 v2, 0x7fffffff, v0
	v_and_b32_e32 v66, 0x80, v14
                                        ; implicit-def: $vgpr89
	s_mov_b32 s13, exec_lo
	s_delay_alu instid0(VALU_DEP_2)
	v_cmpx_gt_u64_e32 0x43e00001, v[2:3]
	s_xor_b32 s75, exec_lo, s13
	s_cbranch_execz .LBB6_3348
; %bb.3335:                             ;   in Loop: Header=BB6_2849 Depth=4
	v_mov_b32_e32 v89, 0
	s_mov_b32 s76, exec_lo
	v_cmpx_ne_u32_e32 0, v0
	s_cbranch_execz .LBB6_3347
; %bb.3336:                             ;   in Loop: Header=BB6_2849 Depth=4
	v_and_b32_e32 v2, 0x7fffff, v0
	v_bfe_u32 v0, v0, 23, 8
	s_delay_alu instid0(VALU_DEP_2) | instskip(NEXT) | instid1(VALU_DEP_2)
	v_or_b32_e32 v15, 0x800000, v2
	v_cmp_gt_u32_e64 s13, 0x7a, v0
	v_sub_nc_u32_e32 v14, 0x79, v0
	v_cmp_eq_u32_e32 vcc_lo, 0, v0
	s_delay_alu instid0(VALU_DEP_2) | instskip(NEXT) | instid1(VALU_DEP_1)
	v_cndmask_b32_e64 v14, 0, v14, s13
	v_cndmask_b32_e64 v52, v14, 0x78, vcc_lo
	s_delay_alu instid0(VALU_DEP_1) | instskip(SKIP_1) | instid1(VALU_DEP_2)
	v_dual_cndmask_b32 v2, v15, v2, vcc_lo :: v_dual_add_nc_u32 v14, 20, v52
	v_add_nc_u32_e32 v16, 19, v52
	v_lshlrev_b64_e64 v[14:15], v14, -1
	s_delay_alu instid0(VALU_DEP_2) | instskip(NEXT) | instid1(VALU_DEP_2)
	v_lshlrev_b64_e64 v[16:17], v16, 1
	v_bfi_b32 v15, v15, 0, 0
	s_delay_alu instid0(VALU_DEP_3) | instskip(NEXT) | instid1(VALU_DEP_1)
	v_bfi_b32 v14, v14, 0, v2
	v_cmp_eq_u64_e64 s13, v[14:15], v[16:17]
	v_lshrrev_b64 v[14:15], v52, v[2:3]
	s_delay_alu instid0(VALU_DEP_1)
	v_mov_b64_e32 v[16:17], v[14:15]
	s_and_saveexec_b32 s77, s13
; %bb.3337:                             ;   in Loop: Header=BB6_2849 Depth=4
	v_bfe_u32 v2, v14, 20, 1
	s_delay_alu instid0(VALU_DEP_1) | instskip(NEXT) | instid1(VALU_DEP_1)
	v_add_nc_u64_e32 v[16:17], v[14:15], v[2:3]
	v_add_nc_u64_e32 v[16:17], -1, v[16:17]
; %bb.3338:                             ;   in Loop: Header=BB6_2849 Depth=4
	s_or_b32 exec_lo, exec_lo, s77
	v_add_nc_u32_e32 v0, 0xffffff81, v0
	v_lshrrev_b32_e32 v2, 23, v14
	s_mov_b32 s13, exec_lo
	s_delay_alu instid0(VALU_DEP_2) | instskip(NEXT) | instid1(VALU_DEP_1)
	v_cndmask_b32_e64 v0, v0, 0xffffff82, vcc_lo
	v_add3_u32 v17, v52, v0, v2
	v_and_b32_e32 v0, 0xfffff, v16
	s_delay_alu instid0(VALU_DEP_1) | instskip(NEXT) | instid1(VALU_DEP_1)
	v_dual_add_nc_u32 v16, 6, v17 :: v_dual_add_nc_u32 v2, v0, v14
                                        ; implicit-def: $vgpr14_vgpr15
                                        ; implicit-def: $vgpr0
	v_cmpx_ne_u32_e32 0, v16
	s_xor_b32 s13, exec_lo, s13
; %bb.3339:                             ;   in Loop: Header=BB6_2849 Depth=4
	s_delay_alu instid0(VALU_DEP_2) | instskip(SKIP_2) | instid1(VALU_DEP_2)
	v_cmp_lt_u64_e32 vcc_lo, 0xffffff, v[2:3]
	v_add_nc_u32_e32 v0, 7, v17
	v_cndmask_b32_e64 v14, 0, 1, vcc_lo
	v_cndmask_b32_e32 v0, v16, v0, vcc_lo
	s_delay_alu instid0(VALU_DEP_2)
	v_lshrrev_b64 v[14:15], v14, v[2:3]
; %bb.3340:                             ;   in Loop: Header=BB6_2849 Depth=4
	s_and_not1_saveexec_b32 s13, s13
; %bb.3341:                             ;   in Loop: Header=BB6_2849 Depth=4
	v_mov_b64_e32 v[14:15], v[2:3]
	v_bfe_u32 v0, v2, 23, 1
; %bb.3342:                             ;   in Loop: Header=BB6_2849 Depth=4
	s_or_b32 exec_lo, exec_lo, s13
	s_delay_alu instid0(VALU_DEP_2) | instskip(NEXT) | instid1(VALU_DEP_2)
	v_lshrrev_b64 v[14:15], 20, v[14:15]
	v_cmp_gt_i32_e32 vcc_lo, 16, v0
	v_cmp_ne_u32_e64 s13, 0, v0
                                        ; implicit-def: $vgpr89
	s_delay_alu instid0(VALU_DEP_3) | instskip(NEXT) | instid1(VALU_DEP_1)
	v_dual_cndmask_b32 v15, 0, v15 :: v_dual_cndmask_b32 v14, 7, v14
	v_cmp_ne_u64_e32 vcc_lo, 0, v[14:15]
	s_or_b32 s13, s13, vcc_lo
	s_delay_alu instid0(SALU_CYCLE_1) | instskip(NEXT) | instid1(SALU_CYCLE_1)
	s_and_saveexec_b32 s77, s13
	s_xor_b32 s13, exec_lo, s77
; %bb.3343:                             ;   in Loop: Header=BB6_2849 Depth=4
	v_min_i32_e32 v0, 15, v0
	s_delay_alu instid0(VALU_DEP_1) | instskip(NEXT) | instid1(VALU_DEP_1)
	v_lshl_or_b32 v0, v0, 3, v66
                                        ; implicit-def: $vgpr66
	v_and_or_b32 v89, v14, 7, v0
; %bb.3344:                             ;   in Loop: Header=BB6_2849 Depth=4
	s_and_not1_saveexec_b32 s13, s13
; %bb.3345:                             ;   in Loop: Header=BB6_2849 Depth=4
	v_mov_b32_e32 v89, v66
; %bb.3346:                             ;   in Loop: Header=BB6_2849 Depth=4
	s_or_b32 exec_lo, exec_lo, s13
.LBB6_3347:                             ;   in Loop: Header=BB6_2849 Depth=4
	s_delay_alu instid0(SALU_CYCLE_1)
	s_or_b32 exec_lo, exec_lo, s76
                                        ; implicit-def: $vgpr66
.LBB6_3348:                             ;   in Loop: Header=BB6_2849 Depth=4
	s_and_not1_saveexec_b32 s13, s75
; %bb.3349:                             ;   in Loop: Header=BB6_2849 Depth=4
	v_or_b32_e32 v89, 0x7e, v66
; %bb.3350:                             ;   in Loop: Header=BB6_2849 Depth=4
	s_or_b32 exec_lo, exec_lo, s13
                                        ; implicit-def: $vgpr14
.LBB6_3351:                             ;   in Loop: Header=BB6_2849 Depth=4
	s_and_not1_saveexec_b32 s13, s74
; %bb.3352:                             ;   in Loop: Header=BB6_2849 Depth=4
	v_or_b32_e32 v89, 0x7f, v14
; %bb.3353:                             ;   in Loop: Header=BB6_2849 Depth=4
	s_or_b32 exec_lo, exec_lo, s13
	v_and_b32_e32 v0, 0xff, v105
	v_dual_mov_b32 v14, 0 :: v_dual_mov_b32 v15, 0
	s_mov_b32 s13, exec_lo
	s_delay_alu instid0(VALU_DEP_2)
	v_cmpx_ne_u16_e32 0, v0
	s_cbranch_execz .LBB6_3361
; %bb.3354:                             ;   in Loop: Header=BB6_2849 Depth=4
	v_bfrev_b32_e32 v15, 1
	s_mov_b32 s74, exec_lo
	v_cmpx_ne_u16_e32 0x80, v0
	s_cbranch_execz .LBB6_3360
; %bb.3355:                             ;   in Loop: Header=BB6_2849 Depth=4
	v_and_b32_e32 v16, 0x7f, v105
	v_mov_b32_e32 v15, 0x7f800001
	s_mov_b32 s75, exec_lo
	s_delay_alu instid0(VALU_DEP_2)
	v_cmpx_ne_u32_e32 0x7f, v16
	s_cbranch_execz .LBB6_3359
; %bb.3356:                             ;   in Loop: Header=BB6_2849 Depth=4
	v_and_b32_e32 v2, 7, v0
	v_lshrrev_b32_e32 v0, 3, v16
	s_mov_b32 s76, exec_lo
	v_cmpx_gt_u32_e32 8, v16
; %bb.3357:                             ;   in Loop: Header=BB6_2849 Depth=4
	s_delay_alu instid0(VALU_DEP_3) | instskip(NEXT) | instid1(VALU_DEP_1)
	v_clz_i32_u32_e32 v0, v2
	v_min_u32_e32 v0, 32, v0
	s_delay_alu instid0(VALU_DEP_1) | instskip(SKIP_1) | instid1(VALU_DEP_2)
	v_subrev_nc_u32_e32 v15, 28, v0
	v_sub_nc_u32_e32 v0, 29, v0
	v_lshlrev_b64_e32 v[16:17], v15, v[2:3]
	s_delay_alu instid0(VALU_DEP_1)
	v_and_b32_e32 v2, 7, v16
; %bb.3358:                             ;   in Loop: Header=BB6_2849 Depth=4
	s_or_b32 exec_lo, exec_lo, s76
	s_delay_alu instid0(VALU_DEP_1) | instskip(SKIP_1) | instid1(VALU_DEP_2)
	v_dual_lshlrev_b32 v15, 24, v105 :: v_dual_lshlrev_b32 v2, 20, v2
	v_lshl_add_u32 v0, v0, 23, 0x3c000000
	v_and_b32_e32 v15, 0x80000000, v15
	s_delay_alu instid0(VALU_DEP_1)
	v_or3_b32 v15, v2, v15, v0
.LBB6_3359:                             ;   in Loop: Header=BB6_2849 Depth=4
	s_or_b32 exec_lo, exec_lo, s75
.LBB6_3360:                             ;   in Loop: Header=BB6_2849 Depth=4
	s_delay_alu instid0(SALU_CYCLE_1)
	s_or_b32 exec_lo, exec_lo, s74
.LBB6_3361:                             ;   in Loop: Header=BB6_2849 Depth=4
	s_delay_alu instid0(SALU_CYCLE_1) | instskip(SKIP_3) | instid1(VALU_DEP_1)
	s_or_b32 exec_lo, exec_lo, s13
	s_wait_loadcnt_dscnt 0x1111
	v_and_b32_e32 v0, 0xff, v92
	s_mov_b32 s13, exec_lo
	v_cmpx_ne_u16_e32 0, v0
	s_cbranch_execz .LBB6_3369
; %bb.3362:                             ;   in Loop: Header=BB6_2849 Depth=4
	v_bfrev_b32_e32 v14, 1
	s_mov_b32 s74, exec_lo
	v_cmpx_ne_u16_e32 0x80, v0
	s_cbranch_execz .LBB6_3368
; %bb.3363:                             ;   in Loop: Header=BB6_2849 Depth=4
	v_and_b32_e32 v16, 0x7f, v92
	v_mov_b32_e32 v14, 0x7f800001
	s_mov_b32 s75, exec_lo
	s_delay_alu instid0(VALU_DEP_2)
	v_cmpx_ne_u32_e32 0x7f, v16
	s_cbranch_execz .LBB6_3367
; %bb.3364:                             ;   in Loop: Header=BB6_2849 Depth=4
	v_and_b32_e32 v2, 7, v0
	v_lshrrev_b32_e32 v0, 3, v16
	s_mov_b32 s76, exec_lo
	v_cmpx_gt_u32_e32 8, v16
; %bb.3365:                             ;   in Loop: Header=BB6_2849 Depth=4
	s_delay_alu instid0(VALU_DEP_3) | instskip(NEXT) | instid1(VALU_DEP_1)
	v_clz_i32_u32_e32 v0, v2
	v_min_u32_e32 v0, 32, v0
	s_delay_alu instid0(VALU_DEP_1) | instskip(SKIP_1) | instid1(VALU_DEP_2)
	v_subrev_nc_u32_e32 v14, 28, v0
	v_sub_nc_u32_e32 v0, 29, v0
	v_lshlrev_b64_e32 v[16:17], v14, v[2:3]
	s_delay_alu instid0(VALU_DEP_1)
	v_and_b32_e32 v2, 7, v16
; %bb.3366:                             ;   in Loop: Header=BB6_2849 Depth=4
	s_or_b32 exec_lo, exec_lo, s76
	s_delay_alu instid0(VALU_DEP_1) | instskip(SKIP_1) | instid1(VALU_DEP_2)
	v_dual_lshlrev_b32 v14, 24, v92 :: v_dual_lshlrev_b32 v2, 20, v2
	v_lshl_add_u32 v0, v0, 23, 0x3c000000
	v_and_b32_e32 v14, 0x80000000, v14
	s_delay_alu instid0(VALU_DEP_1)
	v_or3_b32 v14, v2, v14, v0
.LBB6_3367:                             ;   in Loop: Header=BB6_2849 Depth=4
	s_or_b32 exec_lo, exec_lo, s75
.LBB6_3368:                             ;   in Loop: Header=BB6_2849 Depth=4
	s_delay_alu instid0(SALU_CYCLE_1)
	s_or_b32 exec_lo, exec_lo, s74
.LBB6_3369:                             ;   in Loop: Header=BB6_2849 Depth=4
	s_delay_alu instid0(SALU_CYCLE_1) | instskip(NEXT) | instid1(VALU_DEP_1)
	s_or_b32 exec_lo, exec_lo, s13
	v_add_f32_e32 v0, v15, v14
                                        ; implicit-def: $vgpr92
	s_mov_b32 s13, exec_lo
	s_delay_alu instid0(VALU_DEP_1) | instskip(SKIP_1) | instid1(VALU_DEP_2)
	v_and_b32_e32 v2, 0x7f800000, v0
	v_lshrrev_b32_e32 v14, 24, v0
	v_cmpx_ne_u64_e32 0x7f800000, v[2:3]
	s_xor_b32 s74, exec_lo, s13
	s_cbranch_execz .LBB6_3387
; %bb.3370:                             ;   in Loop: Header=BB6_2849 Depth=4
	v_and_b32_e32 v2, 0x7fffffff, v0
	v_and_b32_e32 v66, 0x80, v14
                                        ; implicit-def: $vgpr92
	s_mov_b32 s13, exec_lo
	s_delay_alu instid0(VALU_DEP_2)
	v_cmpx_gt_u64_e32 0x43e00001, v[2:3]
	s_xor_b32 s75, exec_lo, s13
	s_cbranch_execz .LBB6_3384
; %bb.3371:                             ;   in Loop: Header=BB6_2849 Depth=4
	v_mov_b32_e32 v92, 0
	s_mov_b32 s76, exec_lo
	v_cmpx_ne_u32_e32 0, v0
	s_cbranch_execz .LBB6_3383
; %bb.3372:                             ;   in Loop: Header=BB6_2849 Depth=4
	v_and_b32_e32 v2, 0x7fffff, v0
	v_bfe_u32 v0, v0, 23, 8
	s_delay_alu instid0(VALU_DEP_2) | instskip(NEXT) | instid1(VALU_DEP_2)
	v_or_b32_e32 v15, 0x800000, v2
	v_cmp_gt_u32_e64 s13, 0x7a, v0
	v_sub_nc_u32_e32 v14, 0x79, v0
	v_cmp_eq_u32_e32 vcc_lo, 0, v0
	s_delay_alu instid0(VALU_DEP_2) | instskip(NEXT) | instid1(VALU_DEP_1)
	v_cndmask_b32_e64 v14, 0, v14, s13
	v_cndmask_b32_e64 v52, v14, 0x78, vcc_lo
	s_delay_alu instid0(VALU_DEP_1) | instskip(SKIP_1) | instid1(VALU_DEP_2)
	v_dual_cndmask_b32 v2, v15, v2, vcc_lo :: v_dual_add_nc_u32 v14, 20, v52
	v_add_nc_u32_e32 v16, 19, v52
	v_lshlrev_b64_e64 v[14:15], v14, -1
	s_delay_alu instid0(VALU_DEP_2) | instskip(NEXT) | instid1(VALU_DEP_2)
	v_lshlrev_b64_e64 v[16:17], v16, 1
	v_bfi_b32 v15, v15, 0, 0
	s_delay_alu instid0(VALU_DEP_3) | instskip(NEXT) | instid1(VALU_DEP_1)
	v_bfi_b32 v14, v14, 0, v2
	v_cmp_eq_u64_e64 s13, v[14:15], v[16:17]
	v_lshrrev_b64 v[14:15], v52, v[2:3]
	s_delay_alu instid0(VALU_DEP_1)
	v_mov_b64_e32 v[16:17], v[14:15]
	s_and_saveexec_b32 s77, s13
; %bb.3373:                             ;   in Loop: Header=BB6_2849 Depth=4
	v_bfe_u32 v2, v14, 20, 1
	s_delay_alu instid0(VALU_DEP_1) | instskip(NEXT) | instid1(VALU_DEP_1)
	v_add_nc_u64_e32 v[16:17], v[14:15], v[2:3]
	v_add_nc_u64_e32 v[16:17], -1, v[16:17]
; %bb.3374:                             ;   in Loop: Header=BB6_2849 Depth=4
	s_or_b32 exec_lo, exec_lo, s77
	v_add_nc_u32_e32 v0, 0xffffff81, v0
	v_lshrrev_b32_e32 v2, 23, v14
	s_mov_b32 s13, exec_lo
	s_delay_alu instid0(VALU_DEP_2) | instskip(NEXT) | instid1(VALU_DEP_1)
	v_cndmask_b32_e64 v0, v0, 0xffffff82, vcc_lo
	v_add3_u32 v17, v52, v0, v2
	v_and_b32_e32 v0, 0xfffff, v16
	s_delay_alu instid0(VALU_DEP_1) | instskip(NEXT) | instid1(VALU_DEP_1)
	v_dual_add_nc_u32 v16, 6, v17 :: v_dual_add_nc_u32 v2, v0, v14
                                        ; implicit-def: $vgpr14_vgpr15
                                        ; implicit-def: $vgpr0
	v_cmpx_ne_u32_e32 0, v16
	s_xor_b32 s13, exec_lo, s13
; %bb.3375:                             ;   in Loop: Header=BB6_2849 Depth=4
	s_delay_alu instid0(VALU_DEP_2) | instskip(SKIP_2) | instid1(VALU_DEP_2)
	v_cmp_lt_u64_e32 vcc_lo, 0xffffff, v[2:3]
	v_add_nc_u32_e32 v0, 7, v17
	v_cndmask_b32_e64 v14, 0, 1, vcc_lo
	v_cndmask_b32_e32 v0, v16, v0, vcc_lo
	s_delay_alu instid0(VALU_DEP_2)
	v_lshrrev_b64 v[14:15], v14, v[2:3]
; %bb.3376:                             ;   in Loop: Header=BB6_2849 Depth=4
	s_and_not1_saveexec_b32 s13, s13
; %bb.3377:                             ;   in Loop: Header=BB6_2849 Depth=4
	v_mov_b64_e32 v[14:15], v[2:3]
	v_bfe_u32 v0, v2, 23, 1
; %bb.3378:                             ;   in Loop: Header=BB6_2849 Depth=4
	s_or_b32 exec_lo, exec_lo, s13
	s_delay_alu instid0(VALU_DEP_2) | instskip(NEXT) | instid1(VALU_DEP_2)
	v_lshrrev_b64 v[14:15], 20, v[14:15]
	v_cmp_gt_i32_e32 vcc_lo, 16, v0
	v_cmp_ne_u32_e64 s13, 0, v0
                                        ; implicit-def: $vgpr92
	s_delay_alu instid0(VALU_DEP_3) | instskip(NEXT) | instid1(VALU_DEP_1)
	v_dual_cndmask_b32 v15, 0, v15 :: v_dual_cndmask_b32 v14, 7, v14
	v_cmp_ne_u64_e32 vcc_lo, 0, v[14:15]
	s_or_b32 s13, s13, vcc_lo
	s_delay_alu instid0(SALU_CYCLE_1) | instskip(NEXT) | instid1(SALU_CYCLE_1)
	s_and_saveexec_b32 s77, s13
	s_xor_b32 s13, exec_lo, s77
; %bb.3379:                             ;   in Loop: Header=BB6_2849 Depth=4
	v_min_i32_e32 v0, 15, v0
	s_delay_alu instid0(VALU_DEP_1) | instskip(NEXT) | instid1(VALU_DEP_1)
	v_lshl_or_b32 v0, v0, 3, v66
                                        ; implicit-def: $vgpr66
	v_and_or_b32 v92, v14, 7, v0
; %bb.3380:                             ;   in Loop: Header=BB6_2849 Depth=4
	s_and_not1_saveexec_b32 s13, s13
; %bb.3381:                             ;   in Loop: Header=BB6_2849 Depth=4
	v_mov_b32_e32 v92, v66
; %bb.3382:                             ;   in Loop: Header=BB6_2849 Depth=4
	s_or_b32 exec_lo, exec_lo, s13
.LBB6_3383:                             ;   in Loop: Header=BB6_2849 Depth=4
	s_delay_alu instid0(SALU_CYCLE_1)
	s_or_b32 exec_lo, exec_lo, s76
                                        ; implicit-def: $vgpr66
.LBB6_3384:                             ;   in Loop: Header=BB6_2849 Depth=4
	s_and_not1_saveexec_b32 s13, s75
; %bb.3385:                             ;   in Loop: Header=BB6_2849 Depth=4
	v_or_b32_e32 v92, 0x7e, v66
; %bb.3386:                             ;   in Loop: Header=BB6_2849 Depth=4
	s_or_b32 exec_lo, exec_lo, s13
                                        ; implicit-def: $vgpr14
.LBB6_3387:                             ;   in Loop: Header=BB6_2849 Depth=4
	s_and_not1_saveexec_b32 s13, s74
; %bb.3388:                             ;   in Loop: Header=BB6_2849 Depth=4
	v_or_b32_e32 v92, 0x7f, v14
; %bb.3389:                             ;   in Loop: Header=BB6_2849 Depth=4
	s_or_b32 exec_lo, exec_lo, s13
	v_and_b32_e32 v0, 0xff, v104
	v_dual_mov_b32 v14, 0 :: v_dual_mov_b32 v15, 0
	s_mov_b32 s13, exec_lo
	s_delay_alu instid0(VALU_DEP_2)
	v_cmpx_ne_u16_e32 0, v0
	s_cbranch_execz .LBB6_3397
; %bb.3390:                             ;   in Loop: Header=BB6_2849 Depth=4
	v_bfrev_b32_e32 v15, 1
	s_mov_b32 s74, exec_lo
	v_cmpx_ne_u16_e32 0x80, v0
	s_cbranch_execz .LBB6_3396
; %bb.3391:                             ;   in Loop: Header=BB6_2849 Depth=4
	v_and_b32_e32 v16, 0x7f, v104
	v_mov_b32_e32 v15, 0x7f800001
	s_mov_b32 s75, exec_lo
	s_delay_alu instid0(VALU_DEP_2)
	v_cmpx_ne_u32_e32 0x7f, v16
	s_cbranch_execz .LBB6_3395
; %bb.3392:                             ;   in Loop: Header=BB6_2849 Depth=4
	v_and_b32_e32 v2, 7, v0
	v_lshrrev_b32_e32 v0, 3, v16
	s_mov_b32 s76, exec_lo
	v_cmpx_gt_u32_e32 8, v16
; %bb.3393:                             ;   in Loop: Header=BB6_2849 Depth=4
	s_delay_alu instid0(VALU_DEP_3) | instskip(NEXT) | instid1(VALU_DEP_1)
	v_clz_i32_u32_e32 v0, v2
	v_min_u32_e32 v0, 32, v0
	s_delay_alu instid0(VALU_DEP_1) | instskip(SKIP_1) | instid1(VALU_DEP_2)
	v_subrev_nc_u32_e32 v15, 28, v0
	v_sub_nc_u32_e32 v0, 29, v0
	v_lshlrev_b64_e32 v[16:17], v15, v[2:3]
	s_delay_alu instid0(VALU_DEP_1)
	v_and_b32_e32 v2, 7, v16
; %bb.3394:                             ;   in Loop: Header=BB6_2849 Depth=4
	s_or_b32 exec_lo, exec_lo, s76
	s_delay_alu instid0(VALU_DEP_1) | instskip(SKIP_1) | instid1(VALU_DEP_2)
	v_dual_lshlrev_b32 v15, 24, v104 :: v_dual_lshlrev_b32 v2, 20, v2
	v_lshl_add_u32 v0, v0, 23, 0x3c000000
	v_and_b32_e32 v15, 0x80000000, v15
	s_delay_alu instid0(VALU_DEP_1)
	v_or3_b32 v15, v2, v15, v0
.LBB6_3395:                             ;   in Loop: Header=BB6_2849 Depth=4
	s_or_b32 exec_lo, exec_lo, s75
.LBB6_3396:                             ;   in Loop: Header=BB6_2849 Depth=4
	s_delay_alu instid0(SALU_CYCLE_1)
	s_or_b32 exec_lo, exec_lo, s74
.LBB6_3397:                             ;   in Loop: Header=BB6_2849 Depth=4
	s_delay_alu instid0(SALU_CYCLE_1) | instskip(SKIP_3) | instid1(VALU_DEP_1)
	s_or_b32 exec_lo, exec_lo, s13
	s_wait_loadcnt_dscnt 0x1010
	v_and_b32_e32 v0, 0xff, v95
	s_mov_b32 s13, exec_lo
	v_cmpx_ne_u16_e32 0, v0
	s_cbranch_execz .LBB6_3405
; %bb.3398:                             ;   in Loop: Header=BB6_2849 Depth=4
	v_bfrev_b32_e32 v14, 1
	s_mov_b32 s74, exec_lo
	v_cmpx_ne_u16_e32 0x80, v0
	s_cbranch_execz .LBB6_3404
; %bb.3399:                             ;   in Loop: Header=BB6_2849 Depth=4
	v_and_b32_e32 v16, 0x7f, v95
	v_mov_b32_e32 v14, 0x7f800001
	s_mov_b32 s75, exec_lo
	s_delay_alu instid0(VALU_DEP_2)
	v_cmpx_ne_u32_e32 0x7f, v16
	s_cbranch_execz .LBB6_3403
; %bb.3400:                             ;   in Loop: Header=BB6_2849 Depth=4
	v_and_b32_e32 v2, 7, v0
	v_lshrrev_b32_e32 v0, 3, v16
	s_mov_b32 s76, exec_lo
	v_cmpx_gt_u32_e32 8, v16
; %bb.3401:                             ;   in Loop: Header=BB6_2849 Depth=4
	s_delay_alu instid0(VALU_DEP_3) | instskip(NEXT) | instid1(VALU_DEP_1)
	v_clz_i32_u32_e32 v0, v2
	v_min_u32_e32 v0, 32, v0
	s_delay_alu instid0(VALU_DEP_1) | instskip(SKIP_1) | instid1(VALU_DEP_2)
	v_subrev_nc_u32_e32 v14, 28, v0
	v_sub_nc_u32_e32 v0, 29, v0
	v_lshlrev_b64_e32 v[16:17], v14, v[2:3]
	s_delay_alu instid0(VALU_DEP_1)
	v_and_b32_e32 v2, 7, v16
; %bb.3402:                             ;   in Loop: Header=BB6_2849 Depth=4
	s_or_b32 exec_lo, exec_lo, s76
	s_delay_alu instid0(VALU_DEP_1) | instskip(SKIP_1) | instid1(VALU_DEP_2)
	v_dual_lshlrev_b32 v14, 24, v95 :: v_dual_lshlrev_b32 v2, 20, v2
	v_lshl_add_u32 v0, v0, 23, 0x3c000000
	v_and_b32_e32 v14, 0x80000000, v14
	s_delay_alu instid0(VALU_DEP_1)
	v_or3_b32 v14, v2, v14, v0
.LBB6_3403:                             ;   in Loop: Header=BB6_2849 Depth=4
	s_or_b32 exec_lo, exec_lo, s75
.LBB6_3404:                             ;   in Loop: Header=BB6_2849 Depth=4
	s_delay_alu instid0(SALU_CYCLE_1)
	s_or_b32 exec_lo, exec_lo, s74
.LBB6_3405:                             ;   in Loop: Header=BB6_2849 Depth=4
	s_delay_alu instid0(SALU_CYCLE_1) | instskip(NEXT) | instid1(VALU_DEP_1)
	s_or_b32 exec_lo, exec_lo, s13
	v_add_f32_e32 v0, v15, v14
                                        ; implicit-def: $vgpr95
	s_mov_b32 s13, exec_lo
	s_delay_alu instid0(VALU_DEP_1) | instskip(SKIP_1) | instid1(VALU_DEP_2)
	v_and_b32_e32 v2, 0x7f800000, v0
	v_lshrrev_b32_e32 v14, 24, v0
	v_cmpx_ne_u64_e32 0x7f800000, v[2:3]
	s_xor_b32 s74, exec_lo, s13
	s_cbranch_execz .LBB6_3423
; %bb.3406:                             ;   in Loop: Header=BB6_2849 Depth=4
	v_and_b32_e32 v2, 0x7fffffff, v0
	v_and_b32_e32 v66, 0x80, v14
                                        ; implicit-def: $vgpr95
	s_mov_b32 s13, exec_lo
	s_delay_alu instid0(VALU_DEP_2)
	v_cmpx_gt_u64_e32 0x43e00001, v[2:3]
	s_xor_b32 s75, exec_lo, s13
	s_cbranch_execz .LBB6_3420
; %bb.3407:                             ;   in Loop: Header=BB6_2849 Depth=4
	v_mov_b32_e32 v95, 0
	s_mov_b32 s76, exec_lo
	v_cmpx_ne_u32_e32 0, v0
	s_cbranch_execz .LBB6_3419
; %bb.3408:                             ;   in Loop: Header=BB6_2849 Depth=4
	v_and_b32_e32 v2, 0x7fffff, v0
	v_bfe_u32 v0, v0, 23, 8
	s_delay_alu instid0(VALU_DEP_2) | instskip(NEXT) | instid1(VALU_DEP_2)
	v_or_b32_e32 v15, 0x800000, v2
	v_cmp_gt_u32_e64 s13, 0x7a, v0
	v_sub_nc_u32_e32 v14, 0x79, v0
	v_cmp_eq_u32_e32 vcc_lo, 0, v0
	s_delay_alu instid0(VALU_DEP_2) | instskip(NEXT) | instid1(VALU_DEP_1)
	v_cndmask_b32_e64 v14, 0, v14, s13
	v_cndmask_b32_e64 v52, v14, 0x78, vcc_lo
	s_delay_alu instid0(VALU_DEP_1) | instskip(SKIP_1) | instid1(VALU_DEP_2)
	v_dual_cndmask_b32 v2, v15, v2, vcc_lo :: v_dual_add_nc_u32 v14, 20, v52
	v_add_nc_u32_e32 v16, 19, v52
	v_lshlrev_b64_e64 v[14:15], v14, -1
	s_delay_alu instid0(VALU_DEP_2) | instskip(NEXT) | instid1(VALU_DEP_2)
	v_lshlrev_b64_e64 v[16:17], v16, 1
	v_bfi_b32 v15, v15, 0, 0
	s_delay_alu instid0(VALU_DEP_3) | instskip(NEXT) | instid1(VALU_DEP_1)
	v_bfi_b32 v14, v14, 0, v2
	v_cmp_eq_u64_e64 s13, v[14:15], v[16:17]
	v_lshrrev_b64 v[14:15], v52, v[2:3]
	s_delay_alu instid0(VALU_DEP_1)
	v_mov_b64_e32 v[16:17], v[14:15]
	s_and_saveexec_b32 s77, s13
; %bb.3409:                             ;   in Loop: Header=BB6_2849 Depth=4
	v_bfe_u32 v2, v14, 20, 1
	s_delay_alu instid0(VALU_DEP_1) | instskip(NEXT) | instid1(VALU_DEP_1)
	v_add_nc_u64_e32 v[16:17], v[14:15], v[2:3]
	v_add_nc_u64_e32 v[16:17], -1, v[16:17]
; %bb.3410:                             ;   in Loop: Header=BB6_2849 Depth=4
	s_or_b32 exec_lo, exec_lo, s77
	v_add_nc_u32_e32 v0, 0xffffff81, v0
	v_lshrrev_b32_e32 v2, 23, v14
	s_mov_b32 s13, exec_lo
	s_delay_alu instid0(VALU_DEP_2) | instskip(NEXT) | instid1(VALU_DEP_1)
	v_cndmask_b32_e64 v0, v0, 0xffffff82, vcc_lo
	v_add3_u32 v17, v52, v0, v2
	v_and_b32_e32 v0, 0xfffff, v16
	s_delay_alu instid0(VALU_DEP_1) | instskip(NEXT) | instid1(VALU_DEP_1)
	v_dual_add_nc_u32 v16, 6, v17 :: v_dual_add_nc_u32 v2, v0, v14
                                        ; implicit-def: $vgpr14_vgpr15
                                        ; implicit-def: $vgpr0
	v_cmpx_ne_u32_e32 0, v16
	s_xor_b32 s13, exec_lo, s13
; %bb.3411:                             ;   in Loop: Header=BB6_2849 Depth=4
	s_delay_alu instid0(VALU_DEP_2) | instskip(SKIP_2) | instid1(VALU_DEP_2)
	v_cmp_lt_u64_e32 vcc_lo, 0xffffff, v[2:3]
	v_add_nc_u32_e32 v0, 7, v17
	v_cndmask_b32_e64 v14, 0, 1, vcc_lo
	v_cndmask_b32_e32 v0, v16, v0, vcc_lo
	s_delay_alu instid0(VALU_DEP_2)
	v_lshrrev_b64 v[14:15], v14, v[2:3]
; %bb.3412:                             ;   in Loop: Header=BB6_2849 Depth=4
	s_and_not1_saveexec_b32 s13, s13
; %bb.3413:                             ;   in Loop: Header=BB6_2849 Depth=4
	v_mov_b64_e32 v[14:15], v[2:3]
	v_bfe_u32 v0, v2, 23, 1
; %bb.3414:                             ;   in Loop: Header=BB6_2849 Depth=4
	s_or_b32 exec_lo, exec_lo, s13
	s_delay_alu instid0(VALU_DEP_2) | instskip(NEXT) | instid1(VALU_DEP_2)
	v_lshrrev_b64 v[14:15], 20, v[14:15]
	v_cmp_gt_i32_e32 vcc_lo, 16, v0
	v_cmp_ne_u32_e64 s13, 0, v0
                                        ; implicit-def: $vgpr95
	s_delay_alu instid0(VALU_DEP_3) | instskip(NEXT) | instid1(VALU_DEP_1)
	v_dual_cndmask_b32 v15, 0, v15 :: v_dual_cndmask_b32 v14, 7, v14
	v_cmp_ne_u64_e32 vcc_lo, 0, v[14:15]
	s_or_b32 s13, s13, vcc_lo
	s_delay_alu instid0(SALU_CYCLE_1) | instskip(NEXT) | instid1(SALU_CYCLE_1)
	s_and_saveexec_b32 s77, s13
	s_xor_b32 s13, exec_lo, s77
; %bb.3415:                             ;   in Loop: Header=BB6_2849 Depth=4
	v_min_i32_e32 v0, 15, v0
	s_delay_alu instid0(VALU_DEP_1) | instskip(NEXT) | instid1(VALU_DEP_1)
	v_lshl_or_b32 v0, v0, 3, v66
                                        ; implicit-def: $vgpr66
	v_and_or_b32 v95, v14, 7, v0
; %bb.3416:                             ;   in Loop: Header=BB6_2849 Depth=4
	s_and_not1_saveexec_b32 s13, s13
; %bb.3417:                             ;   in Loop: Header=BB6_2849 Depth=4
	v_mov_b32_e32 v95, v66
; %bb.3418:                             ;   in Loop: Header=BB6_2849 Depth=4
	s_or_b32 exec_lo, exec_lo, s13
.LBB6_3419:                             ;   in Loop: Header=BB6_2849 Depth=4
	s_delay_alu instid0(SALU_CYCLE_1)
	s_or_b32 exec_lo, exec_lo, s76
                                        ; implicit-def: $vgpr66
.LBB6_3420:                             ;   in Loop: Header=BB6_2849 Depth=4
	s_and_not1_saveexec_b32 s13, s75
; %bb.3421:                             ;   in Loop: Header=BB6_2849 Depth=4
	v_or_b32_e32 v95, 0x7e, v66
; %bb.3422:                             ;   in Loop: Header=BB6_2849 Depth=4
	s_or_b32 exec_lo, exec_lo, s13
                                        ; implicit-def: $vgpr14
.LBB6_3423:                             ;   in Loop: Header=BB6_2849 Depth=4
	s_and_not1_saveexec_b32 s13, s74
; %bb.3424:                             ;   in Loop: Header=BB6_2849 Depth=4
	v_or_b32_e32 v95, 0x7f, v14
; %bb.3425:                             ;   in Loop: Header=BB6_2849 Depth=4
	s_or_b32 exec_lo, exec_lo, s13
	v_and_b32_e32 v0, 0xff, v94
	v_dual_mov_b32 v14, 0 :: v_dual_mov_b32 v15, 0
	s_mov_b32 s13, exec_lo
	s_delay_alu instid0(VALU_DEP_2)
	v_cmpx_ne_u16_e32 0, v0
	s_cbranch_execz .LBB6_3433
; %bb.3426:                             ;   in Loop: Header=BB6_2849 Depth=4
	v_bfrev_b32_e32 v15, 1
	s_mov_b32 s74, exec_lo
	v_cmpx_ne_u16_e32 0x80, v0
	s_cbranch_execz .LBB6_3432
; %bb.3427:                             ;   in Loop: Header=BB6_2849 Depth=4
	v_and_b32_e32 v16, 0x7f, v94
	v_mov_b32_e32 v15, 0x7f800001
	s_mov_b32 s75, exec_lo
	s_delay_alu instid0(VALU_DEP_2)
	v_cmpx_ne_u32_e32 0x7f, v16
	s_cbranch_execz .LBB6_3431
; %bb.3428:                             ;   in Loop: Header=BB6_2849 Depth=4
	v_and_b32_e32 v2, 7, v0
	v_lshrrev_b32_e32 v0, 3, v16
	s_mov_b32 s76, exec_lo
	v_cmpx_gt_u32_e32 8, v16
; %bb.3429:                             ;   in Loop: Header=BB6_2849 Depth=4
	s_delay_alu instid0(VALU_DEP_3) | instskip(NEXT) | instid1(VALU_DEP_1)
	v_clz_i32_u32_e32 v0, v2
	v_min_u32_e32 v0, 32, v0
	s_delay_alu instid0(VALU_DEP_1) | instskip(SKIP_1) | instid1(VALU_DEP_2)
	v_subrev_nc_u32_e32 v15, 28, v0
	v_sub_nc_u32_e32 v0, 29, v0
	v_lshlrev_b64_e32 v[16:17], v15, v[2:3]
	s_delay_alu instid0(VALU_DEP_1)
	v_and_b32_e32 v2, 7, v16
; %bb.3430:                             ;   in Loop: Header=BB6_2849 Depth=4
	s_or_b32 exec_lo, exec_lo, s76
	v_lshlrev_b32_e32 v15, 24, v94
	s_delay_alu instid0(VALU_DEP_2) | instskip(SKIP_1) | instid1(VALU_DEP_3)
	v_lshlrev_b32_e32 v2, 20, v2
	v_lshl_add_u32 v0, v0, 23, 0x3c000000
	v_and_b32_e32 v15, 0x80000000, v15
	s_delay_alu instid0(VALU_DEP_1)
	v_or3_b32 v15, v2, v15, v0
.LBB6_3431:                             ;   in Loop: Header=BB6_2849 Depth=4
	s_or_b32 exec_lo, exec_lo, s75
.LBB6_3432:                             ;   in Loop: Header=BB6_2849 Depth=4
	s_delay_alu instid0(SALU_CYCLE_1)
	s_or_b32 exec_lo, exec_lo, s74
.LBB6_3433:                             ;   in Loop: Header=BB6_2849 Depth=4
	s_delay_alu instid0(SALU_CYCLE_1) | instskip(SKIP_3) | instid1(VALU_DEP_1)
	s_or_b32 exec_lo, exec_lo, s13
	s_wait_loadcnt_dscnt 0xf0f
	v_and_b32_e32 v0, 0xff, v93
	s_mov_b32 s13, exec_lo
	v_cmpx_ne_u16_e32 0, v0
	s_cbranch_execz .LBB6_3441
; %bb.3434:                             ;   in Loop: Header=BB6_2849 Depth=4
	v_bfrev_b32_e32 v14, 1
	s_mov_b32 s74, exec_lo
	v_cmpx_ne_u16_e32 0x80, v0
	s_cbranch_execz .LBB6_3440
; %bb.3435:                             ;   in Loop: Header=BB6_2849 Depth=4
	v_and_b32_e32 v16, 0x7f, v93
	v_mov_b32_e32 v14, 0x7f800001
	s_mov_b32 s75, exec_lo
	s_delay_alu instid0(VALU_DEP_2)
	v_cmpx_ne_u32_e32 0x7f, v16
	s_cbranch_execz .LBB6_3439
; %bb.3436:                             ;   in Loop: Header=BB6_2849 Depth=4
	v_and_b32_e32 v2, 7, v0
	v_lshrrev_b32_e32 v0, 3, v16
	s_mov_b32 s76, exec_lo
	v_cmpx_gt_u32_e32 8, v16
; %bb.3437:                             ;   in Loop: Header=BB6_2849 Depth=4
	s_delay_alu instid0(VALU_DEP_3) | instskip(NEXT) | instid1(VALU_DEP_1)
	v_clz_i32_u32_e32 v0, v2
	v_min_u32_e32 v0, 32, v0
	s_delay_alu instid0(VALU_DEP_1) | instskip(SKIP_1) | instid1(VALU_DEP_2)
	v_subrev_nc_u32_e32 v14, 28, v0
	v_sub_nc_u32_e32 v0, 29, v0
	v_lshlrev_b64_e32 v[16:17], v14, v[2:3]
	s_delay_alu instid0(VALU_DEP_1)
	v_and_b32_e32 v2, 7, v16
; %bb.3438:                             ;   in Loop: Header=BB6_2849 Depth=4
	s_or_b32 exec_lo, exec_lo, s76
	s_delay_alu instid0(VALU_DEP_1) | instskip(SKIP_1) | instid1(VALU_DEP_2)
	v_dual_lshlrev_b32 v14, 24, v93 :: v_dual_lshlrev_b32 v2, 20, v2
	v_lshl_add_u32 v0, v0, 23, 0x3c000000
	v_and_b32_e32 v14, 0x80000000, v14
	s_delay_alu instid0(VALU_DEP_1)
	v_or3_b32 v14, v2, v14, v0
.LBB6_3439:                             ;   in Loop: Header=BB6_2849 Depth=4
	s_or_b32 exec_lo, exec_lo, s75
.LBB6_3440:                             ;   in Loop: Header=BB6_2849 Depth=4
	s_delay_alu instid0(SALU_CYCLE_1)
	s_or_b32 exec_lo, exec_lo, s74
.LBB6_3441:                             ;   in Loop: Header=BB6_2849 Depth=4
	s_delay_alu instid0(SALU_CYCLE_1) | instskip(NEXT) | instid1(VALU_DEP_1)
	s_or_b32 exec_lo, exec_lo, s13
	v_add_f32_e32 v0, v15, v14
                                        ; implicit-def: $vgpr93
	s_mov_b32 s13, exec_lo
	s_delay_alu instid0(VALU_DEP_1) | instskip(SKIP_1) | instid1(VALU_DEP_2)
	v_and_b32_e32 v2, 0x7f800000, v0
	v_lshrrev_b32_e32 v14, 24, v0
	v_cmpx_ne_u64_e32 0x7f800000, v[2:3]
	s_xor_b32 s74, exec_lo, s13
	s_cbranch_execz .LBB6_3459
; %bb.3442:                             ;   in Loop: Header=BB6_2849 Depth=4
	v_and_b32_e32 v2, 0x7fffffff, v0
	v_and_b32_e32 v66, 0x80, v14
                                        ; implicit-def: $vgpr93
	s_mov_b32 s13, exec_lo
	s_delay_alu instid0(VALU_DEP_2)
	v_cmpx_gt_u64_e32 0x43e00001, v[2:3]
	s_xor_b32 s75, exec_lo, s13
	s_cbranch_execz .LBB6_3456
; %bb.3443:                             ;   in Loop: Header=BB6_2849 Depth=4
	v_mov_b32_e32 v93, 0
	s_mov_b32 s76, exec_lo
	v_cmpx_ne_u32_e32 0, v0
	s_cbranch_execz .LBB6_3455
; %bb.3444:                             ;   in Loop: Header=BB6_2849 Depth=4
	v_and_b32_e32 v2, 0x7fffff, v0
	v_bfe_u32 v0, v0, 23, 8
	s_delay_alu instid0(VALU_DEP_2) | instskip(NEXT) | instid1(VALU_DEP_2)
	v_or_b32_e32 v15, 0x800000, v2
	v_cmp_gt_u32_e64 s13, 0x7a, v0
	v_sub_nc_u32_e32 v14, 0x79, v0
	v_cmp_eq_u32_e32 vcc_lo, 0, v0
	s_delay_alu instid0(VALU_DEP_2) | instskip(NEXT) | instid1(VALU_DEP_1)
	v_cndmask_b32_e64 v14, 0, v14, s13
	v_cndmask_b32_e64 v52, v14, 0x78, vcc_lo
	s_delay_alu instid0(VALU_DEP_1) | instskip(SKIP_1) | instid1(VALU_DEP_2)
	v_dual_cndmask_b32 v2, v15, v2, vcc_lo :: v_dual_add_nc_u32 v14, 20, v52
	v_add_nc_u32_e32 v16, 19, v52
	v_lshlrev_b64_e64 v[14:15], v14, -1
	s_delay_alu instid0(VALU_DEP_2) | instskip(NEXT) | instid1(VALU_DEP_2)
	v_lshlrev_b64_e64 v[16:17], v16, 1
	v_bfi_b32 v15, v15, 0, 0
	s_delay_alu instid0(VALU_DEP_3) | instskip(NEXT) | instid1(VALU_DEP_1)
	v_bfi_b32 v14, v14, 0, v2
	v_cmp_eq_u64_e64 s13, v[14:15], v[16:17]
	v_lshrrev_b64 v[14:15], v52, v[2:3]
	s_delay_alu instid0(VALU_DEP_1)
	v_mov_b64_e32 v[16:17], v[14:15]
	s_and_saveexec_b32 s77, s13
; %bb.3445:                             ;   in Loop: Header=BB6_2849 Depth=4
	v_bfe_u32 v2, v14, 20, 1
	s_delay_alu instid0(VALU_DEP_1) | instskip(NEXT) | instid1(VALU_DEP_1)
	v_add_nc_u64_e32 v[16:17], v[14:15], v[2:3]
	v_add_nc_u64_e32 v[16:17], -1, v[16:17]
; %bb.3446:                             ;   in Loop: Header=BB6_2849 Depth=4
	s_or_b32 exec_lo, exec_lo, s77
	v_add_nc_u32_e32 v0, 0xffffff81, v0
	v_lshrrev_b32_e32 v2, 23, v14
	s_mov_b32 s13, exec_lo
	s_delay_alu instid0(VALU_DEP_2) | instskip(NEXT) | instid1(VALU_DEP_1)
	v_cndmask_b32_e64 v0, v0, 0xffffff82, vcc_lo
	v_add3_u32 v17, v52, v0, v2
	v_and_b32_e32 v0, 0xfffff, v16
	s_delay_alu instid0(VALU_DEP_1) | instskip(NEXT) | instid1(VALU_DEP_1)
	v_dual_add_nc_u32 v16, 6, v17 :: v_dual_add_nc_u32 v2, v0, v14
                                        ; implicit-def: $vgpr14_vgpr15
                                        ; implicit-def: $vgpr0
	v_cmpx_ne_u32_e32 0, v16
	s_xor_b32 s13, exec_lo, s13
; %bb.3447:                             ;   in Loop: Header=BB6_2849 Depth=4
	s_delay_alu instid0(VALU_DEP_2) | instskip(SKIP_2) | instid1(VALU_DEP_2)
	v_cmp_lt_u64_e32 vcc_lo, 0xffffff, v[2:3]
	v_add_nc_u32_e32 v0, 7, v17
	v_cndmask_b32_e64 v14, 0, 1, vcc_lo
	v_cndmask_b32_e32 v0, v16, v0, vcc_lo
	s_delay_alu instid0(VALU_DEP_2)
	v_lshrrev_b64 v[14:15], v14, v[2:3]
; %bb.3448:                             ;   in Loop: Header=BB6_2849 Depth=4
	s_and_not1_saveexec_b32 s13, s13
; %bb.3449:                             ;   in Loop: Header=BB6_2849 Depth=4
	v_mov_b64_e32 v[14:15], v[2:3]
	v_bfe_u32 v0, v2, 23, 1
; %bb.3450:                             ;   in Loop: Header=BB6_2849 Depth=4
	s_or_b32 exec_lo, exec_lo, s13
	s_delay_alu instid0(VALU_DEP_2) | instskip(NEXT) | instid1(VALU_DEP_2)
	v_lshrrev_b64 v[14:15], 20, v[14:15]
	v_cmp_gt_i32_e32 vcc_lo, 16, v0
	v_cmp_ne_u32_e64 s13, 0, v0
                                        ; implicit-def: $vgpr93
	s_delay_alu instid0(VALU_DEP_3) | instskip(NEXT) | instid1(VALU_DEP_1)
	v_dual_cndmask_b32 v15, 0, v15 :: v_dual_cndmask_b32 v14, 7, v14
	v_cmp_ne_u64_e32 vcc_lo, 0, v[14:15]
	s_or_b32 s13, s13, vcc_lo
	s_delay_alu instid0(SALU_CYCLE_1) | instskip(NEXT) | instid1(SALU_CYCLE_1)
	s_and_saveexec_b32 s77, s13
	s_xor_b32 s13, exec_lo, s77
; %bb.3451:                             ;   in Loop: Header=BB6_2849 Depth=4
	v_min_i32_e32 v0, 15, v0
	s_delay_alu instid0(VALU_DEP_1) | instskip(NEXT) | instid1(VALU_DEP_1)
	v_lshl_or_b32 v0, v0, 3, v66
                                        ; implicit-def: $vgpr66
	v_and_or_b32 v93, v14, 7, v0
; %bb.3452:                             ;   in Loop: Header=BB6_2849 Depth=4
	s_and_not1_saveexec_b32 s13, s13
; %bb.3453:                             ;   in Loop: Header=BB6_2849 Depth=4
	v_mov_b32_e32 v93, v66
; %bb.3454:                             ;   in Loop: Header=BB6_2849 Depth=4
	s_or_b32 exec_lo, exec_lo, s13
.LBB6_3455:                             ;   in Loop: Header=BB6_2849 Depth=4
	s_delay_alu instid0(SALU_CYCLE_1)
	s_or_b32 exec_lo, exec_lo, s76
                                        ; implicit-def: $vgpr66
.LBB6_3456:                             ;   in Loop: Header=BB6_2849 Depth=4
	s_and_not1_saveexec_b32 s13, s75
; %bb.3457:                             ;   in Loop: Header=BB6_2849 Depth=4
	v_or_b32_e32 v93, 0x7e, v66
; %bb.3458:                             ;   in Loop: Header=BB6_2849 Depth=4
	s_or_b32 exec_lo, exec_lo, s13
                                        ; implicit-def: $vgpr14
.LBB6_3459:                             ;   in Loop: Header=BB6_2849 Depth=4
	s_and_not1_saveexec_b32 s13, s74
; %bb.3460:                             ;   in Loop: Header=BB6_2849 Depth=4
	v_or_b32_e32 v93, 0x7f, v14
; %bb.3461:                             ;   in Loop: Header=BB6_2849 Depth=4
	s_or_b32 exec_lo, exec_lo, s13
	v_and_b32_e32 v0, 0xff, v91
	v_dual_mov_b32 v14, 0 :: v_dual_mov_b32 v15, 0
	s_mov_b32 s13, exec_lo
	s_delay_alu instid0(VALU_DEP_2)
	v_cmpx_ne_u16_e32 0, v0
	s_cbranch_execz .LBB6_3469
; %bb.3462:                             ;   in Loop: Header=BB6_2849 Depth=4
	v_bfrev_b32_e32 v15, 1
	s_mov_b32 s74, exec_lo
	v_cmpx_ne_u16_e32 0x80, v0
	s_cbranch_execz .LBB6_3468
; %bb.3463:                             ;   in Loop: Header=BB6_2849 Depth=4
	v_and_b32_e32 v16, 0x7f, v91
	v_mov_b32_e32 v15, 0x7f800001
	s_mov_b32 s75, exec_lo
	s_delay_alu instid0(VALU_DEP_2)
	v_cmpx_ne_u32_e32 0x7f, v16
	s_cbranch_execz .LBB6_3467
; %bb.3464:                             ;   in Loop: Header=BB6_2849 Depth=4
	v_and_b32_e32 v2, 7, v0
	v_lshrrev_b32_e32 v0, 3, v16
	s_mov_b32 s76, exec_lo
	v_cmpx_gt_u32_e32 8, v16
; %bb.3465:                             ;   in Loop: Header=BB6_2849 Depth=4
	s_delay_alu instid0(VALU_DEP_3) | instskip(NEXT) | instid1(VALU_DEP_1)
	v_clz_i32_u32_e32 v0, v2
	v_min_u32_e32 v0, 32, v0
	s_delay_alu instid0(VALU_DEP_1) | instskip(SKIP_1) | instid1(VALU_DEP_2)
	v_subrev_nc_u32_e32 v15, 28, v0
	v_sub_nc_u32_e32 v0, 29, v0
	v_lshlrev_b64_e32 v[16:17], v15, v[2:3]
	s_delay_alu instid0(VALU_DEP_1)
	v_and_b32_e32 v2, 7, v16
; %bb.3466:                             ;   in Loop: Header=BB6_2849 Depth=4
	s_or_b32 exec_lo, exec_lo, s76
	s_delay_alu instid0(VALU_DEP_1) | instskip(SKIP_1) | instid1(VALU_DEP_2)
	v_dual_lshlrev_b32 v15, 24, v91 :: v_dual_lshlrev_b32 v2, 20, v2
	v_lshl_add_u32 v0, v0, 23, 0x3c000000
	v_and_b32_e32 v15, 0x80000000, v15
	s_delay_alu instid0(VALU_DEP_1)
	v_or3_b32 v15, v2, v15, v0
.LBB6_3467:                             ;   in Loop: Header=BB6_2849 Depth=4
	s_or_b32 exec_lo, exec_lo, s75
.LBB6_3468:                             ;   in Loop: Header=BB6_2849 Depth=4
	s_delay_alu instid0(SALU_CYCLE_1)
	s_or_b32 exec_lo, exec_lo, s74
.LBB6_3469:                             ;   in Loop: Header=BB6_2849 Depth=4
	s_delay_alu instid0(SALU_CYCLE_1) | instskip(SKIP_3) | instid1(VALU_DEP_1)
	s_or_b32 exec_lo, exec_lo, s13
	s_wait_loadcnt_dscnt 0xe0e
	v_and_b32_e32 v0, 0xff, v90
	s_mov_b32 s13, exec_lo
	v_cmpx_ne_u16_e32 0, v0
	s_cbranch_execz .LBB6_3477
; %bb.3470:                             ;   in Loop: Header=BB6_2849 Depth=4
	v_bfrev_b32_e32 v14, 1
	s_mov_b32 s74, exec_lo
	v_cmpx_ne_u16_e32 0x80, v0
	s_cbranch_execz .LBB6_3476
; %bb.3471:                             ;   in Loop: Header=BB6_2849 Depth=4
	v_and_b32_e32 v16, 0x7f, v90
	v_mov_b32_e32 v14, 0x7f800001
	s_mov_b32 s75, exec_lo
	s_delay_alu instid0(VALU_DEP_2)
	v_cmpx_ne_u32_e32 0x7f, v16
	s_cbranch_execz .LBB6_3475
; %bb.3472:                             ;   in Loop: Header=BB6_2849 Depth=4
	v_and_b32_e32 v2, 7, v0
	v_lshrrev_b32_e32 v0, 3, v16
	s_mov_b32 s76, exec_lo
	v_cmpx_gt_u32_e32 8, v16
; %bb.3473:                             ;   in Loop: Header=BB6_2849 Depth=4
	s_delay_alu instid0(VALU_DEP_3) | instskip(NEXT) | instid1(VALU_DEP_1)
	v_clz_i32_u32_e32 v0, v2
	v_min_u32_e32 v0, 32, v0
	s_delay_alu instid0(VALU_DEP_1) | instskip(SKIP_1) | instid1(VALU_DEP_2)
	v_subrev_nc_u32_e32 v14, 28, v0
	v_sub_nc_u32_e32 v0, 29, v0
	v_lshlrev_b64_e32 v[16:17], v14, v[2:3]
	s_delay_alu instid0(VALU_DEP_1)
	v_and_b32_e32 v2, 7, v16
; %bb.3474:                             ;   in Loop: Header=BB6_2849 Depth=4
	s_or_b32 exec_lo, exec_lo, s76
	v_lshlrev_b32_e32 v14, 24, v90
	s_delay_alu instid0(VALU_DEP_2) | instskip(SKIP_1) | instid1(VALU_DEP_3)
	v_lshlrev_b32_e32 v2, 20, v2
	v_lshl_add_u32 v0, v0, 23, 0x3c000000
	v_and_b32_e32 v14, 0x80000000, v14
	s_delay_alu instid0(VALU_DEP_1)
	v_or3_b32 v14, v2, v14, v0
.LBB6_3475:                             ;   in Loop: Header=BB6_2849 Depth=4
	s_or_b32 exec_lo, exec_lo, s75
.LBB6_3476:                             ;   in Loop: Header=BB6_2849 Depth=4
	s_delay_alu instid0(SALU_CYCLE_1)
	s_or_b32 exec_lo, exec_lo, s74
.LBB6_3477:                             ;   in Loop: Header=BB6_2849 Depth=4
	s_delay_alu instid0(SALU_CYCLE_1) | instskip(NEXT) | instid1(VALU_DEP_1)
	s_or_b32 exec_lo, exec_lo, s13
	v_add_f32_e32 v0, v15, v14
                                        ; implicit-def: $vgpr90
	s_mov_b32 s13, exec_lo
	s_delay_alu instid0(VALU_DEP_1) | instskip(SKIP_1) | instid1(VALU_DEP_2)
	v_and_b32_e32 v2, 0x7f800000, v0
	v_lshrrev_b32_e32 v14, 24, v0
	v_cmpx_ne_u64_e32 0x7f800000, v[2:3]
	s_xor_b32 s74, exec_lo, s13
	s_cbranch_execz .LBB6_3495
; %bb.3478:                             ;   in Loop: Header=BB6_2849 Depth=4
	v_and_b32_e32 v2, 0x7fffffff, v0
	v_and_b32_e32 v66, 0x80, v14
                                        ; implicit-def: $vgpr90
	s_mov_b32 s13, exec_lo
	s_delay_alu instid0(VALU_DEP_2)
	v_cmpx_gt_u64_e32 0x43e00001, v[2:3]
	s_xor_b32 s75, exec_lo, s13
	s_cbranch_execz .LBB6_3492
; %bb.3479:                             ;   in Loop: Header=BB6_2849 Depth=4
	v_mov_b32_e32 v90, 0
	s_mov_b32 s76, exec_lo
	v_cmpx_ne_u32_e32 0, v0
	s_cbranch_execz .LBB6_3491
; %bb.3480:                             ;   in Loop: Header=BB6_2849 Depth=4
	v_and_b32_e32 v2, 0x7fffff, v0
	v_bfe_u32 v0, v0, 23, 8
	s_delay_alu instid0(VALU_DEP_2) | instskip(NEXT) | instid1(VALU_DEP_2)
	v_or_b32_e32 v15, 0x800000, v2
	v_cmp_gt_u32_e64 s13, 0x7a, v0
	v_sub_nc_u32_e32 v14, 0x79, v0
	v_cmp_eq_u32_e32 vcc_lo, 0, v0
	s_delay_alu instid0(VALU_DEP_2) | instskip(NEXT) | instid1(VALU_DEP_1)
	v_cndmask_b32_e64 v14, 0, v14, s13
	v_cndmask_b32_e64 v52, v14, 0x78, vcc_lo
	s_delay_alu instid0(VALU_DEP_1) | instskip(SKIP_1) | instid1(VALU_DEP_2)
	v_dual_cndmask_b32 v2, v15, v2, vcc_lo :: v_dual_add_nc_u32 v14, 20, v52
	v_add_nc_u32_e32 v16, 19, v52
	v_lshlrev_b64_e64 v[14:15], v14, -1
	s_delay_alu instid0(VALU_DEP_2) | instskip(NEXT) | instid1(VALU_DEP_2)
	v_lshlrev_b64_e64 v[16:17], v16, 1
	v_bfi_b32 v15, v15, 0, 0
	s_delay_alu instid0(VALU_DEP_3) | instskip(NEXT) | instid1(VALU_DEP_1)
	v_bfi_b32 v14, v14, 0, v2
	v_cmp_eq_u64_e64 s13, v[14:15], v[16:17]
	v_lshrrev_b64 v[14:15], v52, v[2:3]
	s_delay_alu instid0(VALU_DEP_1)
	v_mov_b64_e32 v[16:17], v[14:15]
	s_and_saveexec_b32 s77, s13
; %bb.3481:                             ;   in Loop: Header=BB6_2849 Depth=4
	v_bfe_u32 v2, v14, 20, 1
	s_delay_alu instid0(VALU_DEP_1) | instskip(NEXT) | instid1(VALU_DEP_1)
	v_add_nc_u64_e32 v[16:17], v[14:15], v[2:3]
	v_add_nc_u64_e32 v[16:17], -1, v[16:17]
; %bb.3482:                             ;   in Loop: Header=BB6_2849 Depth=4
	s_or_b32 exec_lo, exec_lo, s77
	v_add_nc_u32_e32 v0, 0xffffff81, v0
	v_lshrrev_b32_e32 v2, 23, v14
	s_mov_b32 s13, exec_lo
	s_delay_alu instid0(VALU_DEP_2) | instskip(NEXT) | instid1(VALU_DEP_1)
	v_cndmask_b32_e64 v0, v0, 0xffffff82, vcc_lo
	v_add3_u32 v17, v52, v0, v2
	v_and_b32_e32 v0, 0xfffff, v16
	s_delay_alu instid0(VALU_DEP_1) | instskip(NEXT) | instid1(VALU_DEP_1)
	v_dual_add_nc_u32 v16, 6, v17 :: v_dual_add_nc_u32 v2, v0, v14
                                        ; implicit-def: $vgpr14_vgpr15
                                        ; implicit-def: $vgpr0
	v_cmpx_ne_u32_e32 0, v16
	s_xor_b32 s13, exec_lo, s13
; %bb.3483:                             ;   in Loop: Header=BB6_2849 Depth=4
	s_delay_alu instid0(VALU_DEP_2) | instskip(SKIP_2) | instid1(VALU_DEP_2)
	v_cmp_lt_u64_e32 vcc_lo, 0xffffff, v[2:3]
	v_add_nc_u32_e32 v0, 7, v17
	v_cndmask_b32_e64 v14, 0, 1, vcc_lo
	v_cndmask_b32_e32 v0, v16, v0, vcc_lo
	s_delay_alu instid0(VALU_DEP_2)
	v_lshrrev_b64 v[14:15], v14, v[2:3]
; %bb.3484:                             ;   in Loop: Header=BB6_2849 Depth=4
	s_and_not1_saveexec_b32 s13, s13
; %bb.3485:                             ;   in Loop: Header=BB6_2849 Depth=4
	v_mov_b64_e32 v[14:15], v[2:3]
	v_bfe_u32 v0, v2, 23, 1
; %bb.3486:                             ;   in Loop: Header=BB6_2849 Depth=4
	s_or_b32 exec_lo, exec_lo, s13
	s_delay_alu instid0(VALU_DEP_2) | instskip(NEXT) | instid1(VALU_DEP_2)
	v_lshrrev_b64 v[14:15], 20, v[14:15]
	v_cmp_gt_i32_e32 vcc_lo, 16, v0
	v_cmp_ne_u32_e64 s13, 0, v0
                                        ; implicit-def: $vgpr90
	s_delay_alu instid0(VALU_DEP_3) | instskip(NEXT) | instid1(VALU_DEP_1)
	v_dual_cndmask_b32 v15, 0, v15 :: v_dual_cndmask_b32 v14, 7, v14
	v_cmp_ne_u64_e32 vcc_lo, 0, v[14:15]
	s_or_b32 s13, s13, vcc_lo
	s_delay_alu instid0(SALU_CYCLE_1) | instskip(NEXT) | instid1(SALU_CYCLE_1)
	s_and_saveexec_b32 s77, s13
	s_xor_b32 s13, exec_lo, s77
; %bb.3487:                             ;   in Loop: Header=BB6_2849 Depth=4
	v_min_i32_e32 v0, 15, v0
	s_delay_alu instid0(VALU_DEP_1) | instskip(NEXT) | instid1(VALU_DEP_1)
	v_lshl_or_b32 v0, v0, 3, v66
                                        ; implicit-def: $vgpr66
	v_and_or_b32 v90, v14, 7, v0
; %bb.3488:                             ;   in Loop: Header=BB6_2849 Depth=4
	s_and_not1_saveexec_b32 s13, s13
; %bb.3489:                             ;   in Loop: Header=BB6_2849 Depth=4
	v_mov_b32_e32 v90, v66
; %bb.3490:                             ;   in Loop: Header=BB6_2849 Depth=4
	s_or_b32 exec_lo, exec_lo, s13
.LBB6_3491:                             ;   in Loop: Header=BB6_2849 Depth=4
	s_delay_alu instid0(SALU_CYCLE_1)
	s_or_b32 exec_lo, exec_lo, s76
                                        ; implicit-def: $vgpr66
.LBB6_3492:                             ;   in Loop: Header=BB6_2849 Depth=4
	s_and_not1_saveexec_b32 s13, s75
; %bb.3493:                             ;   in Loop: Header=BB6_2849 Depth=4
	v_or_b32_e32 v90, 0x7e, v66
; %bb.3494:                             ;   in Loop: Header=BB6_2849 Depth=4
	s_or_b32 exec_lo, exec_lo, s13
                                        ; implicit-def: $vgpr14
.LBB6_3495:                             ;   in Loop: Header=BB6_2849 Depth=4
	s_and_not1_saveexec_b32 s13, s74
; %bb.3496:                             ;   in Loop: Header=BB6_2849 Depth=4
	v_or_b32_e32 v90, 0x7f, v14
; %bb.3497:                             ;   in Loop: Header=BB6_2849 Depth=4
	s_or_b32 exec_lo, exec_lo, s13
	v_and_b32_e32 v0, 0xff, v57
	v_dual_mov_b32 v14, 0 :: v_dual_mov_b32 v15, 0
	s_mov_b32 s13, exec_lo
	s_delay_alu instid0(VALU_DEP_2)
	v_cmpx_ne_u16_e32 0, v0
	s_cbranch_execz .LBB6_3505
; %bb.3498:                             ;   in Loop: Header=BB6_2849 Depth=4
	v_bfrev_b32_e32 v15, 1
	s_mov_b32 s74, exec_lo
	v_cmpx_ne_u16_e32 0x80, v0
	s_cbranch_execz .LBB6_3504
; %bb.3499:                             ;   in Loop: Header=BB6_2849 Depth=4
	v_and_b32_e32 v16, 0x7f, v57
	v_mov_b32_e32 v15, 0x7f800001
	s_mov_b32 s75, exec_lo
	s_delay_alu instid0(VALU_DEP_2)
	v_cmpx_ne_u32_e32 0x7f, v16
	s_cbranch_execz .LBB6_3503
; %bb.3500:                             ;   in Loop: Header=BB6_2849 Depth=4
	v_and_b32_e32 v2, 7, v0
	v_lshrrev_b32_e32 v0, 3, v16
	s_mov_b32 s76, exec_lo
	v_cmpx_gt_u32_e32 8, v16
; %bb.3501:                             ;   in Loop: Header=BB6_2849 Depth=4
	s_delay_alu instid0(VALU_DEP_3) | instskip(NEXT) | instid1(VALU_DEP_1)
	v_clz_i32_u32_e32 v0, v2
	v_min_u32_e32 v0, 32, v0
	s_delay_alu instid0(VALU_DEP_1) | instskip(SKIP_1) | instid1(VALU_DEP_2)
	v_subrev_nc_u32_e32 v15, 28, v0
	v_sub_nc_u32_e32 v0, 29, v0
	v_lshlrev_b64_e32 v[16:17], v15, v[2:3]
	s_delay_alu instid0(VALU_DEP_1)
	v_and_b32_e32 v2, 7, v16
; %bb.3502:                             ;   in Loop: Header=BB6_2849 Depth=4
	s_or_b32 exec_lo, exec_lo, s76
	s_delay_alu instid0(VALU_DEP_1) | instskip(SKIP_1) | instid1(VALU_DEP_2)
	v_dual_lshlrev_b32 v15, 24, v57 :: v_dual_lshlrev_b32 v2, 20, v2
	v_lshl_add_u32 v0, v0, 23, 0x3c000000
	v_and_b32_e32 v15, 0x80000000, v15
	s_delay_alu instid0(VALU_DEP_1)
	v_or3_b32 v15, v2, v15, v0
.LBB6_3503:                             ;   in Loop: Header=BB6_2849 Depth=4
	s_or_b32 exec_lo, exec_lo, s75
.LBB6_3504:                             ;   in Loop: Header=BB6_2849 Depth=4
	s_delay_alu instid0(SALU_CYCLE_1)
	s_or_b32 exec_lo, exec_lo, s74
.LBB6_3505:                             ;   in Loop: Header=BB6_2849 Depth=4
	s_delay_alu instid0(SALU_CYCLE_1) | instskip(SKIP_3) | instid1(VALU_DEP_1)
	s_or_b32 exec_lo, exec_lo, s13
	s_wait_loadcnt_dscnt 0xd0d
	v_and_b32_e32 v0, 0xff, v56
	s_mov_b32 s13, exec_lo
	v_cmpx_ne_u16_e32 0, v0
	s_cbranch_execz .LBB6_3513
; %bb.3506:                             ;   in Loop: Header=BB6_2849 Depth=4
	v_bfrev_b32_e32 v14, 1
	s_mov_b32 s74, exec_lo
	v_cmpx_ne_u16_e32 0x80, v0
	s_cbranch_execz .LBB6_3512
; %bb.3507:                             ;   in Loop: Header=BB6_2849 Depth=4
	v_and_b32_e32 v16, 0x7f, v56
	v_mov_b32_e32 v14, 0x7f800001
	s_mov_b32 s75, exec_lo
	s_delay_alu instid0(VALU_DEP_2)
	v_cmpx_ne_u32_e32 0x7f, v16
	s_cbranch_execz .LBB6_3511
; %bb.3508:                             ;   in Loop: Header=BB6_2849 Depth=4
	v_and_b32_e32 v2, 7, v0
	v_lshrrev_b32_e32 v0, 3, v16
	s_mov_b32 s76, exec_lo
	v_cmpx_gt_u32_e32 8, v16
; %bb.3509:                             ;   in Loop: Header=BB6_2849 Depth=4
	s_delay_alu instid0(VALU_DEP_3) | instskip(NEXT) | instid1(VALU_DEP_1)
	v_clz_i32_u32_e32 v0, v2
	v_min_u32_e32 v0, 32, v0
	s_delay_alu instid0(VALU_DEP_1) | instskip(SKIP_1) | instid1(VALU_DEP_2)
	v_subrev_nc_u32_e32 v14, 28, v0
	v_sub_nc_u32_e32 v0, 29, v0
	v_lshlrev_b64_e32 v[16:17], v14, v[2:3]
	s_delay_alu instid0(VALU_DEP_1)
	v_and_b32_e32 v2, 7, v16
; %bb.3510:                             ;   in Loop: Header=BB6_2849 Depth=4
	s_or_b32 exec_lo, exec_lo, s76
	s_delay_alu instid0(VALU_DEP_1) | instskip(SKIP_1) | instid1(VALU_DEP_2)
	v_dual_lshlrev_b32 v14, 24, v56 :: v_dual_lshlrev_b32 v2, 20, v2
	v_lshl_add_u32 v0, v0, 23, 0x3c000000
	v_and_b32_e32 v14, 0x80000000, v14
	s_delay_alu instid0(VALU_DEP_1)
	v_or3_b32 v14, v2, v14, v0
.LBB6_3511:                             ;   in Loop: Header=BB6_2849 Depth=4
	s_or_b32 exec_lo, exec_lo, s75
.LBB6_3512:                             ;   in Loop: Header=BB6_2849 Depth=4
	s_delay_alu instid0(SALU_CYCLE_1)
	s_or_b32 exec_lo, exec_lo, s74
.LBB6_3513:                             ;   in Loop: Header=BB6_2849 Depth=4
	s_delay_alu instid0(SALU_CYCLE_1) | instskip(NEXT) | instid1(VALU_DEP_1)
	s_or_b32 exec_lo, exec_lo, s13
	v_add_f32_e32 v0, v15, v14
                                        ; implicit-def: $vgpr56
	s_mov_b32 s13, exec_lo
	s_delay_alu instid0(VALU_DEP_1) | instskip(SKIP_1) | instid1(VALU_DEP_2)
	v_and_b32_e32 v2, 0x7f800000, v0
	v_lshrrev_b32_e32 v14, 24, v0
	v_cmpx_ne_u64_e32 0x7f800000, v[2:3]
	s_xor_b32 s74, exec_lo, s13
	s_cbranch_execz .LBB6_3531
; %bb.3514:                             ;   in Loop: Header=BB6_2849 Depth=4
	v_and_b32_e32 v2, 0x7fffffff, v0
	v_and_b32_e32 v66, 0x80, v14
                                        ; implicit-def: $vgpr56
	s_mov_b32 s13, exec_lo
	s_delay_alu instid0(VALU_DEP_2)
	v_cmpx_gt_u64_e32 0x43e00001, v[2:3]
	s_xor_b32 s75, exec_lo, s13
	s_cbranch_execz .LBB6_3528
; %bb.3515:                             ;   in Loop: Header=BB6_2849 Depth=4
	v_mov_b32_e32 v56, 0
	s_mov_b32 s76, exec_lo
	v_cmpx_ne_u32_e32 0, v0
	s_cbranch_execz .LBB6_3527
; %bb.3516:                             ;   in Loop: Header=BB6_2849 Depth=4
	v_and_b32_e32 v2, 0x7fffff, v0
	v_bfe_u32 v0, v0, 23, 8
	s_delay_alu instid0(VALU_DEP_2) | instskip(NEXT) | instid1(VALU_DEP_2)
	v_or_b32_e32 v15, 0x800000, v2
	v_cmp_gt_u32_e64 s13, 0x7a, v0
	v_sub_nc_u32_e32 v14, 0x79, v0
	v_cmp_eq_u32_e32 vcc_lo, 0, v0
	s_delay_alu instid0(VALU_DEP_2) | instskip(NEXT) | instid1(VALU_DEP_1)
	v_cndmask_b32_e64 v14, 0, v14, s13
	v_cndmask_b32_e64 v52, v14, 0x78, vcc_lo
	s_delay_alu instid0(VALU_DEP_1) | instskip(SKIP_1) | instid1(VALU_DEP_2)
	v_dual_cndmask_b32 v2, v15, v2, vcc_lo :: v_dual_add_nc_u32 v14, 20, v52
	v_add_nc_u32_e32 v16, 19, v52
	v_lshlrev_b64_e64 v[14:15], v14, -1
	s_delay_alu instid0(VALU_DEP_2) | instskip(NEXT) | instid1(VALU_DEP_2)
	v_lshlrev_b64_e64 v[16:17], v16, 1
	v_bfi_b32 v15, v15, 0, 0
	s_delay_alu instid0(VALU_DEP_3) | instskip(NEXT) | instid1(VALU_DEP_1)
	v_bfi_b32 v14, v14, 0, v2
	v_cmp_eq_u64_e64 s13, v[14:15], v[16:17]
	v_lshrrev_b64 v[14:15], v52, v[2:3]
	s_delay_alu instid0(VALU_DEP_1)
	v_mov_b64_e32 v[16:17], v[14:15]
	s_and_saveexec_b32 s77, s13
; %bb.3517:                             ;   in Loop: Header=BB6_2849 Depth=4
	v_bfe_u32 v2, v14, 20, 1
	s_delay_alu instid0(VALU_DEP_1) | instskip(NEXT) | instid1(VALU_DEP_1)
	v_add_nc_u64_e32 v[16:17], v[14:15], v[2:3]
	v_add_nc_u64_e32 v[16:17], -1, v[16:17]
; %bb.3518:                             ;   in Loop: Header=BB6_2849 Depth=4
	s_or_b32 exec_lo, exec_lo, s77
	v_add_nc_u32_e32 v0, 0xffffff81, v0
	v_lshrrev_b32_e32 v2, 23, v14
	s_mov_b32 s13, exec_lo
	s_delay_alu instid0(VALU_DEP_2) | instskip(NEXT) | instid1(VALU_DEP_1)
	v_cndmask_b32_e64 v0, v0, 0xffffff82, vcc_lo
	v_add3_u32 v17, v52, v0, v2
	v_and_b32_e32 v0, 0xfffff, v16
	s_delay_alu instid0(VALU_DEP_1) | instskip(NEXT) | instid1(VALU_DEP_1)
	v_dual_add_nc_u32 v16, 6, v17 :: v_dual_add_nc_u32 v2, v0, v14
                                        ; implicit-def: $vgpr14_vgpr15
                                        ; implicit-def: $vgpr0
	v_cmpx_ne_u32_e32 0, v16
	s_xor_b32 s13, exec_lo, s13
; %bb.3519:                             ;   in Loop: Header=BB6_2849 Depth=4
	s_delay_alu instid0(VALU_DEP_2) | instskip(SKIP_2) | instid1(VALU_DEP_2)
	v_cmp_lt_u64_e32 vcc_lo, 0xffffff, v[2:3]
	v_add_nc_u32_e32 v0, 7, v17
	v_cndmask_b32_e64 v14, 0, 1, vcc_lo
	v_cndmask_b32_e32 v0, v16, v0, vcc_lo
	s_delay_alu instid0(VALU_DEP_2)
	v_lshrrev_b64 v[14:15], v14, v[2:3]
; %bb.3520:                             ;   in Loop: Header=BB6_2849 Depth=4
	s_and_not1_saveexec_b32 s13, s13
; %bb.3521:                             ;   in Loop: Header=BB6_2849 Depth=4
	v_mov_b64_e32 v[14:15], v[2:3]
	v_bfe_u32 v0, v2, 23, 1
; %bb.3522:                             ;   in Loop: Header=BB6_2849 Depth=4
	s_or_b32 exec_lo, exec_lo, s13
	s_delay_alu instid0(VALU_DEP_2) | instskip(NEXT) | instid1(VALU_DEP_2)
	v_lshrrev_b64 v[14:15], 20, v[14:15]
	v_cmp_gt_i32_e32 vcc_lo, 16, v0
	v_cmp_ne_u32_e64 s13, 0, v0
                                        ; implicit-def: $vgpr56
	s_delay_alu instid0(VALU_DEP_3) | instskip(NEXT) | instid1(VALU_DEP_1)
	v_dual_cndmask_b32 v15, 0, v15 :: v_dual_cndmask_b32 v14, 7, v14
	v_cmp_ne_u64_e32 vcc_lo, 0, v[14:15]
	s_or_b32 s13, s13, vcc_lo
	s_delay_alu instid0(SALU_CYCLE_1) | instskip(NEXT) | instid1(SALU_CYCLE_1)
	s_and_saveexec_b32 s77, s13
	s_xor_b32 s13, exec_lo, s77
; %bb.3523:                             ;   in Loop: Header=BB6_2849 Depth=4
	v_min_i32_e32 v0, 15, v0
	s_delay_alu instid0(VALU_DEP_1) | instskip(NEXT) | instid1(VALU_DEP_1)
	v_lshl_or_b32 v0, v0, 3, v66
                                        ; implicit-def: $vgpr66
	v_and_or_b32 v56, v14, 7, v0
; %bb.3524:                             ;   in Loop: Header=BB6_2849 Depth=4
	s_and_not1_saveexec_b32 s13, s13
; %bb.3525:                             ;   in Loop: Header=BB6_2849 Depth=4
	v_mov_b32_e32 v56, v66
; %bb.3526:                             ;   in Loop: Header=BB6_2849 Depth=4
	s_or_b32 exec_lo, exec_lo, s13
.LBB6_3527:                             ;   in Loop: Header=BB6_2849 Depth=4
	s_delay_alu instid0(SALU_CYCLE_1)
	s_or_b32 exec_lo, exec_lo, s76
                                        ; implicit-def: $vgpr66
.LBB6_3528:                             ;   in Loop: Header=BB6_2849 Depth=4
	s_and_not1_saveexec_b32 s13, s75
; %bb.3529:                             ;   in Loop: Header=BB6_2849 Depth=4
	v_or_b32_e32 v56, 0x7e, v66
; %bb.3530:                             ;   in Loop: Header=BB6_2849 Depth=4
	s_or_b32 exec_lo, exec_lo, s13
                                        ; implicit-def: $vgpr14
.LBB6_3531:                             ;   in Loop: Header=BB6_2849 Depth=4
	s_and_not1_saveexec_b32 s13, s74
; %bb.3532:                             ;   in Loop: Header=BB6_2849 Depth=4
	v_or_b32_e32 v56, 0x7f, v14
; %bb.3533:                             ;   in Loop: Header=BB6_2849 Depth=4
	s_or_b32 exec_lo, exec_lo, s13
	v_and_b32_e32 v0, 0xff, v77
	v_dual_mov_b32 v14, 0 :: v_dual_mov_b32 v15, 0
	s_mov_b32 s13, exec_lo
	s_delay_alu instid0(VALU_DEP_2)
	v_cmpx_ne_u16_e32 0, v0
	s_cbranch_execz .LBB6_3541
; %bb.3534:                             ;   in Loop: Header=BB6_2849 Depth=4
	v_bfrev_b32_e32 v15, 1
	s_mov_b32 s74, exec_lo
	v_cmpx_ne_u16_e32 0x80, v0
	s_cbranch_execz .LBB6_3540
; %bb.3535:                             ;   in Loop: Header=BB6_2849 Depth=4
	v_and_b32_e32 v16, 0x7f, v77
	v_mov_b32_e32 v15, 0x7f800001
	s_mov_b32 s75, exec_lo
	s_delay_alu instid0(VALU_DEP_2)
	v_cmpx_ne_u32_e32 0x7f, v16
	s_cbranch_execz .LBB6_3539
; %bb.3536:                             ;   in Loop: Header=BB6_2849 Depth=4
	v_and_b32_e32 v2, 7, v0
	v_lshrrev_b32_e32 v0, 3, v16
	s_mov_b32 s76, exec_lo
	v_cmpx_gt_u32_e32 8, v16
; %bb.3537:                             ;   in Loop: Header=BB6_2849 Depth=4
	s_delay_alu instid0(VALU_DEP_3) | instskip(NEXT) | instid1(VALU_DEP_1)
	v_clz_i32_u32_e32 v0, v2
	v_min_u32_e32 v0, 32, v0
	s_delay_alu instid0(VALU_DEP_1) | instskip(SKIP_1) | instid1(VALU_DEP_2)
	v_subrev_nc_u32_e32 v15, 28, v0
	v_sub_nc_u32_e32 v0, 29, v0
	v_lshlrev_b64_e32 v[16:17], v15, v[2:3]
	s_delay_alu instid0(VALU_DEP_1)
	v_and_b32_e32 v2, 7, v16
; %bb.3538:                             ;   in Loop: Header=BB6_2849 Depth=4
	s_or_b32 exec_lo, exec_lo, s76
	s_delay_alu instid0(VALU_DEP_1) | instskip(SKIP_1) | instid1(VALU_DEP_2)
	v_dual_lshlrev_b32 v15, 24, v77 :: v_dual_lshlrev_b32 v2, 20, v2
	v_lshl_add_u32 v0, v0, 23, 0x3c000000
	v_and_b32_e32 v15, 0x80000000, v15
	s_delay_alu instid0(VALU_DEP_1)
	v_or3_b32 v15, v2, v15, v0
.LBB6_3539:                             ;   in Loop: Header=BB6_2849 Depth=4
	s_or_b32 exec_lo, exec_lo, s75
.LBB6_3540:                             ;   in Loop: Header=BB6_2849 Depth=4
	s_delay_alu instid0(SALU_CYCLE_1)
	s_or_b32 exec_lo, exec_lo, s74
.LBB6_3541:                             ;   in Loop: Header=BB6_2849 Depth=4
	s_delay_alu instid0(SALU_CYCLE_1) | instskip(SKIP_3) | instid1(VALU_DEP_1)
	s_or_b32 exec_lo, exec_lo, s13
	s_wait_loadcnt_dscnt 0xc0c
	v_and_b32_e32 v0, 0xff, v73
	s_mov_b32 s13, exec_lo
	v_cmpx_ne_u16_e32 0, v0
	s_cbranch_execz .LBB6_3549
; %bb.3542:                             ;   in Loop: Header=BB6_2849 Depth=4
	v_bfrev_b32_e32 v14, 1
	s_mov_b32 s74, exec_lo
	v_cmpx_ne_u16_e32 0x80, v0
	s_cbranch_execz .LBB6_3548
; %bb.3543:                             ;   in Loop: Header=BB6_2849 Depth=4
	v_and_b32_e32 v16, 0x7f, v73
	v_mov_b32_e32 v14, 0x7f800001
	s_mov_b32 s75, exec_lo
	s_delay_alu instid0(VALU_DEP_2)
	v_cmpx_ne_u32_e32 0x7f, v16
	s_cbranch_execz .LBB6_3547
; %bb.3544:                             ;   in Loop: Header=BB6_2849 Depth=4
	v_and_b32_e32 v2, 7, v0
	v_lshrrev_b32_e32 v0, 3, v16
	s_mov_b32 s76, exec_lo
	v_cmpx_gt_u32_e32 8, v16
; %bb.3545:                             ;   in Loop: Header=BB6_2849 Depth=4
	s_delay_alu instid0(VALU_DEP_3) | instskip(NEXT) | instid1(VALU_DEP_1)
	v_clz_i32_u32_e32 v0, v2
	v_min_u32_e32 v0, 32, v0
	s_delay_alu instid0(VALU_DEP_1) | instskip(SKIP_1) | instid1(VALU_DEP_2)
	v_subrev_nc_u32_e32 v14, 28, v0
	v_sub_nc_u32_e32 v0, 29, v0
	v_lshlrev_b64_e32 v[16:17], v14, v[2:3]
	s_delay_alu instid0(VALU_DEP_1)
	v_and_b32_e32 v2, 7, v16
; %bb.3546:                             ;   in Loop: Header=BB6_2849 Depth=4
	s_or_b32 exec_lo, exec_lo, s76
	s_delay_alu instid0(VALU_DEP_1) | instskip(SKIP_1) | instid1(VALU_DEP_2)
	v_dual_lshlrev_b32 v14, 24, v73 :: v_dual_lshlrev_b32 v2, 20, v2
	v_lshl_add_u32 v0, v0, 23, 0x3c000000
	v_and_b32_e32 v14, 0x80000000, v14
	s_delay_alu instid0(VALU_DEP_1)
	v_or3_b32 v14, v2, v14, v0
.LBB6_3547:                             ;   in Loop: Header=BB6_2849 Depth=4
	s_or_b32 exec_lo, exec_lo, s75
.LBB6_3548:                             ;   in Loop: Header=BB6_2849 Depth=4
	s_delay_alu instid0(SALU_CYCLE_1)
	s_or_b32 exec_lo, exec_lo, s74
.LBB6_3549:                             ;   in Loop: Header=BB6_2849 Depth=4
	s_delay_alu instid0(SALU_CYCLE_1) | instskip(NEXT) | instid1(VALU_DEP_1)
	s_or_b32 exec_lo, exec_lo, s13
	v_add_f32_e32 v0, v15, v14
                                        ; implicit-def: $vgpr46
	s_mov_b32 s13, exec_lo
	s_delay_alu instid0(VALU_DEP_1) | instskip(SKIP_1) | instid1(VALU_DEP_2)
	v_and_b32_e32 v2, 0x7f800000, v0
	v_lshrrev_b32_e32 v14, 24, v0
	v_cmpx_ne_u64_e32 0x7f800000, v[2:3]
	s_xor_b32 s74, exec_lo, s13
	s_cbranch_execz .LBB6_3567
; %bb.3550:                             ;   in Loop: Header=BB6_2849 Depth=4
	v_and_b32_e32 v2, 0x7fffffff, v0
	v_and_b32_e32 v66, 0x80, v14
                                        ; implicit-def: $vgpr46
	s_mov_b32 s13, exec_lo
	s_delay_alu instid0(VALU_DEP_2)
	v_cmpx_gt_u64_e32 0x43e00001, v[2:3]
	s_xor_b32 s75, exec_lo, s13
	s_cbranch_execz .LBB6_3564
; %bb.3551:                             ;   in Loop: Header=BB6_2849 Depth=4
	v_mov_b32_e32 v46, 0
	s_mov_b32 s76, exec_lo
	v_cmpx_ne_u32_e32 0, v0
	s_cbranch_execz .LBB6_3563
; %bb.3552:                             ;   in Loop: Header=BB6_2849 Depth=4
	v_and_b32_e32 v2, 0x7fffff, v0
	v_bfe_u32 v0, v0, 23, 8
	s_delay_alu instid0(VALU_DEP_2) | instskip(NEXT) | instid1(VALU_DEP_2)
	v_or_b32_e32 v15, 0x800000, v2
	v_cmp_gt_u32_e64 s13, 0x7a, v0
	v_sub_nc_u32_e32 v14, 0x79, v0
	v_cmp_eq_u32_e32 vcc_lo, 0, v0
	s_delay_alu instid0(VALU_DEP_2) | instskip(NEXT) | instid1(VALU_DEP_1)
	v_cndmask_b32_e64 v14, 0, v14, s13
	v_cndmask_b32_e64 v52, v14, 0x78, vcc_lo
	s_delay_alu instid0(VALU_DEP_1) | instskip(SKIP_1) | instid1(VALU_DEP_2)
	v_dual_cndmask_b32 v2, v15, v2, vcc_lo :: v_dual_add_nc_u32 v14, 20, v52
	v_add_nc_u32_e32 v16, 19, v52
	v_lshlrev_b64_e64 v[14:15], v14, -1
	s_delay_alu instid0(VALU_DEP_2) | instskip(NEXT) | instid1(VALU_DEP_2)
	v_lshlrev_b64_e64 v[16:17], v16, 1
	v_bfi_b32 v15, v15, 0, 0
	s_delay_alu instid0(VALU_DEP_3) | instskip(NEXT) | instid1(VALU_DEP_1)
	v_bfi_b32 v14, v14, 0, v2
	v_cmp_eq_u64_e64 s13, v[14:15], v[16:17]
	v_lshrrev_b64 v[14:15], v52, v[2:3]
	s_delay_alu instid0(VALU_DEP_1)
	v_mov_b64_e32 v[16:17], v[14:15]
	s_and_saveexec_b32 s77, s13
; %bb.3553:                             ;   in Loop: Header=BB6_2849 Depth=4
	v_bfe_u32 v2, v14, 20, 1
	s_delay_alu instid0(VALU_DEP_1) | instskip(NEXT) | instid1(VALU_DEP_1)
	v_add_nc_u64_e32 v[16:17], v[14:15], v[2:3]
	v_add_nc_u64_e32 v[16:17], -1, v[16:17]
; %bb.3554:                             ;   in Loop: Header=BB6_2849 Depth=4
	s_or_b32 exec_lo, exec_lo, s77
	v_add_nc_u32_e32 v0, 0xffffff81, v0
	v_lshrrev_b32_e32 v2, 23, v14
	s_mov_b32 s13, exec_lo
	s_delay_alu instid0(VALU_DEP_2) | instskip(NEXT) | instid1(VALU_DEP_1)
	v_cndmask_b32_e64 v0, v0, 0xffffff82, vcc_lo
	v_add3_u32 v17, v52, v0, v2
	v_and_b32_e32 v0, 0xfffff, v16
	s_delay_alu instid0(VALU_DEP_1) | instskip(NEXT) | instid1(VALU_DEP_1)
	v_dual_add_nc_u32 v16, 6, v17 :: v_dual_add_nc_u32 v2, v0, v14
                                        ; implicit-def: $vgpr14_vgpr15
                                        ; implicit-def: $vgpr0
	v_cmpx_ne_u32_e32 0, v16
	s_xor_b32 s13, exec_lo, s13
; %bb.3555:                             ;   in Loop: Header=BB6_2849 Depth=4
	s_delay_alu instid0(VALU_DEP_2) | instskip(SKIP_2) | instid1(VALU_DEP_2)
	v_cmp_lt_u64_e32 vcc_lo, 0xffffff, v[2:3]
	v_add_nc_u32_e32 v0, 7, v17
	v_cndmask_b32_e64 v14, 0, 1, vcc_lo
	v_cndmask_b32_e32 v0, v16, v0, vcc_lo
	s_delay_alu instid0(VALU_DEP_2)
	v_lshrrev_b64 v[14:15], v14, v[2:3]
; %bb.3556:                             ;   in Loop: Header=BB6_2849 Depth=4
	s_and_not1_saveexec_b32 s13, s13
; %bb.3557:                             ;   in Loop: Header=BB6_2849 Depth=4
	v_mov_b64_e32 v[14:15], v[2:3]
	v_bfe_u32 v0, v2, 23, 1
; %bb.3558:                             ;   in Loop: Header=BB6_2849 Depth=4
	s_or_b32 exec_lo, exec_lo, s13
	s_delay_alu instid0(VALU_DEP_2) | instskip(NEXT) | instid1(VALU_DEP_2)
	v_lshrrev_b64 v[14:15], 20, v[14:15]
	v_cmp_gt_i32_e32 vcc_lo, 16, v0
	v_cmp_ne_u32_e64 s13, 0, v0
                                        ; implicit-def: $vgpr46
	s_delay_alu instid0(VALU_DEP_3) | instskip(NEXT) | instid1(VALU_DEP_1)
	v_dual_cndmask_b32 v15, 0, v15 :: v_dual_cndmask_b32 v14, 7, v14
	v_cmp_ne_u64_e32 vcc_lo, 0, v[14:15]
	s_or_b32 s13, s13, vcc_lo
	s_delay_alu instid0(SALU_CYCLE_1) | instskip(NEXT) | instid1(SALU_CYCLE_1)
	s_and_saveexec_b32 s77, s13
	s_xor_b32 s13, exec_lo, s77
; %bb.3559:                             ;   in Loop: Header=BB6_2849 Depth=4
	v_min_i32_e32 v0, 15, v0
	s_delay_alu instid0(VALU_DEP_1) | instskip(NEXT) | instid1(VALU_DEP_1)
	v_lshl_or_b32 v0, v0, 3, v66
                                        ; implicit-def: $vgpr66
	v_and_or_b32 v46, v14, 7, v0
; %bb.3560:                             ;   in Loop: Header=BB6_2849 Depth=4
	s_and_not1_saveexec_b32 s13, s13
; %bb.3561:                             ;   in Loop: Header=BB6_2849 Depth=4
	v_mov_b32_e32 v46, v66
; %bb.3562:                             ;   in Loop: Header=BB6_2849 Depth=4
	s_or_b32 exec_lo, exec_lo, s13
.LBB6_3563:                             ;   in Loop: Header=BB6_2849 Depth=4
	s_delay_alu instid0(SALU_CYCLE_1)
	s_or_b32 exec_lo, exec_lo, s76
                                        ; implicit-def: $vgpr66
.LBB6_3564:                             ;   in Loop: Header=BB6_2849 Depth=4
	s_and_not1_saveexec_b32 s13, s75
; %bb.3565:                             ;   in Loop: Header=BB6_2849 Depth=4
	v_or_b32_e32 v46, 0x7e, v66
; %bb.3566:                             ;   in Loop: Header=BB6_2849 Depth=4
	s_or_b32 exec_lo, exec_lo, s13
                                        ; implicit-def: $vgpr14
.LBB6_3567:                             ;   in Loop: Header=BB6_2849 Depth=4
	s_and_not1_saveexec_b32 s13, s74
; %bb.3568:                             ;   in Loop: Header=BB6_2849 Depth=4
	v_or_b32_e32 v46, 0x7f, v14
; %bb.3569:                             ;   in Loop: Header=BB6_2849 Depth=4
	s_or_b32 exec_lo, exec_lo, s13
	v_and_b32_e32 v0, 0xff, v63
	v_dual_mov_b32 v14, 0 :: v_dual_mov_b32 v15, 0
	s_mov_b32 s13, exec_lo
	s_delay_alu instid0(VALU_DEP_2)
	v_cmpx_ne_u16_e32 0, v0
	s_cbranch_execz .LBB6_3577
; %bb.3570:                             ;   in Loop: Header=BB6_2849 Depth=4
	v_bfrev_b32_e32 v15, 1
	s_mov_b32 s74, exec_lo
	v_cmpx_ne_u16_e32 0x80, v0
	s_cbranch_execz .LBB6_3576
; %bb.3571:                             ;   in Loop: Header=BB6_2849 Depth=4
	v_and_b32_e32 v16, 0x7f, v63
	v_mov_b32_e32 v15, 0x7f800001
	s_mov_b32 s75, exec_lo
	s_delay_alu instid0(VALU_DEP_2)
	v_cmpx_ne_u32_e32 0x7f, v16
	s_cbranch_execz .LBB6_3575
; %bb.3572:                             ;   in Loop: Header=BB6_2849 Depth=4
	v_and_b32_e32 v2, 7, v0
	v_lshrrev_b32_e32 v0, 3, v16
	s_mov_b32 s76, exec_lo
	v_cmpx_gt_u32_e32 8, v16
; %bb.3573:                             ;   in Loop: Header=BB6_2849 Depth=4
	s_delay_alu instid0(VALU_DEP_3) | instskip(NEXT) | instid1(VALU_DEP_1)
	v_clz_i32_u32_e32 v0, v2
	v_min_u32_e32 v0, 32, v0
	s_delay_alu instid0(VALU_DEP_1) | instskip(SKIP_1) | instid1(VALU_DEP_2)
	v_subrev_nc_u32_e32 v15, 28, v0
	v_sub_nc_u32_e32 v0, 29, v0
	v_lshlrev_b64_e32 v[16:17], v15, v[2:3]
	s_delay_alu instid0(VALU_DEP_1)
	v_and_b32_e32 v2, 7, v16
; %bb.3574:                             ;   in Loop: Header=BB6_2849 Depth=4
	s_or_b32 exec_lo, exec_lo, s76
	s_delay_alu instid0(VALU_DEP_1) | instskip(SKIP_1) | instid1(VALU_DEP_2)
	v_dual_lshlrev_b32 v15, 24, v63 :: v_dual_lshlrev_b32 v2, 20, v2
	v_lshl_add_u32 v0, v0, 23, 0x3c000000
	v_and_b32_e32 v15, 0x80000000, v15
	s_delay_alu instid0(VALU_DEP_1)
	v_or3_b32 v15, v2, v15, v0
.LBB6_3575:                             ;   in Loop: Header=BB6_2849 Depth=4
	s_or_b32 exec_lo, exec_lo, s75
.LBB6_3576:                             ;   in Loop: Header=BB6_2849 Depth=4
	s_delay_alu instid0(SALU_CYCLE_1)
	s_or_b32 exec_lo, exec_lo, s74
.LBB6_3577:                             ;   in Loop: Header=BB6_2849 Depth=4
	s_delay_alu instid0(SALU_CYCLE_1) | instskip(SKIP_3) | instid1(VALU_DEP_1)
	s_or_b32 exec_lo, exec_lo, s13
	s_wait_loadcnt_dscnt 0xb0b
	v_and_b32_e32 v0, 0xff, v62
	s_mov_b32 s13, exec_lo
	v_cmpx_ne_u16_e32 0, v0
	s_cbranch_execz .LBB6_3585
; %bb.3578:                             ;   in Loop: Header=BB6_2849 Depth=4
	v_bfrev_b32_e32 v14, 1
	s_mov_b32 s74, exec_lo
	v_cmpx_ne_u16_e32 0x80, v0
	s_cbranch_execz .LBB6_3584
; %bb.3579:                             ;   in Loop: Header=BB6_2849 Depth=4
	v_and_b32_e32 v16, 0x7f, v62
	v_mov_b32_e32 v14, 0x7f800001
	s_mov_b32 s75, exec_lo
	s_delay_alu instid0(VALU_DEP_2)
	v_cmpx_ne_u32_e32 0x7f, v16
	s_cbranch_execz .LBB6_3583
; %bb.3580:                             ;   in Loop: Header=BB6_2849 Depth=4
	v_and_b32_e32 v2, 7, v0
	v_lshrrev_b32_e32 v0, 3, v16
	s_mov_b32 s76, exec_lo
	v_cmpx_gt_u32_e32 8, v16
; %bb.3581:                             ;   in Loop: Header=BB6_2849 Depth=4
	s_delay_alu instid0(VALU_DEP_3) | instskip(NEXT) | instid1(VALU_DEP_1)
	v_clz_i32_u32_e32 v0, v2
	v_min_u32_e32 v0, 32, v0
	s_delay_alu instid0(VALU_DEP_1) | instskip(SKIP_1) | instid1(VALU_DEP_2)
	v_subrev_nc_u32_e32 v14, 28, v0
	v_sub_nc_u32_e32 v0, 29, v0
	v_lshlrev_b64_e32 v[16:17], v14, v[2:3]
	s_delay_alu instid0(VALU_DEP_1)
	v_and_b32_e32 v2, 7, v16
; %bb.3582:                             ;   in Loop: Header=BB6_2849 Depth=4
	s_or_b32 exec_lo, exec_lo, s76
	v_lshlrev_b32_e32 v14, 24, v62
	s_delay_alu instid0(VALU_DEP_2) | instskip(SKIP_1) | instid1(VALU_DEP_3)
	v_lshlrev_b32_e32 v2, 20, v2
	v_lshl_add_u32 v0, v0, 23, 0x3c000000
	v_and_b32_e32 v14, 0x80000000, v14
	s_delay_alu instid0(VALU_DEP_1)
	v_or3_b32 v14, v2, v14, v0
.LBB6_3583:                             ;   in Loop: Header=BB6_2849 Depth=4
	s_or_b32 exec_lo, exec_lo, s75
.LBB6_3584:                             ;   in Loop: Header=BB6_2849 Depth=4
	s_delay_alu instid0(SALU_CYCLE_1)
	s_or_b32 exec_lo, exec_lo, s74
.LBB6_3585:                             ;   in Loop: Header=BB6_2849 Depth=4
	s_delay_alu instid0(SALU_CYCLE_1) | instskip(NEXT) | instid1(VALU_DEP_1)
	s_or_b32 exec_lo, exec_lo, s13
	v_add_f32_e32 v0, v15, v14
                                        ; implicit-def: $vgpr47
	s_mov_b32 s13, exec_lo
	s_delay_alu instid0(VALU_DEP_1) | instskip(SKIP_1) | instid1(VALU_DEP_2)
	v_and_b32_e32 v2, 0x7f800000, v0
	v_lshrrev_b32_e32 v14, 24, v0
	v_cmpx_ne_u64_e32 0x7f800000, v[2:3]
	s_xor_b32 s74, exec_lo, s13
	s_cbranch_execz .LBB6_3603
; %bb.3586:                             ;   in Loop: Header=BB6_2849 Depth=4
	v_and_b32_e32 v2, 0x7fffffff, v0
	v_and_b32_e32 v66, 0x80, v14
                                        ; implicit-def: $vgpr47
	s_mov_b32 s13, exec_lo
	s_delay_alu instid0(VALU_DEP_2)
	v_cmpx_gt_u64_e32 0x43e00001, v[2:3]
	s_xor_b32 s75, exec_lo, s13
	s_cbranch_execz .LBB6_3600
; %bb.3587:                             ;   in Loop: Header=BB6_2849 Depth=4
	v_mov_b32_e32 v47, 0
	s_mov_b32 s76, exec_lo
	v_cmpx_ne_u32_e32 0, v0
	s_cbranch_execz .LBB6_3599
; %bb.3588:                             ;   in Loop: Header=BB6_2849 Depth=4
	v_and_b32_e32 v2, 0x7fffff, v0
	v_bfe_u32 v0, v0, 23, 8
	s_delay_alu instid0(VALU_DEP_2) | instskip(NEXT) | instid1(VALU_DEP_2)
	v_or_b32_e32 v15, 0x800000, v2
	v_cmp_gt_u32_e64 s13, 0x7a, v0
	v_sub_nc_u32_e32 v14, 0x79, v0
	v_cmp_eq_u32_e32 vcc_lo, 0, v0
	s_delay_alu instid0(VALU_DEP_2) | instskip(NEXT) | instid1(VALU_DEP_1)
	v_cndmask_b32_e64 v14, 0, v14, s13
	v_cndmask_b32_e64 v52, v14, 0x78, vcc_lo
	s_delay_alu instid0(VALU_DEP_1) | instskip(SKIP_1) | instid1(VALU_DEP_2)
	v_dual_cndmask_b32 v2, v15, v2, vcc_lo :: v_dual_add_nc_u32 v14, 20, v52
	v_add_nc_u32_e32 v16, 19, v52
	v_lshlrev_b64_e64 v[14:15], v14, -1
	s_delay_alu instid0(VALU_DEP_2) | instskip(NEXT) | instid1(VALU_DEP_2)
	v_lshlrev_b64_e64 v[16:17], v16, 1
	v_bfi_b32 v15, v15, 0, 0
	s_delay_alu instid0(VALU_DEP_3) | instskip(NEXT) | instid1(VALU_DEP_1)
	v_bfi_b32 v14, v14, 0, v2
	v_cmp_eq_u64_e64 s13, v[14:15], v[16:17]
	v_lshrrev_b64 v[14:15], v52, v[2:3]
	s_delay_alu instid0(VALU_DEP_1)
	v_mov_b64_e32 v[16:17], v[14:15]
	s_and_saveexec_b32 s77, s13
; %bb.3589:                             ;   in Loop: Header=BB6_2849 Depth=4
	v_bfe_u32 v2, v14, 20, 1
	s_delay_alu instid0(VALU_DEP_1) | instskip(NEXT) | instid1(VALU_DEP_1)
	v_add_nc_u64_e32 v[16:17], v[14:15], v[2:3]
	v_add_nc_u64_e32 v[16:17], -1, v[16:17]
; %bb.3590:                             ;   in Loop: Header=BB6_2849 Depth=4
	s_or_b32 exec_lo, exec_lo, s77
	v_add_nc_u32_e32 v0, 0xffffff81, v0
	v_lshrrev_b32_e32 v2, 23, v14
	s_mov_b32 s13, exec_lo
	s_delay_alu instid0(VALU_DEP_2) | instskip(NEXT) | instid1(VALU_DEP_1)
	v_cndmask_b32_e64 v0, v0, 0xffffff82, vcc_lo
	v_add3_u32 v17, v52, v0, v2
	v_and_b32_e32 v0, 0xfffff, v16
	s_delay_alu instid0(VALU_DEP_1) | instskip(NEXT) | instid1(VALU_DEP_1)
	v_dual_add_nc_u32 v16, 6, v17 :: v_dual_add_nc_u32 v2, v0, v14
                                        ; implicit-def: $vgpr14_vgpr15
                                        ; implicit-def: $vgpr0
	v_cmpx_ne_u32_e32 0, v16
	s_xor_b32 s13, exec_lo, s13
; %bb.3591:                             ;   in Loop: Header=BB6_2849 Depth=4
	s_delay_alu instid0(VALU_DEP_2) | instskip(SKIP_2) | instid1(VALU_DEP_2)
	v_cmp_lt_u64_e32 vcc_lo, 0xffffff, v[2:3]
	v_add_nc_u32_e32 v0, 7, v17
	v_cndmask_b32_e64 v14, 0, 1, vcc_lo
	v_cndmask_b32_e32 v0, v16, v0, vcc_lo
	s_delay_alu instid0(VALU_DEP_2)
	v_lshrrev_b64 v[14:15], v14, v[2:3]
; %bb.3592:                             ;   in Loop: Header=BB6_2849 Depth=4
	s_and_not1_saveexec_b32 s13, s13
; %bb.3593:                             ;   in Loop: Header=BB6_2849 Depth=4
	v_mov_b64_e32 v[14:15], v[2:3]
	v_bfe_u32 v0, v2, 23, 1
; %bb.3594:                             ;   in Loop: Header=BB6_2849 Depth=4
	s_or_b32 exec_lo, exec_lo, s13
	s_delay_alu instid0(VALU_DEP_2) | instskip(NEXT) | instid1(VALU_DEP_2)
	v_lshrrev_b64 v[14:15], 20, v[14:15]
	v_cmp_gt_i32_e32 vcc_lo, 16, v0
	v_cmp_ne_u32_e64 s13, 0, v0
                                        ; implicit-def: $vgpr47
	s_delay_alu instid0(VALU_DEP_3) | instskip(NEXT) | instid1(VALU_DEP_1)
	v_dual_cndmask_b32 v15, 0, v15 :: v_dual_cndmask_b32 v14, 7, v14
	v_cmp_ne_u64_e32 vcc_lo, 0, v[14:15]
	s_or_b32 s13, s13, vcc_lo
	s_delay_alu instid0(SALU_CYCLE_1) | instskip(NEXT) | instid1(SALU_CYCLE_1)
	s_and_saveexec_b32 s77, s13
	s_xor_b32 s13, exec_lo, s77
; %bb.3595:                             ;   in Loop: Header=BB6_2849 Depth=4
	v_min_i32_e32 v0, 15, v0
	s_delay_alu instid0(VALU_DEP_1) | instskip(NEXT) | instid1(VALU_DEP_1)
	v_lshl_or_b32 v0, v0, 3, v66
                                        ; implicit-def: $vgpr66
	v_and_or_b32 v47, v14, 7, v0
; %bb.3596:                             ;   in Loop: Header=BB6_2849 Depth=4
	s_and_not1_saveexec_b32 s13, s13
; %bb.3597:                             ;   in Loop: Header=BB6_2849 Depth=4
	v_mov_b32_e32 v47, v66
; %bb.3598:                             ;   in Loop: Header=BB6_2849 Depth=4
	s_or_b32 exec_lo, exec_lo, s13
.LBB6_3599:                             ;   in Loop: Header=BB6_2849 Depth=4
	s_delay_alu instid0(SALU_CYCLE_1)
	s_or_b32 exec_lo, exec_lo, s76
                                        ; implicit-def: $vgpr66
.LBB6_3600:                             ;   in Loop: Header=BB6_2849 Depth=4
	s_and_not1_saveexec_b32 s13, s75
; %bb.3601:                             ;   in Loop: Header=BB6_2849 Depth=4
	v_or_b32_e32 v47, 0x7e, v66
; %bb.3602:                             ;   in Loop: Header=BB6_2849 Depth=4
	s_or_b32 exec_lo, exec_lo, s13
                                        ; implicit-def: $vgpr14
.LBB6_3603:                             ;   in Loop: Header=BB6_2849 Depth=4
	s_and_not1_saveexec_b32 s13, s74
; %bb.3604:                             ;   in Loop: Header=BB6_2849 Depth=4
	v_or_b32_e32 v47, 0x7f, v14
; %bb.3605:                             ;   in Loop: Header=BB6_2849 Depth=4
	s_or_b32 exec_lo, exec_lo, s13
	v_and_b32_e32 v0, 0xff, v58
	v_dual_mov_b32 v14, 0 :: v_dual_mov_b32 v15, 0
	s_mov_b32 s13, exec_lo
	s_delay_alu instid0(VALU_DEP_2)
	v_cmpx_ne_u16_e32 0, v0
	s_cbranch_execz .LBB6_3613
; %bb.3606:                             ;   in Loop: Header=BB6_2849 Depth=4
	v_bfrev_b32_e32 v15, 1
	s_mov_b32 s74, exec_lo
	v_cmpx_ne_u16_e32 0x80, v0
	s_cbranch_execz .LBB6_3612
; %bb.3607:                             ;   in Loop: Header=BB6_2849 Depth=4
	v_and_b32_e32 v16, 0x7f, v58
	v_mov_b32_e32 v15, 0x7f800001
	s_mov_b32 s75, exec_lo
	s_delay_alu instid0(VALU_DEP_2)
	v_cmpx_ne_u32_e32 0x7f, v16
	s_cbranch_execz .LBB6_3611
; %bb.3608:                             ;   in Loop: Header=BB6_2849 Depth=4
	v_and_b32_e32 v2, 7, v0
	v_lshrrev_b32_e32 v0, 3, v16
	s_mov_b32 s76, exec_lo
	v_cmpx_gt_u32_e32 8, v16
; %bb.3609:                             ;   in Loop: Header=BB6_2849 Depth=4
	s_delay_alu instid0(VALU_DEP_3) | instskip(NEXT) | instid1(VALU_DEP_1)
	v_clz_i32_u32_e32 v0, v2
	v_min_u32_e32 v0, 32, v0
	s_delay_alu instid0(VALU_DEP_1) | instskip(SKIP_1) | instid1(VALU_DEP_2)
	v_subrev_nc_u32_e32 v15, 28, v0
	v_sub_nc_u32_e32 v0, 29, v0
	v_lshlrev_b64_e32 v[16:17], v15, v[2:3]
	s_delay_alu instid0(VALU_DEP_1)
	v_and_b32_e32 v2, 7, v16
; %bb.3610:                             ;   in Loop: Header=BB6_2849 Depth=4
	s_or_b32 exec_lo, exec_lo, s76
	v_lshlrev_b32_e32 v15, 24, v58
	s_delay_alu instid0(VALU_DEP_2) | instskip(SKIP_1) | instid1(VALU_DEP_3)
	v_lshlrev_b32_e32 v2, 20, v2
	v_lshl_add_u32 v0, v0, 23, 0x3c000000
	v_and_b32_e32 v15, 0x80000000, v15
	s_delay_alu instid0(VALU_DEP_1)
	v_or3_b32 v15, v2, v15, v0
.LBB6_3611:                             ;   in Loop: Header=BB6_2849 Depth=4
	s_or_b32 exec_lo, exec_lo, s75
.LBB6_3612:                             ;   in Loop: Header=BB6_2849 Depth=4
	s_delay_alu instid0(SALU_CYCLE_1)
	s_or_b32 exec_lo, exec_lo, s74
.LBB6_3613:                             ;   in Loop: Header=BB6_2849 Depth=4
	s_delay_alu instid0(SALU_CYCLE_1) | instskip(SKIP_3) | instid1(VALU_DEP_1)
	s_or_b32 exec_lo, exec_lo, s13
	s_wait_loadcnt_dscnt 0xa0a
	v_and_b32_e32 v0, 0xff, v101
	s_mov_b32 s13, exec_lo
	v_cmpx_ne_u16_e32 0, v0
	s_cbranch_execz .LBB6_3621
; %bb.3614:                             ;   in Loop: Header=BB6_2849 Depth=4
	v_bfrev_b32_e32 v14, 1
	s_mov_b32 s74, exec_lo
	v_cmpx_ne_u16_e32 0x80, v0
	s_cbranch_execz .LBB6_3620
; %bb.3615:                             ;   in Loop: Header=BB6_2849 Depth=4
	v_and_b32_e32 v16, 0x7f, v101
	v_mov_b32_e32 v14, 0x7f800001
	s_mov_b32 s75, exec_lo
	s_delay_alu instid0(VALU_DEP_2)
	v_cmpx_ne_u32_e32 0x7f, v16
	s_cbranch_execz .LBB6_3619
; %bb.3616:                             ;   in Loop: Header=BB6_2849 Depth=4
	v_and_b32_e32 v2, 7, v0
	v_lshrrev_b32_e32 v0, 3, v16
	s_mov_b32 s76, exec_lo
	v_cmpx_gt_u32_e32 8, v16
; %bb.3617:                             ;   in Loop: Header=BB6_2849 Depth=4
	s_delay_alu instid0(VALU_DEP_3) | instskip(NEXT) | instid1(VALU_DEP_1)
	v_clz_i32_u32_e32 v0, v2
	v_min_u32_e32 v0, 32, v0
	s_delay_alu instid0(VALU_DEP_1) | instskip(SKIP_1) | instid1(VALU_DEP_2)
	v_subrev_nc_u32_e32 v14, 28, v0
	v_sub_nc_u32_e32 v0, 29, v0
	v_lshlrev_b64_e32 v[16:17], v14, v[2:3]
	s_delay_alu instid0(VALU_DEP_1)
	v_and_b32_e32 v2, 7, v16
; %bb.3618:                             ;   in Loop: Header=BB6_2849 Depth=4
	s_or_b32 exec_lo, exec_lo, s76
	s_delay_alu instid0(VALU_DEP_1) | instskip(SKIP_1) | instid1(VALU_DEP_2)
	v_dual_lshlrev_b32 v14, 24, v101 :: v_dual_lshlrev_b32 v2, 20, v2
	v_lshl_add_u32 v0, v0, 23, 0x3c000000
	v_and_b32_e32 v14, 0x80000000, v14
	s_delay_alu instid0(VALU_DEP_1)
	v_or3_b32 v14, v2, v14, v0
.LBB6_3619:                             ;   in Loop: Header=BB6_2849 Depth=4
	s_or_b32 exec_lo, exec_lo, s75
.LBB6_3620:                             ;   in Loop: Header=BB6_2849 Depth=4
	s_delay_alu instid0(SALU_CYCLE_1)
	s_or_b32 exec_lo, exec_lo, s74
.LBB6_3621:                             ;   in Loop: Header=BB6_2849 Depth=4
	s_delay_alu instid0(SALU_CYCLE_1) | instskip(NEXT) | instid1(VALU_DEP_1)
	s_or_b32 exec_lo, exec_lo, s13
	v_add_f32_e32 v0, v15, v14
                                        ; implicit-def: $vgpr101
	s_mov_b32 s13, exec_lo
	s_delay_alu instid0(VALU_DEP_1) | instskip(SKIP_1) | instid1(VALU_DEP_2)
	v_and_b32_e32 v2, 0x7f800000, v0
	v_lshrrev_b32_e32 v14, 24, v0
	v_cmpx_ne_u64_e32 0x7f800000, v[2:3]
	s_xor_b32 s74, exec_lo, s13
	s_cbranch_execz .LBB6_3639
; %bb.3622:                             ;   in Loop: Header=BB6_2849 Depth=4
	v_and_b32_e32 v2, 0x7fffffff, v0
	v_and_b32_e32 v66, 0x80, v14
                                        ; implicit-def: $vgpr101
	s_mov_b32 s13, exec_lo
	s_delay_alu instid0(VALU_DEP_2)
	v_cmpx_gt_u64_e32 0x43e00001, v[2:3]
	s_xor_b32 s75, exec_lo, s13
	s_cbranch_execz .LBB6_3636
; %bb.3623:                             ;   in Loop: Header=BB6_2849 Depth=4
	v_mov_b32_e32 v101, 0
	s_mov_b32 s76, exec_lo
	v_cmpx_ne_u32_e32 0, v0
	s_cbranch_execz .LBB6_3635
; %bb.3624:                             ;   in Loop: Header=BB6_2849 Depth=4
	v_and_b32_e32 v2, 0x7fffff, v0
	v_bfe_u32 v0, v0, 23, 8
	s_delay_alu instid0(VALU_DEP_2) | instskip(NEXT) | instid1(VALU_DEP_2)
	v_or_b32_e32 v15, 0x800000, v2
	v_cmp_gt_u32_e64 s13, 0x7a, v0
	v_sub_nc_u32_e32 v14, 0x79, v0
	v_cmp_eq_u32_e32 vcc_lo, 0, v0
	s_delay_alu instid0(VALU_DEP_2) | instskip(NEXT) | instid1(VALU_DEP_1)
	v_cndmask_b32_e64 v14, 0, v14, s13
	v_cndmask_b32_e64 v52, v14, 0x78, vcc_lo
	s_delay_alu instid0(VALU_DEP_1) | instskip(SKIP_1) | instid1(VALU_DEP_2)
	v_dual_cndmask_b32 v2, v15, v2, vcc_lo :: v_dual_add_nc_u32 v14, 20, v52
	v_add_nc_u32_e32 v16, 19, v52
	v_lshlrev_b64_e64 v[14:15], v14, -1
	s_delay_alu instid0(VALU_DEP_2) | instskip(NEXT) | instid1(VALU_DEP_2)
	v_lshlrev_b64_e64 v[16:17], v16, 1
	v_bfi_b32 v15, v15, 0, 0
	s_delay_alu instid0(VALU_DEP_3) | instskip(NEXT) | instid1(VALU_DEP_1)
	v_bfi_b32 v14, v14, 0, v2
	v_cmp_eq_u64_e64 s13, v[14:15], v[16:17]
	v_lshrrev_b64 v[14:15], v52, v[2:3]
	s_delay_alu instid0(VALU_DEP_1)
	v_mov_b64_e32 v[16:17], v[14:15]
	s_and_saveexec_b32 s77, s13
; %bb.3625:                             ;   in Loop: Header=BB6_2849 Depth=4
	v_bfe_u32 v2, v14, 20, 1
	s_delay_alu instid0(VALU_DEP_1) | instskip(NEXT) | instid1(VALU_DEP_1)
	v_add_nc_u64_e32 v[16:17], v[14:15], v[2:3]
	v_add_nc_u64_e32 v[16:17], -1, v[16:17]
; %bb.3626:                             ;   in Loop: Header=BB6_2849 Depth=4
	s_or_b32 exec_lo, exec_lo, s77
	v_add_nc_u32_e32 v0, 0xffffff81, v0
	v_lshrrev_b32_e32 v2, 23, v14
	s_mov_b32 s13, exec_lo
	s_delay_alu instid0(VALU_DEP_2) | instskip(NEXT) | instid1(VALU_DEP_1)
	v_cndmask_b32_e64 v0, v0, 0xffffff82, vcc_lo
	v_add3_u32 v17, v52, v0, v2
	v_and_b32_e32 v0, 0xfffff, v16
	s_delay_alu instid0(VALU_DEP_1) | instskip(NEXT) | instid1(VALU_DEP_1)
	v_dual_add_nc_u32 v16, 6, v17 :: v_dual_add_nc_u32 v2, v0, v14
                                        ; implicit-def: $vgpr14_vgpr15
                                        ; implicit-def: $vgpr0
	v_cmpx_ne_u32_e32 0, v16
	s_xor_b32 s13, exec_lo, s13
; %bb.3627:                             ;   in Loop: Header=BB6_2849 Depth=4
	s_delay_alu instid0(VALU_DEP_2) | instskip(SKIP_2) | instid1(VALU_DEP_2)
	v_cmp_lt_u64_e32 vcc_lo, 0xffffff, v[2:3]
	v_add_nc_u32_e32 v0, 7, v17
	v_cndmask_b32_e64 v14, 0, 1, vcc_lo
	v_cndmask_b32_e32 v0, v16, v0, vcc_lo
	s_delay_alu instid0(VALU_DEP_2)
	v_lshrrev_b64 v[14:15], v14, v[2:3]
; %bb.3628:                             ;   in Loop: Header=BB6_2849 Depth=4
	s_and_not1_saveexec_b32 s13, s13
; %bb.3629:                             ;   in Loop: Header=BB6_2849 Depth=4
	v_mov_b64_e32 v[14:15], v[2:3]
	v_bfe_u32 v0, v2, 23, 1
; %bb.3630:                             ;   in Loop: Header=BB6_2849 Depth=4
	s_or_b32 exec_lo, exec_lo, s13
	s_delay_alu instid0(VALU_DEP_2) | instskip(NEXT) | instid1(VALU_DEP_2)
	v_lshrrev_b64 v[14:15], 20, v[14:15]
	v_cmp_gt_i32_e32 vcc_lo, 16, v0
	v_cmp_ne_u32_e64 s13, 0, v0
                                        ; implicit-def: $vgpr101
	s_delay_alu instid0(VALU_DEP_3) | instskip(NEXT) | instid1(VALU_DEP_1)
	v_dual_cndmask_b32 v15, 0, v15 :: v_dual_cndmask_b32 v14, 7, v14
	v_cmp_ne_u64_e32 vcc_lo, 0, v[14:15]
	s_or_b32 s13, s13, vcc_lo
	s_delay_alu instid0(SALU_CYCLE_1) | instskip(NEXT) | instid1(SALU_CYCLE_1)
	s_and_saveexec_b32 s77, s13
	s_xor_b32 s13, exec_lo, s77
; %bb.3631:                             ;   in Loop: Header=BB6_2849 Depth=4
	v_min_i32_e32 v0, 15, v0
	s_delay_alu instid0(VALU_DEP_1) | instskip(NEXT) | instid1(VALU_DEP_1)
	v_lshl_or_b32 v0, v0, 3, v66
                                        ; implicit-def: $vgpr66
	v_and_or_b32 v101, v14, 7, v0
; %bb.3632:                             ;   in Loop: Header=BB6_2849 Depth=4
	s_and_not1_saveexec_b32 s13, s13
; %bb.3633:                             ;   in Loop: Header=BB6_2849 Depth=4
	v_mov_b32_e32 v101, v66
; %bb.3634:                             ;   in Loop: Header=BB6_2849 Depth=4
	s_or_b32 exec_lo, exec_lo, s13
.LBB6_3635:                             ;   in Loop: Header=BB6_2849 Depth=4
	s_delay_alu instid0(SALU_CYCLE_1)
	s_or_b32 exec_lo, exec_lo, s76
                                        ; implicit-def: $vgpr66
.LBB6_3636:                             ;   in Loop: Header=BB6_2849 Depth=4
	s_and_not1_saveexec_b32 s13, s75
; %bb.3637:                             ;   in Loop: Header=BB6_2849 Depth=4
	v_or_b32_e32 v101, 0x7e, v66
; %bb.3638:                             ;   in Loop: Header=BB6_2849 Depth=4
	s_or_b32 exec_lo, exec_lo, s13
                                        ; implicit-def: $vgpr14
.LBB6_3639:                             ;   in Loop: Header=BB6_2849 Depth=4
	s_and_not1_saveexec_b32 s13, s74
; %bb.3640:                             ;   in Loop: Header=BB6_2849 Depth=4
	v_or_b32_e32 v101, 0x7f, v14
; %bb.3641:                             ;   in Loop: Header=BB6_2849 Depth=4
	s_or_b32 exec_lo, exec_lo, s13
	v_and_b32_e32 v0, 0xff, v99
	v_dual_mov_b32 v14, 0 :: v_dual_mov_b32 v15, 0
	s_mov_b32 s13, exec_lo
	s_delay_alu instid0(VALU_DEP_2)
	v_cmpx_ne_u16_e32 0, v0
	s_cbranch_execz .LBB6_3649
; %bb.3642:                             ;   in Loop: Header=BB6_2849 Depth=4
	v_bfrev_b32_e32 v15, 1
	s_mov_b32 s74, exec_lo
	v_cmpx_ne_u16_e32 0x80, v0
	s_cbranch_execz .LBB6_3648
; %bb.3643:                             ;   in Loop: Header=BB6_2849 Depth=4
	v_and_b32_e32 v16, 0x7f, v99
	v_mov_b32_e32 v15, 0x7f800001
	s_mov_b32 s75, exec_lo
	s_delay_alu instid0(VALU_DEP_2)
	v_cmpx_ne_u32_e32 0x7f, v16
	s_cbranch_execz .LBB6_3647
; %bb.3644:                             ;   in Loop: Header=BB6_2849 Depth=4
	v_and_b32_e32 v2, 7, v0
	v_lshrrev_b32_e32 v0, 3, v16
	s_mov_b32 s76, exec_lo
	v_cmpx_gt_u32_e32 8, v16
; %bb.3645:                             ;   in Loop: Header=BB6_2849 Depth=4
	s_delay_alu instid0(VALU_DEP_3) | instskip(NEXT) | instid1(VALU_DEP_1)
	v_clz_i32_u32_e32 v0, v2
	v_min_u32_e32 v0, 32, v0
	s_delay_alu instid0(VALU_DEP_1) | instskip(SKIP_1) | instid1(VALU_DEP_2)
	v_subrev_nc_u32_e32 v15, 28, v0
	v_sub_nc_u32_e32 v0, 29, v0
	v_lshlrev_b64_e32 v[16:17], v15, v[2:3]
	s_delay_alu instid0(VALU_DEP_1)
	v_and_b32_e32 v2, 7, v16
; %bb.3646:                             ;   in Loop: Header=BB6_2849 Depth=4
	s_or_b32 exec_lo, exec_lo, s76
	s_delay_alu instid0(VALU_DEP_1) | instskip(SKIP_1) | instid1(VALU_DEP_2)
	v_dual_lshlrev_b32 v15, 24, v99 :: v_dual_lshlrev_b32 v2, 20, v2
	v_lshl_add_u32 v0, v0, 23, 0x3c000000
	v_and_b32_e32 v15, 0x80000000, v15
	s_delay_alu instid0(VALU_DEP_1)
	v_or3_b32 v15, v2, v15, v0
.LBB6_3647:                             ;   in Loop: Header=BB6_2849 Depth=4
	s_or_b32 exec_lo, exec_lo, s75
.LBB6_3648:                             ;   in Loop: Header=BB6_2849 Depth=4
	s_delay_alu instid0(SALU_CYCLE_1)
	s_or_b32 exec_lo, exec_lo, s74
.LBB6_3649:                             ;   in Loop: Header=BB6_2849 Depth=4
	s_delay_alu instid0(SALU_CYCLE_1) | instskip(SKIP_3) | instid1(VALU_DEP_1)
	s_or_b32 exec_lo, exec_lo, s13
	s_wait_loadcnt_dscnt 0x909
	v_and_b32_e32 v0, 0xff, v98
	s_mov_b32 s13, exec_lo
	v_cmpx_ne_u16_e32 0, v0
	s_cbranch_execz .LBB6_3657
; %bb.3650:                             ;   in Loop: Header=BB6_2849 Depth=4
	v_bfrev_b32_e32 v14, 1
	s_mov_b32 s74, exec_lo
	v_cmpx_ne_u16_e32 0x80, v0
	s_cbranch_execz .LBB6_3656
; %bb.3651:                             ;   in Loop: Header=BB6_2849 Depth=4
	v_and_b32_e32 v16, 0x7f, v98
	v_mov_b32_e32 v14, 0x7f800001
	s_mov_b32 s75, exec_lo
	s_delay_alu instid0(VALU_DEP_2)
	v_cmpx_ne_u32_e32 0x7f, v16
	s_cbranch_execz .LBB6_3655
; %bb.3652:                             ;   in Loop: Header=BB6_2849 Depth=4
	v_and_b32_e32 v2, 7, v0
	v_lshrrev_b32_e32 v0, 3, v16
	s_mov_b32 s76, exec_lo
	v_cmpx_gt_u32_e32 8, v16
; %bb.3653:                             ;   in Loop: Header=BB6_2849 Depth=4
	s_delay_alu instid0(VALU_DEP_3) | instskip(NEXT) | instid1(VALU_DEP_1)
	v_clz_i32_u32_e32 v0, v2
	v_min_u32_e32 v0, 32, v0
	s_delay_alu instid0(VALU_DEP_1) | instskip(SKIP_1) | instid1(VALU_DEP_2)
	v_subrev_nc_u32_e32 v14, 28, v0
	v_sub_nc_u32_e32 v0, 29, v0
	v_lshlrev_b64_e32 v[16:17], v14, v[2:3]
	s_delay_alu instid0(VALU_DEP_1)
	v_and_b32_e32 v2, 7, v16
; %bb.3654:                             ;   in Loop: Header=BB6_2849 Depth=4
	s_or_b32 exec_lo, exec_lo, s76
	v_lshlrev_b32_e32 v14, 24, v98
	s_delay_alu instid0(VALU_DEP_2) | instskip(SKIP_1) | instid1(VALU_DEP_3)
	v_lshlrev_b32_e32 v2, 20, v2
	v_lshl_add_u32 v0, v0, 23, 0x3c000000
	v_and_b32_e32 v14, 0x80000000, v14
	s_delay_alu instid0(VALU_DEP_1)
	v_or3_b32 v14, v2, v14, v0
.LBB6_3655:                             ;   in Loop: Header=BB6_2849 Depth=4
	s_or_b32 exec_lo, exec_lo, s75
.LBB6_3656:                             ;   in Loop: Header=BB6_2849 Depth=4
	s_delay_alu instid0(SALU_CYCLE_1)
	s_or_b32 exec_lo, exec_lo, s74
.LBB6_3657:                             ;   in Loop: Header=BB6_2849 Depth=4
	s_delay_alu instid0(SALU_CYCLE_1) | instskip(NEXT) | instid1(VALU_DEP_1)
	s_or_b32 exec_lo, exec_lo, s13
	v_add_f32_e32 v0, v15, v14
                                        ; implicit-def: $vgpr98
	s_mov_b32 s13, exec_lo
	s_delay_alu instid0(VALU_DEP_1) | instskip(SKIP_1) | instid1(VALU_DEP_2)
	v_and_b32_e32 v2, 0x7f800000, v0
	v_lshrrev_b32_e32 v14, 24, v0
	v_cmpx_ne_u64_e32 0x7f800000, v[2:3]
	s_xor_b32 s74, exec_lo, s13
	s_cbranch_execz .LBB6_3675
; %bb.3658:                             ;   in Loop: Header=BB6_2849 Depth=4
	v_and_b32_e32 v2, 0x7fffffff, v0
	v_and_b32_e32 v66, 0x80, v14
                                        ; implicit-def: $vgpr98
	s_mov_b32 s13, exec_lo
	s_delay_alu instid0(VALU_DEP_2)
	v_cmpx_gt_u64_e32 0x43e00001, v[2:3]
	s_xor_b32 s75, exec_lo, s13
	s_cbranch_execz .LBB6_3672
; %bb.3659:                             ;   in Loop: Header=BB6_2849 Depth=4
	v_mov_b32_e32 v98, 0
	s_mov_b32 s76, exec_lo
	v_cmpx_ne_u32_e32 0, v0
	s_cbranch_execz .LBB6_3671
; %bb.3660:                             ;   in Loop: Header=BB6_2849 Depth=4
	v_and_b32_e32 v2, 0x7fffff, v0
	v_bfe_u32 v0, v0, 23, 8
	s_delay_alu instid0(VALU_DEP_2) | instskip(NEXT) | instid1(VALU_DEP_2)
	v_or_b32_e32 v15, 0x800000, v2
	v_cmp_gt_u32_e64 s13, 0x7a, v0
	v_sub_nc_u32_e32 v14, 0x79, v0
	v_cmp_eq_u32_e32 vcc_lo, 0, v0
	s_delay_alu instid0(VALU_DEP_2) | instskip(NEXT) | instid1(VALU_DEP_1)
	v_cndmask_b32_e64 v14, 0, v14, s13
	v_cndmask_b32_e64 v52, v14, 0x78, vcc_lo
	s_delay_alu instid0(VALU_DEP_1) | instskip(SKIP_1) | instid1(VALU_DEP_2)
	v_dual_cndmask_b32 v2, v15, v2, vcc_lo :: v_dual_add_nc_u32 v14, 20, v52
	v_add_nc_u32_e32 v16, 19, v52
	v_lshlrev_b64_e64 v[14:15], v14, -1
	s_delay_alu instid0(VALU_DEP_2) | instskip(NEXT) | instid1(VALU_DEP_2)
	v_lshlrev_b64_e64 v[16:17], v16, 1
	v_bfi_b32 v15, v15, 0, 0
	s_delay_alu instid0(VALU_DEP_3) | instskip(NEXT) | instid1(VALU_DEP_1)
	v_bfi_b32 v14, v14, 0, v2
	v_cmp_eq_u64_e64 s13, v[14:15], v[16:17]
	v_lshrrev_b64 v[14:15], v52, v[2:3]
	s_delay_alu instid0(VALU_DEP_1)
	v_mov_b64_e32 v[16:17], v[14:15]
	s_and_saveexec_b32 s77, s13
; %bb.3661:                             ;   in Loop: Header=BB6_2849 Depth=4
	v_bfe_u32 v2, v14, 20, 1
	s_delay_alu instid0(VALU_DEP_1) | instskip(NEXT) | instid1(VALU_DEP_1)
	v_add_nc_u64_e32 v[16:17], v[14:15], v[2:3]
	v_add_nc_u64_e32 v[16:17], -1, v[16:17]
; %bb.3662:                             ;   in Loop: Header=BB6_2849 Depth=4
	s_or_b32 exec_lo, exec_lo, s77
	v_add_nc_u32_e32 v0, 0xffffff81, v0
	v_lshrrev_b32_e32 v2, 23, v14
	s_mov_b32 s13, exec_lo
	s_delay_alu instid0(VALU_DEP_2) | instskip(NEXT) | instid1(VALU_DEP_1)
	v_cndmask_b32_e64 v0, v0, 0xffffff82, vcc_lo
	v_add3_u32 v17, v52, v0, v2
	v_and_b32_e32 v0, 0xfffff, v16
	s_delay_alu instid0(VALU_DEP_1) | instskip(NEXT) | instid1(VALU_DEP_1)
	v_dual_add_nc_u32 v16, 6, v17 :: v_dual_add_nc_u32 v2, v0, v14
                                        ; implicit-def: $vgpr14_vgpr15
                                        ; implicit-def: $vgpr0
	v_cmpx_ne_u32_e32 0, v16
	s_xor_b32 s13, exec_lo, s13
; %bb.3663:                             ;   in Loop: Header=BB6_2849 Depth=4
	s_delay_alu instid0(VALU_DEP_2) | instskip(SKIP_2) | instid1(VALU_DEP_2)
	v_cmp_lt_u64_e32 vcc_lo, 0xffffff, v[2:3]
	v_add_nc_u32_e32 v0, 7, v17
	v_cndmask_b32_e64 v14, 0, 1, vcc_lo
	v_cndmask_b32_e32 v0, v16, v0, vcc_lo
	s_delay_alu instid0(VALU_DEP_2)
	v_lshrrev_b64 v[14:15], v14, v[2:3]
; %bb.3664:                             ;   in Loop: Header=BB6_2849 Depth=4
	s_and_not1_saveexec_b32 s13, s13
; %bb.3665:                             ;   in Loop: Header=BB6_2849 Depth=4
	v_mov_b64_e32 v[14:15], v[2:3]
	v_bfe_u32 v0, v2, 23, 1
; %bb.3666:                             ;   in Loop: Header=BB6_2849 Depth=4
	s_or_b32 exec_lo, exec_lo, s13
	s_delay_alu instid0(VALU_DEP_2) | instskip(NEXT) | instid1(VALU_DEP_2)
	v_lshrrev_b64 v[14:15], 20, v[14:15]
	v_cmp_gt_i32_e32 vcc_lo, 16, v0
	v_cmp_ne_u32_e64 s13, 0, v0
                                        ; implicit-def: $vgpr98
	s_delay_alu instid0(VALU_DEP_3) | instskip(NEXT) | instid1(VALU_DEP_1)
	v_dual_cndmask_b32 v15, 0, v15 :: v_dual_cndmask_b32 v14, 7, v14
	v_cmp_ne_u64_e32 vcc_lo, 0, v[14:15]
	s_or_b32 s13, s13, vcc_lo
	s_delay_alu instid0(SALU_CYCLE_1) | instskip(NEXT) | instid1(SALU_CYCLE_1)
	s_and_saveexec_b32 s77, s13
	s_xor_b32 s13, exec_lo, s77
; %bb.3667:                             ;   in Loop: Header=BB6_2849 Depth=4
	v_min_i32_e32 v0, 15, v0
	s_delay_alu instid0(VALU_DEP_1) | instskip(NEXT) | instid1(VALU_DEP_1)
	v_lshl_or_b32 v0, v0, 3, v66
                                        ; implicit-def: $vgpr66
	v_and_or_b32 v98, v14, 7, v0
; %bb.3668:                             ;   in Loop: Header=BB6_2849 Depth=4
	s_and_not1_saveexec_b32 s13, s13
; %bb.3669:                             ;   in Loop: Header=BB6_2849 Depth=4
	v_mov_b32_e32 v98, v66
; %bb.3670:                             ;   in Loop: Header=BB6_2849 Depth=4
	s_or_b32 exec_lo, exec_lo, s13
.LBB6_3671:                             ;   in Loop: Header=BB6_2849 Depth=4
	s_delay_alu instid0(SALU_CYCLE_1)
	s_or_b32 exec_lo, exec_lo, s76
                                        ; implicit-def: $vgpr66
.LBB6_3672:                             ;   in Loop: Header=BB6_2849 Depth=4
	s_and_not1_saveexec_b32 s13, s75
; %bb.3673:                             ;   in Loop: Header=BB6_2849 Depth=4
	v_or_b32_e32 v98, 0x7e, v66
; %bb.3674:                             ;   in Loop: Header=BB6_2849 Depth=4
	s_or_b32 exec_lo, exec_lo, s13
                                        ; implicit-def: $vgpr14
.LBB6_3675:                             ;   in Loop: Header=BB6_2849 Depth=4
	s_and_not1_saveexec_b32 s13, s74
; %bb.3676:                             ;   in Loop: Header=BB6_2849 Depth=4
	v_or_b32_e32 v98, 0x7f, v14
; %bb.3677:                             ;   in Loop: Header=BB6_2849 Depth=4
	s_or_b32 exec_lo, exec_lo, s13
	v_and_b32_e32 v0, 0xff, v96
	v_dual_mov_b32 v14, 0 :: v_dual_mov_b32 v15, 0
	s_mov_b32 s13, exec_lo
	s_delay_alu instid0(VALU_DEP_2)
	v_cmpx_ne_u16_e32 0, v0
	s_cbranch_execz .LBB6_3685
; %bb.3678:                             ;   in Loop: Header=BB6_2849 Depth=4
	v_bfrev_b32_e32 v15, 1
	s_mov_b32 s74, exec_lo
	v_cmpx_ne_u16_e32 0x80, v0
	s_cbranch_execz .LBB6_3684
; %bb.3679:                             ;   in Loop: Header=BB6_2849 Depth=4
	v_and_b32_e32 v16, 0x7f, v96
	v_mov_b32_e32 v15, 0x7f800001
	s_mov_b32 s75, exec_lo
	s_delay_alu instid0(VALU_DEP_2)
	v_cmpx_ne_u32_e32 0x7f, v16
	s_cbranch_execz .LBB6_3683
; %bb.3680:                             ;   in Loop: Header=BB6_2849 Depth=4
	v_and_b32_e32 v2, 7, v0
	v_lshrrev_b32_e32 v0, 3, v16
	s_mov_b32 s76, exec_lo
	v_cmpx_gt_u32_e32 8, v16
; %bb.3681:                             ;   in Loop: Header=BB6_2849 Depth=4
	s_delay_alu instid0(VALU_DEP_3) | instskip(NEXT) | instid1(VALU_DEP_1)
	v_clz_i32_u32_e32 v0, v2
	v_min_u32_e32 v0, 32, v0
	s_delay_alu instid0(VALU_DEP_1) | instskip(SKIP_1) | instid1(VALU_DEP_2)
	v_subrev_nc_u32_e32 v15, 28, v0
	v_sub_nc_u32_e32 v0, 29, v0
	v_lshlrev_b64_e32 v[16:17], v15, v[2:3]
	s_delay_alu instid0(VALU_DEP_1)
	v_and_b32_e32 v2, 7, v16
; %bb.3682:                             ;   in Loop: Header=BB6_2849 Depth=4
	s_or_b32 exec_lo, exec_lo, s76
	s_delay_alu instid0(VALU_DEP_1) | instskip(SKIP_1) | instid1(VALU_DEP_2)
	v_dual_lshlrev_b32 v15, 24, v96 :: v_dual_lshlrev_b32 v2, 20, v2
	v_lshl_add_u32 v0, v0, 23, 0x3c000000
	v_and_b32_e32 v15, 0x80000000, v15
	s_delay_alu instid0(VALU_DEP_1)
	v_or3_b32 v15, v2, v15, v0
.LBB6_3683:                             ;   in Loop: Header=BB6_2849 Depth=4
	s_or_b32 exec_lo, exec_lo, s75
.LBB6_3684:                             ;   in Loop: Header=BB6_2849 Depth=4
	s_delay_alu instid0(SALU_CYCLE_1)
	s_or_b32 exec_lo, exec_lo, s74
.LBB6_3685:                             ;   in Loop: Header=BB6_2849 Depth=4
	s_delay_alu instid0(SALU_CYCLE_1) | instskip(SKIP_3) | instid1(VALU_DEP_1)
	s_or_b32 exec_lo, exec_lo, s13
	s_wait_loadcnt_dscnt 0x808
	v_and_b32_e32 v0, 0xff, v55
	s_mov_b32 s13, exec_lo
	v_cmpx_ne_u16_e32 0, v0
	s_cbranch_execz .LBB6_3693
; %bb.3686:                             ;   in Loop: Header=BB6_2849 Depth=4
	v_bfrev_b32_e32 v14, 1
	s_mov_b32 s74, exec_lo
	v_cmpx_ne_u16_e32 0x80, v0
	s_cbranch_execz .LBB6_3692
; %bb.3687:                             ;   in Loop: Header=BB6_2849 Depth=4
	v_and_b32_e32 v16, 0x7f, v55
	v_mov_b32_e32 v14, 0x7f800001
	s_mov_b32 s75, exec_lo
	s_delay_alu instid0(VALU_DEP_2)
	v_cmpx_ne_u32_e32 0x7f, v16
	s_cbranch_execz .LBB6_3691
; %bb.3688:                             ;   in Loop: Header=BB6_2849 Depth=4
	v_and_b32_e32 v2, 7, v0
	v_lshrrev_b32_e32 v0, 3, v16
	s_mov_b32 s76, exec_lo
	v_cmpx_gt_u32_e32 8, v16
; %bb.3689:                             ;   in Loop: Header=BB6_2849 Depth=4
	s_delay_alu instid0(VALU_DEP_3) | instskip(NEXT) | instid1(VALU_DEP_1)
	v_clz_i32_u32_e32 v0, v2
	v_min_u32_e32 v0, 32, v0
	s_delay_alu instid0(VALU_DEP_1) | instskip(SKIP_1) | instid1(VALU_DEP_2)
	v_subrev_nc_u32_e32 v14, 28, v0
	v_sub_nc_u32_e32 v0, 29, v0
	v_lshlrev_b64_e32 v[16:17], v14, v[2:3]
	s_delay_alu instid0(VALU_DEP_1)
	v_and_b32_e32 v2, 7, v16
; %bb.3690:                             ;   in Loop: Header=BB6_2849 Depth=4
	s_or_b32 exec_lo, exec_lo, s76
	s_delay_alu instid0(VALU_DEP_1) | instskip(SKIP_1) | instid1(VALU_DEP_2)
	v_dual_lshlrev_b32 v14, 24, v55 :: v_dual_lshlrev_b32 v2, 20, v2
	v_lshl_add_u32 v0, v0, 23, 0x3c000000
	v_and_b32_e32 v14, 0x80000000, v14
	s_delay_alu instid0(VALU_DEP_1)
	v_or3_b32 v14, v2, v14, v0
.LBB6_3691:                             ;   in Loop: Header=BB6_2849 Depth=4
	s_or_b32 exec_lo, exec_lo, s75
.LBB6_3692:                             ;   in Loop: Header=BB6_2849 Depth=4
	s_delay_alu instid0(SALU_CYCLE_1)
	s_or_b32 exec_lo, exec_lo, s74
.LBB6_3693:                             ;   in Loop: Header=BB6_2849 Depth=4
	s_delay_alu instid0(SALU_CYCLE_1) | instskip(NEXT) | instid1(VALU_DEP_1)
	s_or_b32 exec_lo, exec_lo, s13
	v_add_f32_e32 v0, v15, v14
                                        ; implicit-def: $vgpr55
	s_mov_b32 s13, exec_lo
	s_delay_alu instid0(VALU_DEP_1) | instskip(SKIP_1) | instid1(VALU_DEP_2)
	v_and_b32_e32 v2, 0x7f800000, v0
	v_lshrrev_b32_e32 v14, 24, v0
	v_cmpx_ne_u64_e32 0x7f800000, v[2:3]
	s_xor_b32 s74, exec_lo, s13
	s_cbranch_execz .LBB6_3711
; %bb.3694:                             ;   in Loop: Header=BB6_2849 Depth=4
	v_and_b32_e32 v2, 0x7fffffff, v0
	v_and_b32_e32 v66, 0x80, v14
                                        ; implicit-def: $vgpr55
	s_mov_b32 s13, exec_lo
	s_delay_alu instid0(VALU_DEP_2)
	v_cmpx_gt_u64_e32 0x43e00001, v[2:3]
	s_xor_b32 s75, exec_lo, s13
	s_cbranch_execz .LBB6_3708
; %bb.3695:                             ;   in Loop: Header=BB6_2849 Depth=4
	v_mov_b32_e32 v55, 0
	s_mov_b32 s76, exec_lo
	v_cmpx_ne_u32_e32 0, v0
	s_cbranch_execz .LBB6_3707
; %bb.3696:                             ;   in Loop: Header=BB6_2849 Depth=4
	v_and_b32_e32 v2, 0x7fffff, v0
	v_bfe_u32 v0, v0, 23, 8
	s_delay_alu instid0(VALU_DEP_2) | instskip(NEXT) | instid1(VALU_DEP_2)
	v_or_b32_e32 v15, 0x800000, v2
	v_cmp_gt_u32_e64 s13, 0x7a, v0
	v_sub_nc_u32_e32 v14, 0x79, v0
	v_cmp_eq_u32_e32 vcc_lo, 0, v0
	s_delay_alu instid0(VALU_DEP_2) | instskip(NEXT) | instid1(VALU_DEP_1)
	v_cndmask_b32_e64 v14, 0, v14, s13
	v_cndmask_b32_e64 v52, v14, 0x78, vcc_lo
	s_delay_alu instid0(VALU_DEP_1) | instskip(SKIP_1) | instid1(VALU_DEP_2)
	v_dual_cndmask_b32 v2, v15, v2, vcc_lo :: v_dual_add_nc_u32 v14, 20, v52
	v_add_nc_u32_e32 v16, 19, v52
	v_lshlrev_b64_e64 v[14:15], v14, -1
	s_delay_alu instid0(VALU_DEP_2) | instskip(NEXT) | instid1(VALU_DEP_2)
	v_lshlrev_b64_e64 v[16:17], v16, 1
	v_bfi_b32 v15, v15, 0, 0
	s_delay_alu instid0(VALU_DEP_3) | instskip(NEXT) | instid1(VALU_DEP_1)
	v_bfi_b32 v14, v14, 0, v2
	v_cmp_eq_u64_e64 s13, v[14:15], v[16:17]
	v_lshrrev_b64 v[14:15], v52, v[2:3]
	s_delay_alu instid0(VALU_DEP_1)
	v_mov_b64_e32 v[16:17], v[14:15]
	s_and_saveexec_b32 s77, s13
; %bb.3697:                             ;   in Loop: Header=BB6_2849 Depth=4
	v_bfe_u32 v2, v14, 20, 1
	s_delay_alu instid0(VALU_DEP_1) | instskip(NEXT) | instid1(VALU_DEP_1)
	v_add_nc_u64_e32 v[16:17], v[14:15], v[2:3]
	v_add_nc_u64_e32 v[16:17], -1, v[16:17]
; %bb.3698:                             ;   in Loop: Header=BB6_2849 Depth=4
	s_or_b32 exec_lo, exec_lo, s77
	v_add_nc_u32_e32 v0, 0xffffff81, v0
	v_lshrrev_b32_e32 v2, 23, v14
	s_mov_b32 s13, exec_lo
	s_delay_alu instid0(VALU_DEP_2) | instskip(NEXT) | instid1(VALU_DEP_1)
	v_cndmask_b32_e64 v0, v0, 0xffffff82, vcc_lo
	v_add3_u32 v17, v52, v0, v2
	v_and_b32_e32 v0, 0xfffff, v16
	s_delay_alu instid0(VALU_DEP_1) | instskip(NEXT) | instid1(VALU_DEP_1)
	v_dual_add_nc_u32 v16, 6, v17 :: v_dual_add_nc_u32 v2, v0, v14
                                        ; implicit-def: $vgpr14_vgpr15
                                        ; implicit-def: $vgpr0
	v_cmpx_ne_u32_e32 0, v16
	s_xor_b32 s13, exec_lo, s13
; %bb.3699:                             ;   in Loop: Header=BB6_2849 Depth=4
	s_delay_alu instid0(VALU_DEP_2) | instskip(SKIP_2) | instid1(VALU_DEP_2)
	v_cmp_lt_u64_e32 vcc_lo, 0xffffff, v[2:3]
	v_add_nc_u32_e32 v0, 7, v17
	v_cndmask_b32_e64 v14, 0, 1, vcc_lo
	v_cndmask_b32_e32 v0, v16, v0, vcc_lo
	s_delay_alu instid0(VALU_DEP_2)
	v_lshrrev_b64 v[14:15], v14, v[2:3]
; %bb.3700:                             ;   in Loop: Header=BB6_2849 Depth=4
	s_and_not1_saveexec_b32 s13, s13
; %bb.3701:                             ;   in Loop: Header=BB6_2849 Depth=4
	v_mov_b64_e32 v[14:15], v[2:3]
	v_bfe_u32 v0, v2, 23, 1
; %bb.3702:                             ;   in Loop: Header=BB6_2849 Depth=4
	s_or_b32 exec_lo, exec_lo, s13
	s_delay_alu instid0(VALU_DEP_2) | instskip(NEXT) | instid1(VALU_DEP_2)
	v_lshrrev_b64 v[14:15], 20, v[14:15]
	v_cmp_gt_i32_e32 vcc_lo, 16, v0
	v_cmp_ne_u32_e64 s13, 0, v0
                                        ; implicit-def: $vgpr55
	s_delay_alu instid0(VALU_DEP_3) | instskip(NEXT) | instid1(VALU_DEP_1)
	v_dual_cndmask_b32 v15, 0, v15 :: v_dual_cndmask_b32 v14, 7, v14
	v_cmp_ne_u64_e32 vcc_lo, 0, v[14:15]
	s_or_b32 s13, s13, vcc_lo
	s_delay_alu instid0(SALU_CYCLE_1) | instskip(NEXT) | instid1(SALU_CYCLE_1)
	s_and_saveexec_b32 s77, s13
	s_xor_b32 s13, exec_lo, s77
; %bb.3703:                             ;   in Loop: Header=BB6_2849 Depth=4
	v_min_i32_e32 v0, 15, v0
	s_delay_alu instid0(VALU_DEP_1) | instskip(NEXT) | instid1(VALU_DEP_1)
	v_lshl_or_b32 v0, v0, 3, v66
                                        ; implicit-def: $vgpr66
	v_and_or_b32 v55, v14, 7, v0
; %bb.3704:                             ;   in Loop: Header=BB6_2849 Depth=4
	s_and_not1_saveexec_b32 s13, s13
; %bb.3705:                             ;   in Loop: Header=BB6_2849 Depth=4
	v_mov_b32_e32 v55, v66
; %bb.3706:                             ;   in Loop: Header=BB6_2849 Depth=4
	s_or_b32 exec_lo, exec_lo, s13
.LBB6_3707:                             ;   in Loop: Header=BB6_2849 Depth=4
	s_delay_alu instid0(SALU_CYCLE_1)
	s_or_b32 exec_lo, exec_lo, s76
                                        ; implicit-def: $vgpr66
.LBB6_3708:                             ;   in Loop: Header=BB6_2849 Depth=4
	s_and_not1_saveexec_b32 s13, s75
; %bb.3709:                             ;   in Loop: Header=BB6_2849 Depth=4
	v_or_b32_e32 v55, 0x7e, v66
; %bb.3710:                             ;   in Loop: Header=BB6_2849 Depth=4
	s_or_b32 exec_lo, exec_lo, s13
                                        ; implicit-def: $vgpr14
.LBB6_3711:                             ;   in Loop: Header=BB6_2849 Depth=4
	s_and_not1_saveexec_b32 s13, s74
; %bb.3712:                             ;   in Loop: Header=BB6_2849 Depth=4
	v_or_b32_e32 v55, 0x7f, v14
; %bb.3713:                             ;   in Loop: Header=BB6_2849 Depth=4
	s_or_b32 exec_lo, exec_lo, s13
	v_and_b32_e32 v0, 0xff, v53
	v_dual_mov_b32 v14, 0 :: v_dual_mov_b32 v15, 0
	s_mov_b32 s13, exec_lo
	s_delay_alu instid0(VALU_DEP_2)
	v_cmpx_ne_u16_e32 0, v0
	s_cbranch_execz .LBB6_3721
; %bb.3714:                             ;   in Loop: Header=BB6_2849 Depth=4
	v_bfrev_b32_e32 v15, 1
	s_mov_b32 s74, exec_lo
	v_cmpx_ne_u16_e32 0x80, v0
	s_cbranch_execz .LBB6_3720
; %bb.3715:                             ;   in Loop: Header=BB6_2849 Depth=4
	v_and_b32_e32 v16, 0x7f, v53
	v_mov_b32_e32 v15, 0x7f800001
	s_mov_b32 s75, exec_lo
	s_delay_alu instid0(VALU_DEP_2)
	v_cmpx_ne_u32_e32 0x7f, v16
	s_cbranch_execz .LBB6_3719
; %bb.3716:                             ;   in Loop: Header=BB6_2849 Depth=4
	v_and_b32_e32 v2, 7, v0
	v_lshrrev_b32_e32 v0, 3, v16
	s_mov_b32 s76, exec_lo
	v_cmpx_gt_u32_e32 8, v16
; %bb.3717:                             ;   in Loop: Header=BB6_2849 Depth=4
	s_delay_alu instid0(VALU_DEP_3) | instskip(NEXT) | instid1(VALU_DEP_1)
	v_clz_i32_u32_e32 v0, v2
	v_min_u32_e32 v0, 32, v0
	s_delay_alu instid0(VALU_DEP_1) | instskip(SKIP_1) | instid1(VALU_DEP_2)
	v_subrev_nc_u32_e32 v15, 28, v0
	v_sub_nc_u32_e32 v0, 29, v0
	v_lshlrev_b64_e32 v[16:17], v15, v[2:3]
	s_delay_alu instid0(VALU_DEP_1)
	v_and_b32_e32 v2, 7, v16
; %bb.3718:                             ;   in Loop: Header=BB6_2849 Depth=4
	s_or_b32 exec_lo, exec_lo, s76
	s_delay_alu instid0(VALU_DEP_1) | instskip(SKIP_1) | instid1(VALU_DEP_2)
	v_dual_lshlrev_b32 v15, 24, v53 :: v_dual_lshlrev_b32 v2, 20, v2
	v_lshl_add_u32 v0, v0, 23, 0x3c000000
	v_and_b32_e32 v15, 0x80000000, v15
	s_delay_alu instid0(VALU_DEP_1)
	v_or3_b32 v15, v2, v15, v0
.LBB6_3719:                             ;   in Loop: Header=BB6_2849 Depth=4
	s_or_b32 exec_lo, exec_lo, s75
.LBB6_3720:                             ;   in Loop: Header=BB6_2849 Depth=4
	s_delay_alu instid0(SALU_CYCLE_1)
	s_or_b32 exec_lo, exec_lo, s74
.LBB6_3721:                             ;   in Loop: Header=BB6_2849 Depth=4
	s_delay_alu instid0(SALU_CYCLE_1) | instskip(SKIP_3) | instid1(VALU_DEP_1)
	s_or_b32 exec_lo, exec_lo, s13
	s_wait_loadcnt_dscnt 0x707
	v_and_b32_e32 v0, 0xff, v51
	s_mov_b32 s13, exec_lo
	v_cmpx_ne_u16_e32 0, v0
	s_cbranch_execz .LBB6_3729
; %bb.3722:                             ;   in Loop: Header=BB6_2849 Depth=4
	v_bfrev_b32_e32 v14, 1
	s_mov_b32 s74, exec_lo
	v_cmpx_ne_u16_e32 0x80, v0
	s_cbranch_execz .LBB6_3728
; %bb.3723:                             ;   in Loop: Header=BB6_2849 Depth=4
	v_and_b32_e32 v16, 0x7f, v51
	v_mov_b32_e32 v14, 0x7f800001
	s_mov_b32 s75, exec_lo
	s_delay_alu instid0(VALU_DEP_2)
	v_cmpx_ne_u32_e32 0x7f, v16
	s_cbranch_execz .LBB6_3727
; %bb.3724:                             ;   in Loop: Header=BB6_2849 Depth=4
	v_and_b32_e32 v2, 7, v0
	v_lshrrev_b32_e32 v0, 3, v16
	s_mov_b32 s76, exec_lo
	v_cmpx_gt_u32_e32 8, v16
; %bb.3725:                             ;   in Loop: Header=BB6_2849 Depth=4
	s_delay_alu instid0(VALU_DEP_3) | instskip(NEXT) | instid1(VALU_DEP_1)
	v_clz_i32_u32_e32 v0, v2
	v_min_u32_e32 v0, 32, v0
	s_delay_alu instid0(VALU_DEP_1) | instskip(SKIP_1) | instid1(VALU_DEP_2)
	v_subrev_nc_u32_e32 v14, 28, v0
	v_sub_nc_u32_e32 v0, 29, v0
	v_lshlrev_b64_e32 v[16:17], v14, v[2:3]
	s_delay_alu instid0(VALU_DEP_1)
	v_and_b32_e32 v2, 7, v16
; %bb.3726:                             ;   in Loop: Header=BB6_2849 Depth=4
	s_or_b32 exec_lo, exec_lo, s76
	s_delay_alu instid0(VALU_DEP_1) | instskip(SKIP_1) | instid1(VALU_DEP_2)
	v_dual_lshlrev_b32 v14, 24, v51 :: v_dual_lshlrev_b32 v2, 20, v2
	v_lshl_add_u32 v0, v0, 23, 0x3c000000
	v_and_b32_e32 v14, 0x80000000, v14
	s_delay_alu instid0(VALU_DEP_1)
	v_or3_b32 v14, v2, v14, v0
.LBB6_3727:                             ;   in Loop: Header=BB6_2849 Depth=4
	s_or_b32 exec_lo, exec_lo, s75
.LBB6_3728:                             ;   in Loop: Header=BB6_2849 Depth=4
	s_delay_alu instid0(SALU_CYCLE_1)
	s_or_b32 exec_lo, exec_lo, s74
.LBB6_3729:                             ;   in Loop: Header=BB6_2849 Depth=4
	s_delay_alu instid0(SALU_CYCLE_1) | instskip(NEXT) | instid1(VALU_DEP_1)
	s_or_b32 exec_lo, exec_lo, s13
	v_add_f32_e32 v0, v15, v14
                                        ; implicit-def: $vgpr51
	s_mov_b32 s13, exec_lo
	s_delay_alu instid0(VALU_DEP_1) | instskip(SKIP_1) | instid1(VALU_DEP_2)
	v_and_b32_e32 v2, 0x7f800000, v0
	v_lshrrev_b32_e32 v14, 24, v0
	v_cmpx_ne_u64_e32 0x7f800000, v[2:3]
	s_xor_b32 s74, exec_lo, s13
	s_cbranch_execz .LBB6_3747
; %bb.3730:                             ;   in Loop: Header=BB6_2849 Depth=4
	v_and_b32_e32 v2, 0x7fffffff, v0
	v_and_b32_e32 v53, 0x80, v14
                                        ; implicit-def: $vgpr51
	s_mov_b32 s13, exec_lo
	s_delay_alu instid0(VALU_DEP_2)
	v_cmpx_gt_u64_e32 0x43e00001, v[2:3]
	s_xor_b32 s75, exec_lo, s13
	s_cbranch_execz .LBB6_3744
; %bb.3731:                             ;   in Loop: Header=BB6_2849 Depth=4
	v_mov_b32_e32 v51, 0
	s_mov_b32 s76, exec_lo
	v_cmpx_ne_u32_e32 0, v0
	s_cbranch_execz .LBB6_3743
; %bb.3732:                             ;   in Loop: Header=BB6_2849 Depth=4
	v_and_b32_e32 v2, 0x7fffff, v0
	v_bfe_u32 v0, v0, 23, 8
	s_delay_alu instid0(VALU_DEP_2) | instskip(NEXT) | instid1(VALU_DEP_2)
	v_or_b32_e32 v15, 0x800000, v2
	v_cmp_gt_u32_e64 s13, 0x7a, v0
	v_sub_nc_u32_e32 v14, 0x79, v0
	v_cmp_eq_u32_e32 vcc_lo, 0, v0
	s_delay_alu instid0(VALU_DEP_2) | instskip(NEXT) | instid1(VALU_DEP_1)
	v_cndmask_b32_e64 v14, 0, v14, s13
	v_cndmask_b32_e64 v51, v14, 0x78, vcc_lo
	s_delay_alu instid0(VALU_DEP_1) | instskip(SKIP_1) | instid1(VALU_DEP_2)
	v_dual_cndmask_b32 v2, v15, v2, vcc_lo :: v_dual_add_nc_u32 v14, 20, v51
	v_add_nc_u32_e32 v16, 19, v51
	v_lshlrev_b64_e64 v[14:15], v14, -1
	s_delay_alu instid0(VALU_DEP_2) | instskip(NEXT) | instid1(VALU_DEP_2)
	v_lshlrev_b64_e64 v[16:17], v16, 1
	v_bfi_b32 v15, v15, 0, 0
	s_delay_alu instid0(VALU_DEP_3) | instskip(NEXT) | instid1(VALU_DEP_1)
	v_bfi_b32 v14, v14, 0, v2
	v_cmp_eq_u64_e64 s13, v[14:15], v[16:17]
	v_lshrrev_b64 v[14:15], v51, v[2:3]
	s_delay_alu instid0(VALU_DEP_1)
	v_mov_b64_e32 v[16:17], v[14:15]
	s_and_saveexec_b32 s77, s13
; %bb.3733:                             ;   in Loop: Header=BB6_2849 Depth=4
	v_bfe_u32 v2, v14, 20, 1
	s_delay_alu instid0(VALU_DEP_1) | instskip(NEXT) | instid1(VALU_DEP_1)
	v_add_nc_u64_e32 v[16:17], v[14:15], v[2:3]
	v_add_nc_u64_e32 v[16:17], -1, v[16:17]
; %bb.3734:                             ;   in Loop: Header=BB6_2849 Depth=4
	s_or_b32 exec_lo, exec_lo, s77
	v_add_nc_u32_e32 v0, 0xffffff81, v0
	v_lshrrev_b32_e32 v2, 23, v14
	s_mov_b32 s13, exec_lo
	s_delay_alu instid0(VALU_DEP_2) | instskip(NEXT) | instid1(VALU_DEP_1)
	v_cndmask_b32_e64 v0, v0, 0xffffff82, vcc_lo
	v_add3_u32 v17, v51, v0, v2
	v_and_b32_e32 v0, 0xfffff, v16
	s_delay_alu instid0(VALU_DEP_1) | instskip(NEXT) | instid1(VALU_DEP_1)
	v_dual_add_nc_u32 v16, 6, v17 :: v_dual_add_nc_u32 v2, v0, v14
                                        ; implicit-def: $vgpr14_vgpr15
                                        ; implicit-def: $vgpr0
	v_cmpx_ne_u32_e32 0, v16
	s_xor_b32 s13, exec_lo, s13
; %bb.3735:                             ;   in Loop: Header=BB6_2849 Depth=4
	s_delay_alu instid0(VALU_DEP_2) | instskip(SKIP_2) | instid1(VALU_DEP_2)
	v_cmp_lt_u64_e32 vcc_lo, 0xffffff, v[2:3]
	v_add_nc_u32_e32 v0, 7, v17
	v_cndmask_b32_e64 v14, 0, 1, vcc_lo
	v_cndmask_b32_e32 v0, v16, v0, vcc_lo
	s_delay_alu instid0(VALU_DEP_2)
	v_lshrrev_b64 v[14:15], v14, v[2:3]
; %bb.3736:                             ;   in Loop: Header=BB6_2849 Depth=4
	s_and_not1_saveexec_b32 s13, s13
; %bb.3737:                             ;   in Loop: Header=BB6_2849 Depth=4
	v_mov_b64_e32 v[14:15], v[2:3]
	v_bfe_u32 v0, v2, 23, 1
; %bb.3738:                             ;   in Loop: Header=BB6_2849 Depth=4
	s_or_b32 exec_lo, exec_lo, s13
	s_delay_alu instid0(VALU_DEP_2) | instskip(NEXT) | instid1(VALU_DEP_2)
	v_lshrrev_b64 v[14:15], 20, v[14:15]
	v_cmp_gt_i32_e32 vcc_lo, 16, v0
	v_cmp_ne_u32_e64 s13, 0, v0
                                        ; implicit-def: $vgpr51
	s_delay_alu instid0(VALU_DEP_3) | instskip(NEXT) | instid1(VALU_DEP_1)
	v_dual_cndmask_b32 v15, 0, v15 :: v_dual_cndmask_b32 v14, 7, v14
	v_cmp_ne_u64_e32 vcc_lo, 0, v[14:15]
	s_or_b32 s13, s13, vcc_lo
	s_delay_alu instid0(SALU_CYCLE_1) | instskip(NEXT) | instid1(SALU_CYCLE_1)
	s_and_saveexec_b32 s77, s13
	s_xor_b32 s13, exec_lo, s77
; %bb.3739:                             ;   in Loop: Header=BB6_2849 Depth=4
	v_min_i32_e32 v0, 15, v0
	s_delay_alu instid0(VALU_DEP_1) | instskip(NEXT) | instid1(VALU_DEP_1)
	v_lshl_or_b32 v0, v0, 3, v53
                                        ; implicit-def: $vgpr53
	v_and_or_b32 v51, v14, 7, v0
; %bb.3740:                             ;   in Loop: Header=BB6_2849 Depth=4
	s_and_not1_saveexec_b32 s13, s13
; %bb.3741:                             ;   in Loop: Header=BB6_2849 Depth=4
	v_mov_b32_e32 v51, v53
; %bb.3742:                             ;   in Loop: Header=BB6_2849 Depth=4
	s_or_b32 exec_lo, exec_lo, s13
.LBB6_3743:                             ;   in Loop: Header=BB6_2849 Depth=4
	s_delay_alu instid0(SALU_CYCLE_1)
	s_or_b32 exec_lo, exec_lo, s76
                                        ; implicit-def: $vgpr53
.LBB6_3744:                             ;   in Loop: Header=BB6_2849 Depth=4
	s_and_not1_saveexec_b32 s13, s75
; %bb.3745:                             ;   in Loop: Header=BB6_2849 Depth=4
	v_or_b32_e32 v51, 0x7e, v53
; %bb.3746:                             ;   in Loop: Header=BB6_2849 Depth=4
	s_or_b32 exec_lo, exec_lo, s13
                                        ; implicit-def: $vgpr14
.LBB6_3747:                             ;   in Loop: Header=BB6_2849 Depth=4
	s_and_not1_saveexec_b32 s13, s74
; %bb.3748:                             ;   in Loop: Header=BB6_2849 Depth=4
	v_or_b32_e32 v51, 0x7f, v14
; %bb.3749:                             ;   in Loop: Header=BB6_2849 Depth=4
	s_or_b32 exec_lo, exec_lo, s13
	v_and_b32_e32 v0, 0xff, v49
	v_dual_mov_b32 v14, 0 :: v_dual_mov_b32 v15, 0
	s_mov_b32 s13, exec_lo
	s_delay_alu instid0(VALU_DEP_2)
	v_cmpx_ne_u16_e32 0, v0
	s_cbranch_execz .LBB6_3757
; %bb.3750:                             ;   in Loop: Header=BB6_2849 Depth=4
	v_bfrev_b32_e32 v15, 1
	s_mov_b32 s74, exec_lo
	v_cmpx_ne_u16_e32 0x80, v0
	s_cbranch_execz .LBB6_3756
; %bb.3751:                             ;   in Loop: Header=BB6_2849 Depth=4
	v_and_b32_e32 v16, 0x7f, v49
	v_mov_b32_e32 v15, 0x7f800001
	s_mov_b32 s75, exec_lo
	s_delay_alu instid0(VALU_DEP_2)
	v_cmpx_ne_u32_e32 0x7f, v16
	s_cbranch_execz .LBB6_3755
; %bb.3752:                             ;   in Loop: Header=BB6_2849 Depth=4
	v_and_b32_e32 v2, 7, v0
	v_lshrrev_b32_e32 v0, 3, v16
	s_mov_b32 s76, exec_lo
	v_cmpx_gt_u32_e32 8, v16
; %bb.3753:                             ;   in Loop: Header=BB6_2849 Depth=4
	s_delay_alu instid0(VALU_DEP_3) | instskip(NEXT) | instid1(VALU_DEP_1)
	v_clz_i32_u32_e32 v0, v2
	v_min_u32_e32 v0, 32, v0
	s_delay_alu instid0(VALU_DEP_1) | instskip(SKIP_1) | instid1(VALU_DEP_2)
	v_subrev_nc_u32_e32 v15, 28, v0
	v_sub_nc_u32_e32 v0, 29, v0
	v_lshlrev_b64_e32 v[16:17], v15, v[2:3]
	s_delay_alu instid0(VALU_DEP_1)
	v_and_b32_e32 v2, 7, v16
; %bb.3754:                             ;   in Loop: Header=BB6_2849 Depth=4
	s_or_b32 exec_lo, exec_lo, s76
	s_delay_alu instid0(VALU_DEP_1) | instskip(SKIP_1) | instid1(VALU_DEP_2)
	v_dual_lshlrev_b32 v15, 24, v49 :: v_dual_lshlrev_b32 v2, 20, v2
	v_lshl_add_u32 v0, v0, 23, 0x3c000000
	v_and_b32_e32 v15, 0x80000000, v15
	s_delay_alu instid0(VALU_DEP_1)
	v_or3_b32 v15, v2, v15, v0
.LBB6_3755:                             ;   in Loop: Header=BB6_2849 Depth=4
	s_or_b32 exec_lo, exec_lo, s75
.LBB6_3756:                             ;   in Loop: Header=BB6_2849 Depth=4
	s_delay_alu instid0(SALU_CYCLE_1)
	s_or_b32 exec_lo, exec_lo, s74
.LBB6_3757:                             ;   in Loop: Header=BB6_2849 Depth=4
	s_delay_alu instid0(SALU_CYCLE_1) | instskip(SKIP_3) | instid1(VALU_DEP_1)
	s_or_b32 exec_lo, exec_lo, s13
	s_wait_loadcnt_dscnt 0x606
	v_and_b32_e32 v0, 0xff, v48
	s_mov_b32 s13, exec_lo
	v_cmpx_ne_u16_e32 0, v0
	s_cbranch_execz .LBB6_3765
; %bb.3758:                             ;   in Loop: Header=BB6_2849 Depth=4
	v_bfrev_b32_e32 v14, 1
	s_mov_b32 s74, exec_lo
	v_cmpx_ne_u16_e32 0x80, v0
	s_cbranch_execz .LBB6_3764
; %bb.3759:                             ;   in Loop: Header=BB6_2849 Depth=4
	v_and_b32_e32 v16, 0x7f, v48
	v_mov_b32_e32 v14, 0x7f800001
	s_mov_b32 s75, exec_lo
	s_delay_alu instid0(VALU_DEP_2)
	v_cmpx_ne_u32_e32 0x7f, v16
	s_cbranch_execz .LBB6_3763
; %bb.3760:                             ;   in Loop: Header=BB6_2849 Depth=4
	v_and_b32_e32 v2, 7, v0
	v_lshrrev_b32_e32 v0, 3, v16
	s_mov_b32 s76, exec_lo
	v_cmpx_gt_u32_e32 8, v16
; %bb.3761:                             ;   in Loop: Header=BB6_2849 Depth=4
	s_delay_alu instid0(VALU_DEP_3) | instskip(NEXT) | instid1(VALU_DEP_1)
	v_clz_i32_u32_e32 v0, v2
	v_min_u32_e32 v0, 32, v0
	s_delay_alu instid0(VALU_DEP_1) | instskip(SKIP_1) | instid1(VALU_DEP_2)
	v_subrev_nc_u32_e32 v14, 28, v0
	v_sub_nc_u32_e32 v0, 29, v0
	v_lshlrev_b64_e32 v[16:17], v14, v[2:3]
	s_delay_alu instid0(VALU_DEP_1)
	v_and_b32_e32 v2, 7, v16
; %bb.3762:                             ;   in Loop: Header=BB6_2849 Depth=4
	s_or_b32 exec_lo, exec_lo, s76
	s_delay_alu instid0(VALU_DEP_1) | instskip(SKIP_1) | instid1(VALU_DEP_2)
	v_dual_lshlrev_b32 v14, 24, v48 :: v_dual_lshlrev_b32 v2, 20, v2
	v_lshl_add_u32 v0, v0, 23, 0x3c000000
	v_and_b32_e32 v14, 0x80000000, v14
	s_delay_alu instid0(VALU_DEP_1)
	v_or3_b32 v14, v2, v14, v0
.LBB6_3763:                             ;   in Loop: Header=BB6_2849 Depth=4
	s_or_b32 exec_lo, exec_lo, s75
.LBB6_3764:                             ;   in Loop: Header=BB6_2849 Depth=4
	s_delay_alu instid0(SALU_CYCLE_1)
	s_or_b32 exec_lo, exec_lo, s74
.LBB6_3765:                             ;   in Loop: Header=BB6_2849 Depth=4
	s_delay_alu instid0(SALU_CYCLE_1) | instskip(NEXT) | instid1(VALU_DEP_1)
	s_or_b32 exec_lo, exec_lo, s13
	v_add_f32_e32 v0, v15, v14
                                        ; implicit-def: $vgpr48
	s_mov_b32 s13, exec_lo
	s_delay_alu instid0(VALU_DEP_1) | instskip(SKIP_1) | instid1(VALU_DEP_2)
	v_and_b32_e32 v2, 0x7f800000, v0
	v_lshrrev_b32_e32 v14, 24, v0
	v_cmpx_ne_u64_e32 0x7f800000, v[2:3]
	s_xor_b32 s74, exec_lo, s13
	s_cbranch_execz .LBB6_3783
; %bb.3766:                             ;   in Loop: Header=BB6_2849 Depth=4
	v_and_b32_e32 v2, 0x7fffffff, v0
	v_and_b32_e32 v49, 0x80, v14
                                        ; implicit-def: $vgpr48
	s_mov_b32 s13, exec_lo
	s_delay_alu instid0(VALU_DEP_2)
	v_cmpx_gt_u64_e32 0x43e00001, v[2:3]
	s_xor_b32 s75, exec_lo, s13
	s_cbranch_execz .LBB6_3780
; %bb.3767:                             ;   in Loop: Header=BB6_2849 Depth=4
	v_mov_b32_e32 v48, 0
	s_mov_b32 s76, exec_lo
	v_cmpx_ne_u32_e32 0, v0
	s_cbranch_execz .LBB6_3779
; %bb.3768:                             ;   in Loop: Header=BB6_2849 Depth=4
	v_and_b32_e32 v2, 0x7fffff, v0
	v_bfe_u32 v0, v0, 23, 8
	s_delay_alu instid0(VALU_DEP_2) | instskip(NEXT) | instid1(VALU_DEP_2)
	v_or_b32_e32 v15, 0x800000, v2
	v_cmp_gt_u32_e64 s13, 0x7a, v0
	v_sub_nc_u32_e32 v14, 0x79, v0
	v_cmp_eq_u32_e32 vcc_lo, 0, v0
	s_delay_alu instid0(VALU_DEP_2) | instskip(NEXT) | instid1(VALU_DEP_1)
	v_cndmask_b32_e64 v14, 0, v14, s13
	v_cndmask_b32_e64 v48, v14, 0x78, vcc_lo
	s_delay_alu instid0(VALU_DEP_1) | instskip(SKIP_1) | instid1(VALU_DEP_2)
	v_dual_cndmask_b32 v2, v15, v2, vcc_lo :: v_dual_add_nc_u32 v14, 20, v48
	v_add_nc_u32_e32 v16, 19, v48
	v_lshlrev_b64_e64 v[14:15], v14, -1
	s_delay_alu instid0(VALU_DEP_2) | instskip(NEXT) | instid1(VALU_DEP_2)
	v_lshlrev_b64_e64 v[16:17], v16, 1
	v_bfi_b32 v15, v15, 0, 0
	s_delay_alu instid0(VALU_DEP_3) | instskip(NEXT) | instid1(VALU_DEP_1)
	v_bfi_b32 v14, v14, 0, v2
	v_cmp_eq_u64_e64 s13, v[14:15], v[16:17]
	v_lshrrev_b64 v[14:15], v48, v[2:3]
	s_delay_alu instid0(VALU_DEP_1)
	v_mov_b64_e32 v[16:17], v[14:15]
	s_and_saveexec_b32 s77, s13
; %bb.3769:                             ;   in Loop: Header=BB6_2849 Depth=4
	v_bfe_u32 v2, v14, 20, 1
	s_delay_alu instid0(VALU_DEP_1) | instskip(NEXT) | instid1(VALU_DEP_1)
	v_add_nc_u64_e32 v[16:17], v[14:15], v[2:3]
	v_add_nc_u64_e32 v[16:17], -1, v[16:17]
; %bb.3770:                             ;   in Loop: Header=BB6_2849 Depth=4
	s_or_b32 exec_lo, exec_lo, s77
	v_add_nc_u32_e32 v0, 0xffffff81, v0
	v_lshrrev_b32_e32 v2, 23, v14
	s_mov_b32 s13, exec_lo
	s_delay_alu instid0(VALU_DEP_2) | instskip(NEXT) | instid1(VALU_DEP_1)
	v_cndmask_b32_e64 v0, v0, 0xffffff82, vcc_lo
	v_add3_u32 v17, v48, v0, v2
	v_and_b32_e32 v0, 0xfffff, v16
	s_delay_alu instid0(VALU_DEP_1) | instskip(NEXT) | instid1(VALU_DEP_1)
	v_dual_add_nc_u32 v16, 6, v17 :: v_dual_add_nc_u32 v2, v0, v14
                                        ; implicit-def: $vgpr14_vgpr15
                                        ; implicit-def: $vgpr0
	v_cmpx_ne_u32_e32 0, v16
	s_xor_b32 s13, exec_lo, s13
; %bb.3771:                             ;   in Loop: Header=BB6_2849 Depth=4
	s_delay_alu instid0(VALU_DEP_2) | instskip(SKIP_2) | instid1(VALU_DEP_2)
	v_cmp_lt_u64_e32 vcc_lo, 0xffffff, v[2:3]
	v_add_nc_u32_e32 v0, 7, v17
	v_cndmask_b32_e64 v14, 0, 1, vcc_lo
	v_cndmask_b32_e32 v0, v16, v0, vcc_lo
	s_delay_alu instid0(VALU_DEP_2)
	v_lshrrev_b64 v[14:15], v14, v[2:3]
; %bb.3772:                             ;   in Loop: Header=BB6_2849 Depth=4
	s_and_not1_saveexec_b32 s13, s13
; %bb.3773:                             ;   in Loop: Header=BB6_2849 Depth=4
	v_mov_b64_e32 v[14:15], v[2:3]
	v_bfe_u32 v0, v2, 23, 1
; %bb.3774:                             ;   in Loop: Header=BB6_2849 Depth=4
	s_or_b32 exec_lo, exec_lo, s13
	s_delay_alu instid0(VALU_DEP_2) | instskip(NEXT) | instid1(VALU_DEP_2)
	v_lshrrev_b64 v[14:15], 20, v[14:15]
	v_cmp_gt_i32_e32 vcc_lo, 16, v0
	v_cmp_ne_u32_e64 s13, 0, v0
                                        ; implicit-def: $vgpr48
	s_delay_alu instid0(VALU_DEP_3) | instskip(NEXT) | instid1(VALU_DEP_1)
	v_dual_cndmask_b32 v15, 0, v15 :: v_dual_cndmask_b32 v14, 7, v14
	v_cmp_ne_u64_e32 vcc_lo, 0, v[14:15]
	s_or_b32 s13, s13, vcc_lo
	s_delay_alu instid0(SALU_CYCLE_1) | instskip(NEXT) | instid1(SALU_CYCLE_1)
	s_and_saveexec_b32 s77, s13
	s_xor_b32 s13, exec_lo, s77
; %bb.3775:                             ;   in Loop: Header=BB6_2849 Depth=4
	v_min_i32_e32 v0, 15, v0
	s_delay_alu instid0(VALU_DEP_1) | instskip(NEXT) | instid1(VALU_DEP_1)
	v_lshl_or_b32 v0, v0, 3, v49
                                        ; implicit-def: $vgpr49
	v_and_or_b32 v48, v14, 7, v0
; %bb.3776:                             ;   in Loop: Header=BB6_2849 Depth=4
	s_and_not1_saveexec_b32 s13, s13
; %bb.3777:                             ;   in Loop: Header=BB6_2849 Depth=4
	v_mov_b32_e32 v48, v49
; %bb.3778:                             ;   in Loop: Header=BB6_2849 Depth=4
	s_or_b32 exec_lo, exec_lo, s13
.LBB6_3779:                             ;   in Loop: Header=BB6_2849 Depth=4
	s_delay_alu instid0(SALU_CYCLE_1)
	s_or_b32 exec_lo, exec_lo, s76
                                        ; implicit-def: $vgpr49
.LBB6_3780:                             ;   in Loop: Header=BB6_2849 Depth=4
	s_and_not1_saveexec_b32 s13, s75
; %bb.3781:                             ;   in Loop: Header=BB6_2849 Depth=4
	v_or_b32_e32 v48, 0x7e, v49
; %bb.3782:                             ;   in Loop: Header=BB6_2849 Depth=4
	s_or_b32 exec_lo, exec_lo, s13
                                        ; implicit-def: $vgpr14
.LBB6_3783:                             ;   in Loop: Header=BB6_2849 Depth=4
	s_and_not1_saveexec_b32 s13, s74
; %bb.3784:                             ;   in Loop: Header=BB6_2849 Depth=4
	v_or_b32_e32 v48, 0x7f, v14
; %bb.3785:                             ;   in Loop: Header=BB6_2849 Depth=4
	s_or_b32 exec_lo, exec_lo, s13
	v_and_b32_e32 v0, 0xff, v38
	v_dual_mov_b32 v14, 0 :: v_dual_mov_b32 v15, 0
	s_mov_b32 s13, exec_lo
	s_delay_alu instid0(VALU_DEP_2)
	v_cmpx_ne_u16_e32 0, v0
	s_cbranch_execz .LBB6_3793
; %bb.3786:                             ;   in Loop: Header=BB6_2849 Depth=4
	v_bfrev_b32_e32 v15, 1
	s_mov_b32 s74, exec_lo
	v_cmpx_ne_u16_e32 0x80, v0
	s_cbranch_execz .LBB6_3792
; %bb.3787:                             ;   in Loop: Header=BB6_2849 Depth=4
	v_and_b32_e32 v16, 0x7f, v38
	v_mov_b32_e32 v15, 0x7f800001
	s_mov_b32 s75, exec_lo
	s_delay_alu instid0(VALU_DEP_2)
	v_cmpx_ne_u32_e32 0x7f, v16
	s_cbranch_execz .LBB6_3791
; %bb.3788:                             ;   in Loop: Header=BB6_2849 Depth=4
	v_and_b32_e32 v2, 7, v0
	v_lshrrev_b32_e32 v0, 3, v16
	s_mov_b32 s76, exec_lo
	v_cmpx_gt_u32_e32 8, v16
; %bb.3789:                             ;   in Loop: Header=BB6_2849 Depth=4
	s_delay_alu instid0(VALU_DEP_3) | instskip(NEXT) | instid1(VALU_DEP_1)
	v_clz_i32_u32_e32 v0, v2
	v_min_u32_e32 v0, 32, v0
	s_delay_alu instid0(VALU_DEP_1) | instskip(SKIP_1) | instid1(VALU_DEP_2)
	v_subrev_nc_u32_e32 v15, 28, v0
	v_sub_nc_u32_e32 v0, 29, v0
	v_lshlrev_b64_e32 v[16:17], v15, v[2:3]
	s_delay_alu instid0(VALU_DEP_1)
	v_and_b32_e32 v2, 7, v16
; %bb.3790:                             ;   in Loop: Header=BB6_2849 Depth=4
	s_or_b32 exec_lo, exec_lo, s76
	v_lshlrev_b32_e32 v15, 24, v38
	s_delay_alu instid0(VALU_DEP_2) | instskip(SKIP_1) | instid1(VALU_DEP_3)
	v_lshlrev_b32_e32 v2, 20, v2
	v_lshl_add_u32 v0, v0, 23, 0x3c000000
	v_and_b32_e32 v15, 0x80000000, v15
	s_delay_alu instid0(VALU_DEP_1)
	v_or3_b32 v15, v2, v15, v0
.LBB6_3791:                             ;   in Loop: Header=BB6_2849 Depth=4
	s_or_b32 exec_lo, exec_lo, s75
.LBB6_3792:                             ;   in Loop: Header=BB6_2849 Depth=4
	s_delay_alu instid0(SALU_CYCLE_1)
	s_or_b32 exec_lo, exec_lo, s74
.LBB6_3793:                             ;   in Loop: Header=BB6_2849 Depth=4
	s_delay_alu instid0(SALU_CYCLE_1) | instskip(SKIP_3) | instid1(VALU_DEP_1)
	s_or_b32 exec_lo, exec_lo, s13
	s_wait_loadcnt_dscnt 0x505
	v_and_b32_e32 v0, 0xff, v37
	s_mov_b32 s13, exec_lo
	v_cmpx_ne_u16_e32 0, v0
	s_cbranch_execz .LBB6_3801
; %bb.3794:                             ;   in Loop: Header=BB6_2849 Depth=4
	v_bfrev_b32_e32 v14, 1
	s_mov_b32 s74, exec_lo
	v_cmpx_ne_u16_e32 0x80, v0
	s_cbranch_execz .LBB6_3800
; %bb.3795:                             ;   in Loop: Header=BB6_2849 Depth=4
	v_and_b32_e32 v16, 0x7f, v37
	v_mov_b32_e32 v14, 0x7f800001
	s_mov_b32 s75, exec_lo
	s_delay_alu instid0(VALU_DEP_2)
	v_cmpx_ne_u32_e32 0x7f, v16
	s_cbranch_execz .LBB6_3799
; %bb.3796:                             ;   in Loop: Header=BB6_2849 Depth=4
	v_and_b32_e32 v2, 7, v0
	v_lshrrev_b32_e32 v0, 3, v16
	s_mov_b32 s76, exec_lo
	v_cmpx_gt_u32_e32 8, v16
; %bb.3797:                             ;   in Loop: Header=BB6_2849 Depth=4
	s_delay_alu instid0(VALU_DEP_3) | instskip(NEXT) | instid1(VALU_DEP_1)
	v_clz_i32_u32_e32 v0, v2
	v_min_u32_e32 v0, 32, v0
	s_delay_alu instid0(VALU_DEP_1) | instskip(SKIP_1) | instid1(VALU_DEP_2)
	v_subrev_nc_u32_e32 v14, 28, v0
	v_sub_nc_u32_e32 v0, 29, v0
	v_lshlrev_b64_e32 v[16:17], v14, v[2:3]
	s_delay_alu instid0(VALU_DEP_1)
	v_and_b32_e32 v2, 7, v16
; %bb.3798:                             ;   in Loop: Header=BB6_2849 Depth=4
	s_or_b32 exec_lo, exec_lo, s76
	s_delay_alu instid0(VALU_DEP_1) | instskip(SKIP_1) | instid1(VALU_DEP_2)
	v_dual_lshlrev_b32 v14, 24, v37 :: v_dual_lshlrev_b32 v2, 20, v2
	v_lshl_add_u32 v0, v0, 23, 0x3c000000
	v_and_b32_e32 v14, 0x80000000, v14
	s_delay_alu instid0(VALU_DEP_1)
	v_or3_b32 v14, v2, v14, v0
.LBB6_3799:                             ;   in Loop: Header=BB6_2849 Depth=4
	s_or_b32 exec_lo, exec_lo, s75
.LBB6_3800:                             ;   in Loop: Header=BB6_2849 Depth=4
	s_delay_alu instid0(SALU_CYCLE_1)
	s_or_b32 exec_lo, exec_lo, s74
.LBB6_3801:                             ;   in Loop: Header=BB6_2849 Depth=4
	s_delay_alu instid0(SALU_CYCLE_1) | instskip(NEXT) | instid1(VALU_DEP_1)
	s_or_b32 exec_lo, exec_lo, s13
	v_add_f32_e32 v0, v15, v14
                                        ; implicit-def: $vgpr37
	s_mov_b32 s13, exec_lo
	s_delay_alu instid0(VALU_DEP_1) | instskip(SKIP_1) | instid1(VALU_DEP_2)
	v_and_b32_e32 v2, 0x7f800000, v0
	v_lshrrev_b32_e32 v14, 24, v0
	v_cmpx_ne_u64_e32 0x7f800000, v[2:3]
	s_xor_b32 s74, exec_lo, s13
	s_cbranch_execz .LBB6_3819
; %bb.3802:                             ;   in Loop: Header=BB6_2849 Depth=4
	v_and_b32_e32 v2, 0x7fffffff, v0
	v_and_b32_e32 v38, 0x80, v14
                                        ; implicit-def: $vgpr37
	s_mov_b32 s13, exec_lo
	s_delay_alu instid0(VALU_DEP_2)
	v_cmpx_gt_u64_e32 0x43e00001, v[2:3]
	s_xor_b32 s75, exec_lo, s13
	s_cbranch_execz .LBB6_3816
; %bb.3803:                             ;   in Loop: Header=BB6_2849 Depth=4
	v_mov_b32_e32 v37, 0
	s_mov_b32 s76, exec_lo
	v_cmpx_ne_u32_e32 0, v0
	s_cbranch_execz .LBB6_3815
; %bb.3804:                             ;   in Loop: Header=BB6_2849 Depth=4
	v_and_b32_e32 v2, 0x7fffff, v0
	v_bfe_u32 v0, v0, 23, 8
	s_delay_alu instid0(VALU_DEP_2) | instskip(NEXT) | instid1(VALU_DEP_2)
	v_or_b32_e32 v15, 0x800000, v2
	v_cmp_gt_u32_e64 s13, 0x7a, v0
	v_sub_nc_u32_e32 v14, 0x79, v0
	v_cmp_eq_u32_e32 vcc_lo, 0, v0
	s_delay_alu instid0(VALU_DEP_2) | instskip(NEXT) | instid1(VALU_DEP_1)
	v_cndmask_b32_e64 v14, 0, v14, s13
	v_cndmask_b32_e64 v37, v14, 0x78, vcc_lo
	s_delay_alu instid0(VALU_DEP_1) | instskip(SKIP_1) | instid1(VALU_DEP_2)
	v_dual_cndmask_b32 v2, v15, v2, vcc_lo :: v_dual_add_nc_u32 v14, 20, v37
	v_add_nc_u32_e32 v16, 19, v37
	v_lshlrev_b64_e64 v[14:15], v14, -1
	s_delay_alu instid0(VALU_DEP_2) | instskip(NEXT) | instid1(VALU_DEP_2)
	v_lshlrev_b64_e64 v[16:17], v16, 1
	v_bfi_b32 v15, v15, 0, 0
	s_delay_alu instid0(VALU_DEP_3) | instskip(NEXT) | instid1(VALU_DEP_1)
	v_bfi_b32 v14, v14, 0, v2
	v_cmp_eq_u64_e64 s13, v[14:15], v[16:17]
	v_lshrrev_b64 v[14:15], v37, v[2:3]
	s_delay_alu instid0(VALU_DEP_1)
	v_mov_b64_e32 v[16:17], v[14:15]
	s_and_saveexec_b32 s77, s13
; %bb.3805:                             ;   in Loop: Header=BB6_2849 Depth=4
	v_bfe_u32 v2, v14, 20, 1
	s_delay_alu instid0(VALU_DEP_1) | instskip(NEXT) | instid1(VALU_DEP_1)
	v_add_nc_u64_e32 v[16:17], v[14:15], v[2:3]
	v_add_nc_u64_e32 v[16:17], -1, v[16:17]
; %bb.3806:                             ;   in Loop: Header=BB6_2849 Depth=4
	s_or_b32 exec_lo, exec_lo, s77
	v_add_nc_u32_e32 v0, 0xffffff81, v0
	v_lshrrev_b32_e32 v2, 23, v14
	s_mov_b32 s13, exec_lo
	s_delay_alu instid0(VALU_DEP_2) | instskip(NEXT) | instid1(VALU_DEP_1)
	v_cndmask_b32_e64 v0, v0, 0xffffff82, vcc_lo
	v_add3_u32 v17, v37, v0, v2
	v_and_b32_e32 v0, 0xfffff, v16
	s_delay_alu instid0(VALU_DEP_1) | instskip(NEXT) | instid1(VALU_DEP_1)
	v_dual_add_nc_u32 v16, 6, v17 :: v_dual_add_nc_u32 v2, v0, v14
                                        ; implicit-def: $vgpr14_vgpr15
                                        ; implicit-def: $vgpr0
	v_cmpx_ne_u32_e32 0, v16
	s_xor_b32 s13, exec_lo, s13
; %bb.3807:                             ;   in Loop: Header=BB6_2849 Depth=4
	s_delay_alu instid0(VALU_DEP_2) | instskip(SKIP_2) | instid1(VALU_DEP_2)
	v_cmp_lt_u64_e32 vcc_lo, 0xffffff, v[2:3]
	v_add_nc_u32_e32 v0, 7, v17
	v_cndmask_b32_e64 v14, 0, 1, vcc_lo
	v_cndmask_b32_e32 v0, v16, v0, vcc_lo
	s_delay_alu instid0(VALU_DEP_2)
	v_lshrrev_b64 v[14:15], v14, v[2:3]
; %bb.3808:                             ;   in Loop: Header=BB6_2849 Depth=4
	s_and_not1_saveexec_b32 s13, s13
; %bb.3809:                             ;   in Loop: Header=BB6_2849 Depth=4
	v_mov_b64_e32 v[14:15], v[2:3]
	v_bfe_u32 v0, v2, 23, 1
; %bb.3810:                             ;   in Loop: Header=BB6_2849 Depth=4
	s_or_b32 exec_lo, exec_lo, s13
	s_delay_alu instid0(VALU_DEP_2) | instskip(NEXT) | instid1(VALU_DEP_2)
	v_lshrrev_b64 v[14:15], 20, v[14:15]
	v_cmp_gt_i32_e32 vcc_lo, 16, v0
	v_cmp_ne_u32_e64 s13, 0, v0
                                        ; implicit-def: $vgpr37
	s_delay_alu instid0(VALU_DEP_3) | instskip(NEXT) | instid1(VALU_DEP_1)
	v_dual_cndmask_b32 v15, 0, v15 :: v_dual_cndmask_b32 v14, 7, v14
	v_cmp_ne_u64_e32 vcc_lo, 0, v[14:15]
	s_or_b32 s13, s13, vcc_lo
	s_delay_alu instid0(SALU_CYCLE_1) | instskip(NEXT) | instid1(SALU_CYCLE_1)
	s_and_saveexec_b32 s77, s13
	s_xor_b32 s13, exec_lo, s77
; %bb.3811:                             ;   in Loop: Header=BB6_2849 Depth=4
	v_min_i32_e32 v0, 15, v0
	s_delay_alu instid0(VALU_DEP_1) | instskip(NEXT) | instid1(VALU_DEP_1)
	v_lshl_or_b32 v0, v0, 3, v38
                                        ; implicit-def: $vgpr38
	v_and_or_b32 v37, v14, 7, v0
; %bb.3812:                             ;   in Loop: Header=BB6_2849 Depth=4
	s_and_not1_saveexec_b32 s13, s13
; %bb.3813:                             ;   in Loop: Header=BB6_2849 Depth=4
	v_mov_b32_e32 v37, v38
; %bb.3814:                             ;   in Loop: Header=BB6_2849 Depth=4
	s_or_b32 exec_lo, exec_lo, s13
.LBB6_3815:                             ;   in Loop: Header=BB6_2849 Depth=4
	s_delay_alu instid0(SALU_CYCLE_1)
	s_or_b32 exec_lo, exec_lo, s76
                                        ; implicit-def: $vgpr38
.LBB6_3816:                             ;   in Loop: Header=BB6_2849 Depth=4
	s_and_not1_saveexec_b32 s13, s75
; %bb.3817:                             ;   in Loop: Header=BB6_2849 Depth=4
	v_or_b32_e32 v37, 0x7e, v38
; %bb.3818:                             ;   in Loop: Header=BB6_2849 Depth=4
	s_or_b32 exec_lo, exec_lo, s13
                                        ; implicit-def: $vgpr14
.LBB6_3819:                             ;   in Loop: Header=BB6_2849 Depth=4
	s_and_not1_saveexec_b32 s13, s74
; %bb.3820:                             ;   in Loop: Header=BB6_2849 Depth=4
	v_or_b32_e32 v37, 0x7f, v14
; %bb.3821:                             ;   in Loop: Header=BB6_2849 Depth=4
	s_or_b32 exec_lo, exec_lo, s13
	v_and_b32_e32 v0, 0xff, v35
	v_dual_mov_b32 v14, 0 :: v_dual_mov_b32 v15, 0
	s_mov_b32 s13, exec_lo
	s_delay_alu instid0(VALU_DEP_2)
	v_cmpx_ne_u16_e32 0, v0
	s_cbranch_execz .LBB6_3829
; %bb.3822:                             ;   in Loop: Header=BB6_2849 Depth=4
	v_bfrev_b32_e32 v15, 1
	s_mov_b32 s74, exec_lo
	v_cmpx_ne_u16_e32 0x80, v0
	s_cbranch_execz .LBB6_3828
; %bb.3823:                             ;   in Loop: Header=BB6_2849 Depth=4
	v_and_b32_e32 v16, 0x7f, v35
	v_mov_b32_e32 v15, 0x7f800001
	s_mov_b32 s75, exec_lo
	s_delay_alu instid0(VALU_DEP_2)
	v_cmpx_ne_u32_e32 0x7f, v16
	s_cbranch_execz .LBB6_3827
; %bb.3824:                             ;   in Loop: Header=BB6_2849 Depth=4
	v_and_b32_e32 v2, 7, v0
	v_lshrrev_b32_e32 v0, 3, v16
	s_mov_b32 s76, exec_lo
	v_cmpx_gt_u32_e32 8, v16
; %bb.3825:                             ;   in Loop: Header=BB6_2849 Depth=4
	s_delay_alu instid0(VALU_DEP_3) | instskip(NEXT) | instid1(VALU_DEP_1)
	v_clz_i32_u32_e32 v0, v2
	v_min_u32_e32 v0, 32, v0
	s_delay_alu instid0(VALU_DEP_1) | instskip(SKIP_1) | instid1(VALU_DEP_2)
	v_subrev_nc_u32_e32 v15, 28, v0
	v_sub_nc_u32_e32 v0, 29, v0
	v_lshlrev_b64_e32 v[16:17], v15, v[2:3]
	s_delay_alu instid0(VALU_DEP_1)
	v_and_b32_e32 v2, 7, v16
; %bb.3826:                             ;   in Loop: Header=BB6_2849 Depth=4
	s_or_b32 exec_lo, exec_lo, s76
	s_delay_alu instid0(VALU_DEP_1) | instskip(SKIP_1) | instid1(VALU_DEP_2)
	v_dual_lshlrev_b32 v15, 24, v35 :: v_dual_lshlrev_b32 v2, 20, v2
	v_lshl_add_u32 v0, v0, 23, 0x3c000000
	v_and_b32_e32 v15, 0x80000000, v15
	s_delay_alu instid0(VALU_DEP_1)
	v_or3_b32 v15, v2, v15, v0
.LBB6_3827:                             ;   in Loop: Header=BB6_2849 Depth=4
	s_or_b32 exec_lo, exec_lo, s75
.LBB6_3828:                             ;   in Loop: Header=BB6_2849 Depth=4
	s_delay_alu instid0(SALU_CYCLE_1)
	s_or_b32 exec_lo, exec_lo, s74
.LBB6_3829:                             ;   in Loop: Header=BB6_2849 Depth=4
	s_delay_alu instid0(SALU_CYCLE_1) | instskip(SKIP_3) | instid1(VALU_DEP_1)
	s_or_b32 exec_lo, exec_lo, s13
	s_wait_loadcnt_dscnt 0x404
	v_and_b32_e32 v0, 0xff, v34
	s_mov_b32 s13, exec_lo
	v_cmpx_ne_u16_e32 0, v0
	s_cbranch_execz .LBB6_3837
; %bb.3830:                             ;   in Loop: Header=BB6_2849 Depth=4
	v_bfrev_b32_e32 v14, 1
	s_mov_b32 s74, exec_lo
	v_cmpx_ne_u16_e32 0x80, v0
	s_cbranch_execz .LBB6_3836
; %bb.3831:                             ;   in Loop: Header=BB6_2849 Depth=4
	v_and_b32_e32 v16, 0x7f, v34
	v_mov_b32_e32 v14, 0x7f800001
	s_mov_b32 s75, exec_lo
	s_delay_alu instid0(VALU_DEP_2)
	v_cmpx_ne_u32_e32 0x7f, v16
	s_cbranch_execz .LBB6_3835
; %bb.3832:                             ;   in Loop: Header=BB6_2849 Depth=4
	v_and_b32_e32 v2, 7, v0
	v_lshrrev_b32_e32 v0, 3, v16
	s_mov_b32 s76, exec_lo
	v_cmpx_gt_u32_e32 8, v16
; %bb.3833:                             ;   in Loop: Header=BB6_2849 Depth=4
	s_delay_alu instid0(VALU_DEP_3) | instskip(NEXT) | instid1(VALU_DEP_1)
	v_clz_i32_u32_e32 v0, v2
	v_min_u32_e32 v0, 32, v0
	s_delay_alu instid0(VALU_DEP_1) | instskip(SKIP_1) | instid1(VALU_DEP_2)
	v_subrev_nc_u32_e32 v14, 28, v0
	v_sub_nc_u32_e32 v0, 29, v0
	v_lshlrev_b64_e32 v[16:17], v14, v[2:3]
	s_delay_alu instid0(VALU_DEP_1)
	v_and_b32_e32 v2, 7, v16
; %bb.3834:                             ;   in Loop: Header=BB6_2849 Depth=4
	s_or_b32 exec_lo, exec_lo, s76
	v_lshlrev_b32_e32 v14, 24, v34
	s_delay_alu instid0(VALU_DEP_2) | instskip(SKIP_1) | instid1(VALU_DEP_3)
	v_lshlrev_b32_e32 v2, 20, v2
	v_lshl_add_u32 v0, v0, 23, 0x3c000000
	v_and_b32_e32 v14, 0x80000000, v14
	s_delay_alu instid0(VALU_DEP_1)
	v_or3_b32 v14, v2, v14, v0
.LBB6_3835:                             ;   in Loop: Header=BB6_2849 Depth=4
	s_or_b32 exec_lo, exec_lo, s75
.LBB6_3836:                             ;   in Loop: Header=BB6_2849 Depth=4
	s_delay_alu instid0(SALU_CYCLE_1)
	s_or_b32 exec_lo, exec_lo, s74
.LBB6_3837:                             ;   in Loop: Header=BB6_2849 Depth=4
	s_delay_alu instid0(SALU_CYCLE_1) | instskip(NEXT) | instid1(VALU_DEP_1)
	s_or_b32 exec_lo, exec_lo, s13
	v_add_f32_e32 v0, v15, v14
                                        ; implicit-def: $vgpr34
	s_mov_b32 s13, exec_lo
	s_delay_alu instid0(VALU_DEP_1) | instskip(SKIP_1) | instid1(VALU_DEP_2)
	v_and_b32_e32 v2, 0x7f800000, v0
	v_lshrrev_b32_e32 v14, 24, v0
	v_cmpx_ne_u64_e32 0x7f800000, v[2:3]
	s_xor_b32 s74, exec_lo, s13
	s_cbranch_execz .LBB6_3855
; %bb.3838:                             ;   in Loop: Header=BB6_2849 Depth=4
	v_and_b32_e32 v2, 0x7fffffff, v0
	v_and_b32_e32 v35, 0x80, v14
                                        ; implicit-def: $vgpr34
	s_mov_b32 s13, exec_lo
	s_delay_alu instid0(VALU_DEP_2)
	v_cmpx_gt_u64_e32 0x43e00001, v[2:3]
	s_xor_b32 s75, exec_lo, s13
	s_cbranch_execz .LBB6_3852
; %bb.3839:                             ;   in Loop: Header=BB6_2849 Depth=4
	v_mov_b32_e32 v34, 0
	s_mov_b32 s76, exec_lo
	v_cmpx_ne_u32_e32 0, v0
	s_cbranch_execz .LBB6_3851
; %bb.3840:                             ;   in Loop: Header=BB6_2849 Depth=4
	v_and_b32_e32 v2, 0x7fffff, v0
	v_bfe_u32 v0, v0, 23, 8
	s_delay_alu instid0(VALU_DEP_2) | instskip(NEXT) | instid1(VALU_DEP_2)
	v_or_b32_e32 v15, 0x800000, v2
	v_cmp_gt_u32_e64 s13, 0x7a, v0
	v_sub_nc_u32_e32 v14, 0x79, v0
	v_cmp_eq_u32_e32 vcc_lo, 0, v0
	s_delay_alu instid0(VALU_DEP_2) | instskip(SKIP_1) | instid1(VALU_DEP_2)
	v_cndmask_b32_e64 v14, 0, v14, s13
	v_cndmask_b32_e32 v2, v15, v2, vcc_lo
	v_cndmask_b32_e64 v34, v14, 0x78, vcc_lo
	s_delay_alu instid0(VALU_DEP_1) | instskip(NEXT) | instid1(VALU_DEP_1)
	v_dual_add_nc_u32 v14, 20, v34 :: v_dual_add_nc_u32 v16, 19, v34
	v_lshlrev_b64_e64 v[14:15], v14, -1
	s_delay_alu instid0(VALU_DEP_2) | instskip(NEXT) | instid1(VALU_DEP_2)
	v_lshlrev_b64_e64 v[16:17], v16, 1
	v_bfi_b32 v15, v15, 0, 0
	s_delay_alu instid0(VALU_DEP_3) | instskip(NEXT) | instid1(VALU_DEP_1)
	v_bfi_b32 v14, v14, 0, v2
	v_cmp_eq_u64_e64 s13, v[14:15], v[16:17]
	v_lshrrev_b64 v[14:15], v34, v[2:3]
	s_delay_alu instid0(VALU_DEP_1)
	v_mov_b64_e32 v[16:17], v[14:15]
	s_and_saveexec_b32 s77, s13
; %bb.3841:                             ;   in Loop: Header=BB6_2849 Depth=4
	v_bfe_u32 v2, v14, 20, 1
	s_delay_alu instid0(VALU_DEP_1) | instskip(NEXT) | instid1(VALU_DEP_1)
	v_add_nc_u64_e32 v[16:17], v[14:15], v[2:3]
	v_add_nc_u64_e32 v[16:17], -1, v[16:17]
; %bb.3842:                             ;   in Loop: Header=BB6_2849 Depth=4
	s_or_b32 exec_lo, exec_lo, s77
	v_add_nc_u32_e32 v0, 0xffffff81, v0
	v_lshrrev_b32_e32 v2, 23, v14
	s_mov_b32 s13, exec_lo
	s_delay_alu instid0(VALU_DEP_2) | instskip(NEXT) | instid1(VALU_DEP_1)
	v_cndmask_b32_e64 v0, v0, 0xffffff82, vcc_lo
	v_add3_u32 v17, v34, v0, v2
	v_and_b32_e32 v0, 0xfffff, v16
	s_delay_alu instid0(VALU_DEP_1) | instskip(NEXT) | instid1(VALU_DEP_1)
	v_dual_add_nc_u32 v16, 6, v17 :: v_dual_add_nc_u32 v2, v0, v14
                                        ; implicit-def: $vgpr14_vgpr15
                                        ; implicit-def: $vgpr0
	v_cmpx_ne_u32_e32 0, v16
	s_xor_b32 s13, exec_lo, s13
; %bb.3843:                             ;   in Loop: Header=BB6_2849 Depth=4
	s_delay_alu instid0(VALU_DEP_2) | instskip(SKIP_2) | instid1(VALU_DEP_2)
	v_cmp_lt_u64_e32 vcc_lo, 0xffffff, v[2:3]
	v_add_nc_u32_e32 v0, 7, v17
	v_cndmask_b32_e64 v14, 0, 1, vcc_lo
	v_cndmask_b32_e32 v0, v16, v0, vcc_lo
	s_delay_alu instid0(VALU_DEP_2)
	v_lshrrev_b64 v[14:15], v14, v[2:3]
; %bb.3844:                             ;   in Loop: Header=BB6_2849 Depth=4
	s_and_not1_saveexec_b32 s13, s13
; %bb.3845:                             ;   in Loop: Header=BB6_2849 Depth=4
	v_mov_b64_e32 v[14:15], v[2:3]
	v_bfe_u32 v0, v2, 23, 1
; %bb.3846:                             ;   in Loop: Header=BB6_2849 Depth=4
	s_or_b32 exec_lo, exec_lo, s13
	s_delay_alu instid0(VALU_DEP_2) | instskip(NEXT) | instid1(VALU_DEP_2)
	v_lshrrev_b64 v[14:15], 20, v[14:15]
	v_cmp_gt_i32_e32 vcc_lo, 16, v0
	v_cmp_ne_u32_e64 s13, 0, v0
                                        ; implicit-def: $vgpr34
	s_delay_alu instid0(VALU_DEP_3) | instskip(NEXT) | instid1(VALU_DEP_1)
	v_dual_cndmask_b32 v15, 0, v15 :: v_dual_cndmask_b32 v14, 7, v14
	v_cmp_ne_u64_e32 vcc_lo, 0, v[14:15]
	s_or_b32 s13, s13, vcc_lo
	s_delay_alu instid0(SALU_CYCLE_1) | instskip(NEXT) | instid1(SALU_CYCLE_1)
	s_and_saveexec_b32 s77, s13
	s_xor_b32 s13, exec_lo, s77
; %bb.3847:                             ;   in Loop: Header=BB6_2849 Depth=4
	v_min_i32_e32 v0, 15, v0
	s_delay_alu instid0(VALU_DEP_1) | instskip(NEXT) | instid1(VALU_DEP_1)
	v_lshl_or_b32 v0, v0, 3, v35
                                        ; implicit-def: $vgpr35
	v_and_or_b32 v34, v14, 7, v0
; %bb.3848:                             ;   in Loop: Header=BB6_2849 Depth=4
	s_and_not1_saveexec_b32 s13, s13
; %bb.3849:                             ;   in Loop: Header=BB6_2849 Depth=4
	v_mov_b32_e32 v34, v35
; %bb.3850:                             ;   in Loop: Header=BB6_2849 Depth=4
	s_or_b32 exec_lo, exec_lo, s13
.LBB6_3851:                             ;   in Loop: Header=BB6_2849 Depth=4
	s_delay_alu instid0(SALU_CYCLE_1)
	s_or_b32 exec_lo, exec_lo, s76
                                        ; implicit-def: $vgpr35
.LBB6_3852:                             ;   in Loop: Header=BB6_2849 Depth=4
	s_and_not1_saveexec_b32 s13, s75
; %bb.3853:                             ;   in Loop: Header=BB6_2849 Depth=4
	v_or_b32_e32 v34, 0x7e, v35
; %bb.3854:                             ;   in Loop: Header=BB6_2849 Depth=4
	s_or_b32 exec_lo, exec_lo, s13
                                        ; implicit-def: $vgpr14
.LBB6_3855:                             ;   in Loop: Header=BB6_2849 Depth=4
	s_and_not1_saveexec_b32 s13, s74
; %bb.3856:                             ;   in Loop: Header=BB6_2849 Depth=4
	v_or_b32_e32 v34, 0x7f, v14
; %bb.3857:                             ;   in Loop: Header=BB6_2849 Depth=4
	s_or_b32 exec_lo, exec_lo, s13
	v_and_b32_e32 v0, 0xff, v32
	v_dual_mov_b32 v14, 0 :: v_dual_mov_b32 v15, 0
	s_mov_b32 s13, exec_lo
	s_delay_alu instid0(VALU_DEP_2)
	v_cmpx_ne_u16_e32 0, v0
	s_cbranch_execz .LBB6_3865
; %bb.3858:                             ;   in Loop: Header=BB6_2849 Depth=4
	v_bfrev_b32_e32 v15, 1
	s_mov_b32 s74, exec_lo
	v_cmpx_ne_u16_e32 0x80, v0
	s_cbranch_execz .LBB6_3864
; %bb.3859:                             ;   in Loop: Header=BB6_2849 Depth=4
	v_and_b32_e32 v16, 0x7f, v32
	v_mov_b32_e32 v15, 0x7f800001
	s_mov_b32 s75, exec_lo
	s_delay_alu instid0(VALU_DEP_2)
	v_cmpx_ne_u32_e32 0x7f, v16
	s_cbranch_execz .LBB6_3863
; %bb.3860:                             ;   in Loop: Header=BB6_2849 Depth=4
	v_and_b32_e32 v2, 7, v0
	v_lshrrev_b32_e32 v0, 3, v16
	s_mov_b32 s76, exec_lo
	v_cmpx_gt_u32_e32 8, v16
; %bb.3861:                             ;   in Loop: Header=BB6_2849 Depth=4
	s_delay_alu instid0(VALU_DEP_3) | instskip(NEXT) | instid1(VALU_DEP_1)
	v_clz_i32_u32_e32 v0, v2
	v_min_u32_e32 v0, 32, v0
	s_delay_alu instid0(VALU_DEP_1) | instskip(SKIP_1) | instid1(VALU_DEP_2)
	v_subrev_nc_u32_e32 v15, 28, v0
	v_sub_nc_u32_e32 v0, 29, v0
	v_lshlrev_b64_e32 v[16:17], v15, v[2:3]
	s_delay_alu instid0(VALU_DEP_1)
	v_and_b32_e32 v2, 7, v16
; %bb.3862:                             ;   in Loop: Header=BB6_2849 Depth=4
	s_or_b32 exec_lo, exec_lo, s76
	s_delay_alu instid0(VALU_DEP_1) | instskip(SKIP_1) | instid1(VALU_DEP_2)
	v_dual_lshlrev_b32 v15, 24, v32 :: v_dual_lshlrev_b32 v2, 20, v2
	v_lshl_add_u32 v0, v0, 23, 0x3c000000
	v_and_b32_e32 v15, 0x80000000, v15
	s_delay_alu instid0(VALU_DEP_1)
	v_or3_b32 v15, v2, v15, v0
.LBB6_3863:                             ;   in Loop: Header=BB6_2849 Depth=4
	s_or_b32 exec_lo, exec_lo, s75
.LBB6_3864:                             ;   in Loop: Header=BB6_2849 Depth=4
	s_delay_alu instid0(SALU_CYCLE_1)
	s_or_b32 exec_lo, exec_lo, s74
.LBB6_3865:                             ;   in Loop: Header=BB6_2849 Depth=4
	s_delay_alu instid0(SALU_CYCLE_1) | instskip(SKIP_3) | instid1(VALU_DEP_1)
	s_or_b32 exec_lo, exec_lo, s13
	s_wait_loadcnt_dscnt 0x303
	v_and_b32_e32 v0, 0xff, v31
	s_mov_b32 s13, exec_lo
	v_cmpx_ne_u16_e32 0, v0
	s_cbranch_execz .LBB6_3873
; %bb.3866:                             ;   in Loop: Header=BB6_2849 Depth=4
	v_bfrev_b32_e32 v14, 1
	s_mov_b32 s74, exec_lo
	v_cmpx_ne_u16_e32 0x80, v0
	s_cbranch_execz .LBB6_3872
; %bb.3867:                             ;   in Loop: Header=BB6_2849 Depth=4
	v_and_b32_e32 v16, 0x7f, v31
	v_mov_b32_e32 v14, 0x7f800001
	s_mov_b32 s75, exec_lo
	s_delay_alu instid0(VALU_DEP_2)
	v_cmpx_ne_u32_e32 0x7f, v16
	s_cbranch_execz .LBB6_3871
; %bb.3868:                             ;   in Loop: Header=BB6_2849 Depth=4
	v_and_b32_e32 v2, 7, v0
	v_lshrrev_b32_e32 v0, 3, v16
	s_mov_b32 s76, exec_lo
	v_cmpx_gt_u32_e32 8, v16
; %bb.3869:                             ;   in Loop: Header=BB6_2849 Depth=4
	s_delay_alu instid0(VALU_DEP_3) | instskip(NEXT) | instid1(VALU_DEP_1)
	v_clz_i32_u32_e32 v0, v2
	v_min_u32_e32 v0, 32, v0
	s_delay_alu instid0(VALU_DEP_1) | instskip(SKIP_1) | instid1(VALU_DEP_2)
	v_subrev_nc_u32_e32 v14, 28, v0
	v_sub_nc_u32_e32 v0, 29, v0
	v_lshlrev_b64_e32 v[16:17], v14, v[2:3]
	s_delay_alu instid0(VALU_DEP_1)
	v_and_b32_e32 v2, 7, v16
; %bb.3870:                             ;   in Loop: Header=BB6_2849 Depth=4
	s_or_b32 exec_lo, exec_lo, s76
	s_delay_alu instid0(VALU_DEP_1) | instskip(SKIP_1) | instid1(VALU_DEP_2)
	v_dual_lshlrev_b32 v14, 24, v31 :: v_dual_lshlrev_b32 v2, 20, v2
	v_lshl_add_u32 v0, v0, 23, 0x3c000000
	v_and_b32_e32 v14, 0x80000000, v14
	s_delay_alu instid0(VALU_DEP_1)
	v_or3_b32 v14, v2, v14, v0
.LBB6_3871:                             ;   in Loop: Header=BB6_2849 Depth=4
	s_or_b32 exec_lo, exec_lo, s75
.LBB6_3872:                             ;   in Loop: Header=BB6_2849 Depth=4
	s_delay_alu instid0(SALU_CYCLE_1)
	s_or_b32 exec_lo, exec_lo, s74
.LBB6_3873:                             ;   in Loop: Header=BB6_2849 Depth=4
	s_delay_alu instid0(SALU_CYCLE_1) | instskip(NEXT) | instid1(VALU_DEP_1)
	s_or_b32 exec_lo, exec_lo, s13
	v_add_f32_e32 v0, v15, v14
                                        ; implicit-def: $vgpr31
	s_mov_b32 s13, exec_lo
	s_delay_alu instid0(VALU_DEP_1) | instskip(SKIP_1) | instid1(VALU_DEP_2)
	v_and_b32_e32 v2, 0x7f800000, v0
	v_lshrrev_b32_e32 v14, 24, v0
	v_cmpx_ne_u64_e32 0x7f800000, v[2:3]
	s_xor_b32 s74, exec_lo, s13
	s_cbranch_execz .LBB6_3891
; %bb.3874:                             ;   in Loop: Header=BB6_2849 Depth=4
	v_and_b32_e32 v2, 0x7fffffff, v0
	v_and_b32_e32 v32, 0x80, v14
                                        ; implicit-def: $vgpr31
	s_mov_b32 s13, exec_lo
	s_delay_alu instid0(VALU_DEP_2)
	v_cmpx_gt_u64_e32 0x43e00001, v[2:3]
	s_xor_b32 s75, exec_lo, s13
	s_cbranch_execz .LBB6_3888
; %bb.3875:                             ;   in Loop: Header=BB6_2849 Depth=4
	v_mov_b32_e32 v31, 0
	s_mov_b32 s76, exec_lo
	v_cmpx_ne_u32_e32 0, v0
	s_cbranch_execz .LBB6_3887
; %bb.3876:                             ;   in Loop: Header=BB6_2849 Depth=4
	v_and_b32_e32 v2, 0x7fffff, v0
	v_bfe_u32 v0, v0, 23, 8
	s_delay_alu instid0(VALU_DEP_2) | instskip(NEXT) | instid1(VALU_DEP_2)
	v_or_b32_e32 v15, 0x800000, v2
	v_cmp_gt_u32_e64 s13, 0x7a, v0
	v_sub_nc_u32_e32 v14, 0x79, v0
	v_cmp_eq_u32_e32 vcc_lo, 0, v0
	s_delay_alu instid0(VALU_DEP_2) | instskip(NEXT) | instid1(VALU_DEP_1)
	v_cndmask_b32_e64 v14, 0, v14, s13
	v_cndmask_b32_e64 v31, v14, 0x78, vcc_lo
	s_delay_alu instid0(VALU_DEP_1) | instskip(SKIP_1) | instid1(VALU_DEP_2)
	v_dual_cndmask_b32 v2, v15, v2, vcc_lo :: v_dual_add_nc_u32 v14, 20, v31
	v_add_nc_u32_e32 v16, 19, v31
	v_lshlrev_b64_e64 v[14:15], v14, -1
	s_delay_alu instid0(VALU_DEP_2) | instskip(NEXT) | instid1(VALU_DEP_2)
	v_lshlrev_b64_e64 v[16:17], v16, 1
	v_bfi_b32 v15, v15, 0, 0
	s_delay_alu instid0(VALU_DEP_3) | instskip(NEXT) | instid1(VALU_DEP_1)
	v_bfi_b32 v14, v14, 0, v2
	v_cmp_eq_u64_e64 s13, v[14:15], v[16:17]
	v_lshrrev_b64 v[14:15], v31, v[2:3]
	s_delay_alu instid0(VALU_DEP_1)
	v_mov_b64_e32 v[16:17], v[14:15]
	s_and_saveexec_b32 s77, s13
; %bb.3877:                             ;   in Loop: Header=BB6_2849 Depth=4
	v_bfe_u32 v2, v14, 20, 1
	s_delay_alu instid0(VALU_DEP_1) | instskip(NEXT) | instid1(VALU_DEP_1)
	v_add_nc_u64_e32 v[16:17], v[14:15], v[2:3]
	v_add_nc_u64_e32 v[16:17], -1, v[16:17]
; %bb.3878:                             ;   in Loop: Header=BB6_2849 Depth=4
	s_or_b32 exec_lo, exec_lo, s77
	v_add_nc_u32_e32 v0, 0xffffff81, v0
	v_lshrrev_b32_e32 v2, 23, v14
	s_mov_b32 s13, exec_lo
	s_delay_alu instid0(VALU_DEP_2) | instskip(NEXT) | instid1(VALU_DEP_1)
	v_cndmask_b32_e64 v0, v0, 0xffffff82, vcc_lo
	v_add3_u32 v17, v31, v0, v2
	v_and_b32_e32 v0, 0xfffff, v16
	s_delay_alu instid0(VALU_DEP_1) | instskip(NEXT) | instid1(VALU_DEP_1)
	v_dual_add_nc_u32 v16, 6, v17 :: v_dual_add_nc_u32 v2, v0, v14
                                        ; implicit-def: $vgpr14_vgpr15
                                        ; implicit-def: $vgpr0
	v_cmpx_ne_u32_e32 0, v16
	s_xor_b32 s13, exec_lo, s13
; %bb.3879:                             ;   in Loop: Header=BB6_2849 Depth=4
	s_delay_alu instid0(VALU_DEP_2) | instskip(SKIP_2) | instid1(VALU_DEP_2)
	v_cmp_lt_u64_e32 vcc_lo, 0xffffff, v[2:3]
	v_add_nc_u32_e32 v0, 7, v17
	v_cndmask_b32_e64 v14, 0, 1, vcc_lo
	v_cndmask_b32_e32 v0, v16, v0, vcc_lo
	s_delay_alu instid0(VALU_DEP_2)
	v_lshrrev_b64 v[14:15], v14, v[2:3]
; %bb.3880:                             ;   in Loop: Header=BB6_2849 Depth=4
	s_and_not1_saveexec_b32 s13, s13
; %bb.3881:                             ;   in Loop: Header=BB6_2849 Depth=4
	v_mov_b64_e32 v[14:15], v[2:3]
	v_bfe_u32 v0, v2, 23, 1
; %bb.3882:                             ;   in Loop: Header=BB6_2849 Depth=4
	s_or_b32 exec_lo, exec_lo, s13
	s_delay_alu instid0(VALU_DEP_2) | instskip(NEXT) | instid1(VALU_DEP_2)
	v_lshrrev_b64 v[14:15], 20, v[14:15]
	v_cmp_gt_i32_e32 vcc_lo, 16, v0
	v_cmp_ne_u32_e64 s13, 0, v0
                                        ; implicit-def: $vgpr31
	s_delay_alu instid0(VALU_DEP_3) | instskip(NEXT) | instid1(VALU_DEP_1)
	v_dual_cndmask_b32 v15, 0, v15 :: v_dual_cndmask_b32 v14, 7, v14
	v_cmp_ne_u64_e32 vcc_lo, 0, v[14:15]
	s_or_b32 s13, s13, vcc_lo
	s_delay_alu instid0(SALU_CYCLE_1) | instskip(NEXT) | instid1(SALU_CYCLE_1)
	s_and_saveexec_b32 s77, s13
	s_xor_b32 s13, exec_lo, s77
; %bb.3883:                             ;   in Loop: Header=BB6_2849 Depth=4
	v_min_i32_e32 v0, 15, v0
	s_delay_alu instid0(VALU_DEP_1) | instskip(NEXT) | instid1(VALU_DEP_1)
	v_lshl_or_b32 v0, v0, 3, v32
                                        ; implicit-def: $vgpr32
	v_and_or_b32 v31, v14, 7, v0
; %bb.3884:                             ;   in Loop: Header=BB6_2849 Depth=4
	s_and_not1_saveexec_b32 s13, s13
; %bb.3885:                             ;   in Loop: Header=BB6_2849 Depth=4
	v_mov_b32_e32 v31, v32
; %bb.3886:                             ;   in Loop: Header=BB6_2849 Depth=4
	s_or_b32 exec_lo, exec_lo, s13
.LBB6_3887:                             ;   in Loop: Header=BB6_2849 Depth=4
	s_delay_alu instid0(SALU_CYCLE_1)
	s_or_b32 exec_lo, exec_lo, s76
                                        ; implicit-def: $vgpr32
.LBB6_3888:                             ;   in Loop: Header=BB6_2849 Depth=4
	s_and_not1_saveexec_b32 s13, s75
; %bb.3889:                             ;   in Loop: Header=BB6_2849 Depth=4
	v_or_b32_e32 v31, 0x7e, v32
; %bb.3890:                             ;   in Loop: Header=BB6_2849 Depth=4
	s_or_b32 exec_lo, exec_lo, s13
                                        ; implicit-def: $vgpr14
.LBB6_3891:                             ;   in Loop: Header=BB6_2849 Depth=4
	s_and_not1_saveexec_b32 s13, s74
; %bb.3892:                             ;   in Loop: Header=BB6_2849 Depth=4
	v_or_b32_e32 v31, 0x7f, v14
; %bb.3893:                             ;   in Loop: Header=BB6_2849 Depth=4
	s_or_b32 exec_lo, exec_lo, s13
	v_and_b32_e32 v0, 0xff, v28
	v_dual_mov_b32 v14, 0 :: v_dual_mov_b32 v15, 0
	s_mov_b32 s13, exec_lo
	s_delay_alu instid0(VALU_DEP_2)
	v_cmpx_ne_u16_e32 0, v0
	s_cbranch_execz .LBB6_3901
; %bb.3894:                             ;   in Loop: Header=BB6_2849 Depth=4
	v_bfrev_b32_e32 v15, 1
	s_mov_b32 s74, exec_lo
	v_cmpx_ne_u16_e32 0x80, v0
	s_cbranch_execz .LBB6_3900
; %bb.3895:                             ;   in Loop: Header=BB6_2849 Depth=4
	v_and_b32_e32 v16, 0x7f, v28
	v_mov_b32_e32 v15, 0x7f800001
	s_mov_b32 s75, exec_lo
	s_delay_alu instid0(VALU_DEP_2)
	v_cmpx_ne_u32_e32 0x7f, v16
	s_cbranch_execz .LBB6_3899
; %bb.3896:                             ;   in Loop: Header=BB6_2849 Depth=4
	v_and_b32_e32 v2, 7, v0
	v_lshrrev_b32_e32 v0, 3, v16
	s_mov_b32 s76, exec_lo
	v_cmpx_gt_u32_e32 8, v16
; %bb.3897:                             ;   in Loop: Header=BB6_2849 Depth=4
	s_delay_alu instid0(VALU_DEP_3) | instskip(NEXT) | instid1(VALU_DEP_1)
	v_clz_i32_u32_e32 v0, v2
	v_min_u32_e32 v0, 32, v0
	s_delay_alu instid0(VALU_DEP_1) | instskip(SKIP_1) | instid1(VALU_DEP_2)
	v_subrev_nc_u32_e32 v15, 28, v0
	v_sub_nc_u32_e32 v0, 29, v0
	v_lshlrev_b64_e32 v[16:17], v15, v[2:3]
	s_delay_alu instid0(VALU_DEP_1)
	v_and_b32_e32 v2, 7, v16
; %bb.3898:                             ;   in Loop: Header=BB6_2849 Depth=4
	s_or_b32 exec_lo, exec_lo, s76
	s_delay_alu instid0(VALU_DEP_1) | instskip(SKIP_1) | instid1(VALU_DEP_2)
	v_dual_lshlrev_b32 v15, 24, v28 :: v_dual_lshlrev_b32 v2, 20, v2
	v_lshl_add_u32 v0, v0, 23, 0x3c000000
	v_and_b32_e32 v15, 0x80000000, v15
	s_delay_alu instid0(VALU_DEP_1)
	v_or3_b32 v15, v2, v15, v0
.LBB6_3899:                             ;   in Loop: Header=BB6_2849 Depth=4
	s_or_b32 exec_lo, exec_lo, s75
.LBB6_3900:                             ;   in Loop: Header=BB6_2849 Depth=4
	s_delay_alu instid0(SALU_CYCLE_1)
	s_or_b32 exec_lo, exec_lo, s74
.LBB6_3901:                             ;   in Loop: Header=BB6_2849 Depth=4
	s_delay_alu instid0(SALU_CYCLE_1) | instskip(SKIP_3) | instid1(VALU_DEP_1)
	s_or_b32 exec_lo, exec_lo, s13
	s_wait_loadcnt_dscnt 0x202
	v_and_b32_e32 v0, 0xff, v27
	s_mov_b32 s13, exec_lo
	v_cmpx_ne_u16_e32 0, v0
	s_cbranch_execz .LBB6_3909
; %bb.3902:                             ;   in Loop: Header=BB6_2849 Depth=4
	v_bfrev_b32_e32 v14, 1
	s_mov_b32 s74, exec_lo
	v_cmpx_ne_u16_e32 0x80, v0
	s_cbranch_execz .LBB6_3908
; %bb.3903:                             ;   in Loop: Header=BB6_2849 Depth=4
	v_and_b32_e32 v16, 0x7f, v27
	v_mov_b32_e32 v14, 0x7f800001
	s_mov_b32 s75, exec_lo
	s_delay_alu instid0(VALU_DEP_2)
	v_cmpx_ne_u32_e32 0x7f, v16
	s_cbranch_execz .LBB6_3907
; %bb.3904:                             ;   in Loop: Header=BB6_2849 Depth=4
	v_and_b32_e32 v2, 7, v0
	v_lshrrev_b32_e32 v0, 3, v16
	s_mov_b32 s76, exec_lo
	v_cmpx_gt_u32_e32 8, v16
; %bb.3905:                             ;   in Loop: Header=BB6_2849 Depth=4
	s_delay_alu instid0(VALU_DEP_3) | instskip(NEXT) | instid1(VALU_DEP_1)
	v_clz_i32_u32_e32 v0, v2
	v_min_u32_e32 v0, 32, v0
	s_delay_alu instid0(VALU_DEP_1) | instskip(SKIP_1) | instid1(VALU_DEP_2)
	v_subrev_nc_u32_e32 v14, 28, v0
	v_sub_nc_u32_e32 v0, 29, v0
	v_lshlrev_b64_e32 v[16:17], v14, v[2:3]
	s_delay_alu instid0(VALU_DEP_1)
	v_and_b32_e32 v2, 7, v16
; %bb.3906:                             ;   in Loop: Header=BB6_2849 Depth=4
	s_or_b32 exec_lo, exec_lo, s76
	s_delay_alu instid0(VALU_DEP_1) | instskip(SKIP_1) | instid1(VALU_DEP_2)
	v_dual_lshlrev_b32 v14, 24, v27 :: v_dual_lshlrev_b32 v2, 20, v2
	v_lshl_add_u32 v0, v0, 23, 0x3c000000
	v_and_b32_e32 v14, 0x80000000, v14
	s_delay_alu instid0(VALU_DEP_1)
	v_or3_b32 v14, v2, v14, v0
.LBB6_3907:                             ;   in Loop: Header=BB6_2849 Depth=4
	s_or_b32 exec_lo, exec_lo, s75
.LBB6_3908:                             ;   in Loop: Header=BB6_2849 Depth=4
	s_delay_alu instid0(SALU_CYCLE_1)
	s_or_b32 exec_lo, exec_lo, s74
.LBB6_3909:                             ;   in Loop: Header=BB6_2849 Depth=4
	s_delay_alu instid0(SALU_CYCLE_1) | instskip(NEXT) | instid1(VALU_DEP_1)
	s_or_b32 exec_lo, exec_lo, s13
	v_add_f32_e32 v0, v15, v14
                                        ; implicit-def: $vgpr27
	s_mov_b32 s13, exec_lo
	s_delay_alu instid0(VALU_DEP_1) | instskip(SKIP_1) | instid1(VALU_DEP_2)
	v_and_b32_e32 v2, 0x7f800000, v0
	v_lshrrev_b32_e32 v14, 24, v0
	v_cmpx_ne_u64_e32 0x7f800000, v[2:3]
	s_xor_b32 s74, exec_lo, s13
	s_cbranch_execz .LBB6_3927
; %bb.3910:                             ;   in Loop: Header=BB6_2849 Depth=4
	v_and_b32_e32 v2, 0x7fffffff, v0
	v_and_b32_e32 v28, 0x80, v14
                                        ; implicit-def: $vgpr27
	s_mov_b32 s13, exec_lo
	s_delay_alu instid0(VALU_DEP_2)
	v_cmpx_gt_u64_e32 0x43e00001, v[2:3]
	s_xor_b32 s75, exec_lo, s13
	s_cbranch_execz .LBB6_3924
; %bb.3911:                             ;   in Loop: Header=BB6_2849 Depth=4
	v_mov_b32_e32 v27, 0
	s_mov_b32 s76, exec_lo
	v_cmpx_ne_u32_e32 0, v0
	s_cbranch_execz .LBB6_3923
; %bb.3912:                             ;   in Loop: Header=BB6_2849 Depth=4
	v_and_b32_e32 v2, 0x7fffff, v0
	v_bfe_u32 v0, v0, 23, 8
	s_delay_alu instid0(VALU_DEP_2) | instskip(NEXT) | instid1(VALU_DEP_2)
	v_or_b32_e32 v15, 0x800000, v2
	v_cmp_gt_u32_e64 s13, 0x7a, v0
	v_sub_nc_u32_e32 v14, 0x79, v0
	v_cmp_eq_u32_e32 vcc_lo, 0, v0
	s_delay_alu instid0(VALU_DEP_2) | instskip(NEXT) | instid1(VALU_DEP_1)
	v_cndmask_b32_e64 v14, 0, v14, s13
	v_cndmask_b32_e64 v27, v14, 0x78, vcc_lo
	s_delay_alu instid0(VALU_DEP_1) | instskip(SKIP_1) | instid1(VALU_DEP_2)
	v_dual_cndmask_b32 v2, v15, v2, vcc_lo :: v_dual_add_nc_u32 v14, 20, v27
	v_add_nc_u32_e32 v16, 19, v27
	v_lshlrev_b64_e64 v[14:15], v14, -1
	s_delay_alu instid0(VALU_DEP_2) | instskip(NEXT) | instid1(VALU_DEP_2)
	v_lshlrev_b64_e64 v[16:17], v16, 1
	v_bfi_b32 v15, v15, 0, 0
	s_delay_alu instid0(VALU_DEP_3) | instskip(NEXT) | instid1(VALU_DEP_1)
	v_bfi_b32 v14, v14, 0, v2
	v_cmp_eq_u64_e64 s13, v[14:15], v[16:17]
	v_lshrrev_b64 v[14:15], v27, v[2:3]
	s_delay_alu instid0(VALU_DEP_1)
	v_mov_b64_e32 v[16:17], v[14:15]
	s_and_saveexec_b32 s77, s13
; %bb.3913:                             ;   in Loop: Header=BB6_2849 Depth=4
	v_bfe_u32 v2, v14, 20, 1
	s_delay_alu instid0(VALU_DEP_1) | instskip(NEXT) | instid1(VALU_DEP_1)
	v_add_nc_u64_e32 v[16:17], v[14:15], v[2:3]
	v_add_nc_u64_e32 v[16:17], -1, v[16:17]
; %bb.3914:                             ;   in Loop: Header=BB6_2849 Depth=4
	s_or_b32 exec_lo, exec_lo, s77
	v_add_nc_u32_e32 v0, 0xffffff81, v0
	v_lshrrev_b32_e32 v2, 23, v14
	s_mov_b32 s13, exec_lo
	s_delay_alu instid0(VALU_DEP_2) | instskip(NEXT) | instid1(VALU_DEP_1)
	v_cndmask_b32_e64 v0, v0, 0xffffff82, vcc_lo
	v_add3_u32 v17, v27, v0, v2
	v_and_b32_e32 v0, 0xfffff, v16
	s_delay_alu instid0(VALU_DEP_1) | instskip(NEXT) | instid1(VALU_DEP_1)
	v_dual_add_nc_u32 v16, 6, v17 :: v_dual_add_nc_u32 v2, v0, v14
                                        ; implicit-def: $vgpr14_vgpr15
                                        ; implicit-def: $vgpr0
	v_cmpx_ne_u32_e32 0, v16
	s_xor_b32 s13, exec_lo, s13
; %bb.3915:                             ;   in Loop: Header=BB6_2849 Depth=4
	s_delay_alu instid0(VALU_DEP_2) | instskip(SKIP_2) | instid1(VALU_DEP_2)
	v_cmp_lt_u64_e32 vcc_lo, 0xffffff, v[2:3]
	v_add_nc_u32_e32 v0, 7, v17
	v_cndmask_b32_e64 v14, 0, 1, vcc_lo
	v_cndmask_b32_e32 v0, v16, v0, vcc_lo
	s_delay_alu instid0(VALU_DEP_2)
	v_lshrrev_b64 v[14:15], v14, v[2:3]
; %bb.3916:                             ;   in Loop: Header=BB6_2849 Depth=4
	s_and_not1_saveexec_b32 s13, s13
; %bb.3917:                             ;   in Loop: Header=BB6_2849 Depth=4
	v_mov_b64_e32 v[14:15], v[2:3]
	v_bfe_u32 v0, v2, 23, 1
; %bb.3918:                             ;   in Loop: Header=BB6_2849 Depth=4
	s_or_b32 exec_lo, exec_lo, s13
	s_delay_alu instid0(VALU_DEP_2) | instskip(NEXT) | instid1(VALU_DEP_2)
	v_lshrrev_b64 v[14:15], 20, v[14:15]
	v_cmp_gt_i32_e32 vcc_lo, 16, v0
	v_cmp_ne_u32_e64 s13, 0, v0
                                        ; implicit-def: $vgpr27
	s_delay_alu instid0(VALU_DEP_3) | instskip(NEXT) | instid1(VALU_DEP_1)
	v_dual_cndmask_b32 v15, 0, v15 :: v_dual_cndmask_b32 v14, 7, v14
	v_cmp_ne_u64_e32 vcc_lo, 0, v[14:15]
	s_or_b32 s13, s13, vcc_lo
	s_delay_alu instid0(SALU_CYCLE_1) | instskip(NEXT) | instid1(SALU_CYCLE_1)
	s_and_saveexec_b32 s77, s13
	s_xor_b32 s13, exec_lo, s77
; %bb.3919:                             ;   in Loop: Header=BB6_2849 Depth=4
	v_min_i32_e32 v0, 15, v0
	s_delay_alu instid0(VALU_DEP_1) | instskip(NEXT) | instid1(VALU_DEP_1)
	v_lshl_or_b32 v0, v0, 3, v28
                                        ; implicit-def: $vgpr28
	v_and_or_b32 v27, v14, 7, v0
; %bb.3920:                             ;   in Loop: Header=BB6_2849 Depth=4
	s_and_not1_saveexec_b32 s13, s13
; %bb.3921:                             ;   in Loop: Header=BB6_2849 Depth=4
	v_mov_b32_e32 v27, v28
; %bb.3922:                             ;   in Loop: Header=BB6_2849 Depth=4
	s_or_b32 exec_lo, exec_lo, s13
.LBB6_3923:                             ;   in Loop: Header=BB6_2849 Depth=4
	s_delay_alu instid0(SALU_CYCLE_1)
	s_or_b32 exec_lo, exec_lo, s76
                                        ; implicit-def: $vgpr28
.LBB6_3924:                             ;   in Loop: Header=BB6_2849 Depth=4
	s_and_not1_saveexec_b32 s13, s75
; %bb.3925:                             ;   in Loop: Header=BB6_2849 Depth=4
	v_or_b32_e32 v27, 0x7e, v28
; %bb.3926:                             ;   in Loop: Header=BB6_2849 Depth=4
	s_or_b32 exec_lo, exec_lo, s13
                                        ; implicit-def: $vgpr14
.LBB6_3927:                             ;   in Loop: Header=BB6_2849 Depth=4
	s_and_not1_saveexec_b32 s13, s74
; %bb.3928:                             ;   in Loop: Header=BB6_2849 Depth=4
	v_or_b32_e32 v27, 0x7f, v14
; %bb.3929:                             ;   in Loop: Header=BB6_2849 Depth=4
	s_or_b32 exec_lo, exec_lo, s13
	v_and_b32_e32 v0, 0xff, v25
	v_dual_mov_b32 v14, 0 :: v_dual_mov_b32 v15, 0
	s_mov_b32 s13, exec_lo
	s_delay_alu instid0(VALU_DEP_2)
	v_cmpx_ne_u16_e32 0, v0
	s_cbranch_execz .LBB6_3937
; %bb.3930:                             ;   in Loop: Header=BB6_2849 Depth=4
	v_bfrev_b32_e32 v15, 1
	s_mov_b32 s74, exec_lo
	v_cmpx_ne_u16_e32 0x80, v0
	s_cbranch_execz .LBB6_3936
; %bb.3931:                             ;   in Loop: Header=BB6_2849 Depth=4
	v_and_b32_e32 v16, 0x7f, v25
	v_mov_b32_e32 v15, 0x7f800001
	s_mov_b32 s75, exec_lo
	s_delay_alu instid0(VALU_DEP_2)
	v_cmpx_ne_u32_e32 0x7f, v16
	s_cbranch_execz .LBB6_3935
; %bb.3932:                             ;   in Loop: Header=BB6_2849 Depth=4
	v_and_b32_e32 v2, 7, v0
	v_lshrrev_b32_e32 v0, 3, v16
	s_mov_b32 s76, exec_lo
	v_cmpx_gt_u32_e32 8, v16
; %bb.3933:                             ;   in Loop: Header=BB6_2849 Depth=4
	s_delay_alu instid0(VALU_DEP_3) | instskip(NEXT) | instid1(VALU_DEP_1)
	v_clz_i32_u32_e32 v0, v2
	v_min_u32_e32 v0, 32, v0
	s_delay_alu instid0(VALU_DEP_1) | instskip(SKIP_1) | instid1(VALU_DEP_2)
	v_subrev_nc_u32_e32 v15, 28, v0
	v_sub_nc_u32_e32 v0, 29, v0
	v_lshlrev_b64_e32 v[16:17], v15, v[2:3]
	s_delay_alu instid0(VALU_DEP_1)
	v_and_b32_e32 v2, 7, v16
; %bb.3934:                             ;   in Loop: Header=BB6_2849 Depth=4
	s_or_b32 exec_lo, exec_lo, s76
	s_delay_alu instid0(VALU_DEP_1) | instskip(SKIP_1) | instid1(VALU_DEP_2)
	v_dual_lshlrev_b32 v15, 24, v25 :: v_dual_lshlrev_b32 v2, 20, v2
	v_lshl_add_u32 v0, v0, 23, 0x3c000000
	v_and_b32_e32 v15, 0x80000000, v15
	s_delay_alu instid0(VALU_DEP_1)
	v_or3_b32 v15, v2, v15, v0
.LBB6_3935:                             ;   in Loop: Header=BB6_2849 Depth=4
	s_or_b32 exec_lo, exec_lo, s75
.LBB6_3936:                             ;   in Loop: Header=BB6_2849 Depth=4
	s_delay_alu instid0(SALU_CYCLE_1)
	s_or_b32 exec_lo, exec_lo, s74
.LBB6_3937:                             ;   in Loop: Header=BB6_2849 Depth=4
	s_delay_alu instid0(SALU_CYCLE_1) | instskip(SKIP_3) | instid1(VALU_DEP_1)
	s_or_b32 exec_lo, exec_lo, s13
	s_wait_loadcnt_dscnt 0x101
	v_and_b32_e32 v0, 0xff, v24
	s_mov_b32 s13, exec_lo
	v_cmpx_ne_u16_e32 0, v0
	s_cbranch_execz .LBB6_3945
; %bb.3938:                             ;   in Loop: Header=BB6_2849 Depth=4
	v_bfrev_b32_e32 v14, 1
	s_mov_b32 s74, exec_lo
	v_cmpx_ne_u16_e32 0x80, v0
	s_cbranch_execz .LBB6_3944
; %bb.3939:                             ;   in Loop: Header=BB6_2849 Depth=4
	v_and_b32_e32 v16, 0x7f, v24
	v_mov_b32_e32 v14, 0x7f800001
	s_mov_b32 s75, exec_lo
	s_delay_alu instid0(VALU_DEP_2)
	v_cmpx_ne_u32_e32 0x7f, v16
	s_cbranch_execz .LBB6_3943
; %bb.3940:                             ;   in Loop: Header=BB6_2849 Depth=4
	v_and_b32_e32 v2, 7, v0
	v_lshrrev_b32_e32 v0, 3, v16
	s_mov_b32 s76, exec_lo
	v_cmpx_gt_u32_e32 8, v16
; %bb.3941:                             ;   in Loop: Header=BB6_2849 Depth=4
	s_delay_alu instid0(VALU_DEP_3) | instskip(NEXT) | instid1(VALU_DEP_1)
	v_clz_i32_u32_e32 v0, v2
	v_min_u32_e32 v0, 32, v0
	s_delay_alu instid0(VALU_DEP_1) | instskip(SKIP_1) | instid1(VALU_DEP_2)
	v_subrev_nc_u32_e32 v14, 28, v0
	v_sub_nc_u32_e32 v0, 29, v0
	v_lshlrev_b64_e32 v[16:17], v14, v[2:3]
	s_delay_alu instid0(VALU_DEP_1)
	v_and_b32_e32 v2, 7, v16
; %bb.3942:                             ;   in Loop: Header=BB6_2849 Depth=4
	s_or_b32 exec_lo, exec_lo, s76
	s_delay_alu instid0(VALU_DEP_1) | instskip(SKIP_1) | instid1(VALU_DEP_2)
	v_dual_lshlrev_b32 v14, 24, v24 :: v_dual_lshlrev_b32 v2, 20, v2
	v_lshl_add_u32 v0, v0, 23, 0x3c000000
	v_and_b32_e32 v14, 0x80000000, v14
	s_delay_alu instid0(VALU_DEP_1)
	v_or3_b32 v14, v2, v14, v0
.LBB6_3943:                             ;   in Loop: Header=BB6_2849 Depth=4
	s_or_b32 exec_lo, exec_lo, s75
.LBB6_3944:                             ;   in Loop: Header=BB6_2849 Depth=4
	s_delay_alu instid0(SALU_CYCLE_1)
	s_or_b32 exec_lo, exec_lo, s74
.LBB6_3945:                             ;   in Loop: Header=BB6_2849 Depth=4
	s_delay_alu instid0(SALU_CYCLE_1) | instskip(NEXT) | instid1(VALU_DEP_1)
	s_or_b32 exec_lo, exec_lo, s13
	v_add_f32_e32 v0, v15, v14
                                        ; implicit-def: $vgpr24
	s_mov_b32 s13, exec_lo
	s_delay_alu instid0(VALU_DEP_1) | instskip(SKIP_1) | instid1(VALU_DEP_2)
	v_and_b32_e32 v2, 0x7f800000, v0
	v_lshrrev_b32_e32 v14, 24, v0
	v_cmpx_ne_u64_e32 0x7f800000, v[2:3]
	s_xor_b32 s74, exec_lo, s13
	s_cbranch_execz .LBB6_3963
; %bb.3946:                             ;   in Loop: Header=BB6_2849 Depth=4
	v_and_b32_e32 v2, 0x7fffffff, v0
	v_and_b32_e32 v25, 0x80, v14
                                        ; implicit-def: $vgpr24
	s_mov_b32 s13, exec_lo
	s_delay_alu instid0(VALU_DEP_2)
	v_cmpx_gt_u64_e32 0x43e00001, v[2:3]
	s_xor_b32 s75, exec_lo, s13
	s_cbranch_execz .LBB6_3960
; %bb.3947:                             ;   in Loop: Header=BB6_2849 Depth=4
	v_mov_b32_e32 v24, 0
	s_mov_b32 s76, exec_lo
	v_cmpx_ne_u32_e32 0, v0
	s_cbranch_execz .LBB6_3959
; %bb.3948:                             ;   in Loop: Header=BB6_2849 Depth=4
	v_and_b32_e32 v2, 0x7fffff, v0
	v_bfe_u32 v0, v0, 23, 8
	s_delay_alu instid0(VALU_DEP_2) | instskip(NEXT) | instid1(VALU_DEP_2)
	v_or_b32_e32 v15, 0x800000, v2
	v_cmp_gt_u32_e64 s13, 0x7a, v0
	v_sub_nc_u32_e32 v14, 0x79, v0
	v_cmp_eq_u32_e32 vcc_lo, 0, v0
	s_delay_alu instid0(VALU_DEP_2) | instskip(NEXT) | instid1(VALU_DEP_1)
	v_cndmask_b32_e64 v14, 0, v14, s13
	v_cndmask_b32_e64 v24, v14, 0x78, vcc_lo
	s_delay_alu instid0(VALU_DEP_1) | instskip(SKIP_1) | instid1(VALU_DEP_2)
	v_dual_cndmask_b32 v2, v15, v2, vcc_lo :: v_dual_add_nc_u32 v14, 20, v24
	v_add_nc_u32_e32 v16, 19, v24
	v_lshlrev_b64_e64 v[14:15], v14, -1
	s_delay_alu instid0(VALU_DEP_2) | instskip(NEXT) | instid1(VALU_DEP_2)
	v_lshlrev_b64_e64 v[16:17], v16, 1
	v_bfi_b32 v15, v15, 0, 0
	s_delay_alu instid0(VALU_DEP_3) | instskip(NEXT) | instid1(VALU_DEP_1)
	v_bfi_b32 v14, v14, 0, v2
	v_cmp_eq_u64_e64 s13, v[14:15], v[16:17]
	v_lshrrev_b64 v[14:15], v24, v[2:3]
	s_delay_alu instid0(VALU_DEP_1)
	v_mov_b64_e32 v[16:17], v[14:15]
	s_and_saveexec_b32 s77, s13
; %bb.3949:                             ;   in Loop: Header=BB6_2849 Depth=4
	v_bfe_u32 v2, v14, 20, 1
	s_delay_alu instid0(VALU_DEP_1) | instskip(NEXT) | instid1(VALU_DEP_1)
	v_add_nc_u64_e32 v[16:17], v[14:15], v[2:3]
	v_add_nc_u64_e32 v[16:17], -1, v[16:17]
; %bb.3950:                             ;   in Loop: Header=BB6_2849 Depth=4
	s_or_b32 exec_lo, exec_lo, s77
	v_add_nc_u32_e32 v0, 0xffffff81, v0
	v_lshrrev_b32_e32 v2, 23, v14
	s_mov_b32 s13, exec_lo
	s_delay_alu instid0(VALU_DEP_2) | instskip(NEXT) | instid1(VALU_DEP_1)
	v_cndmask_b32_e64 v0, v0, 0xffffff82, vcc_lo
	v_add3_u32 v17, v24, v0, v2
	v_and_b32_e32 v0, 0xfffff, v16
	s_delay_alu instid0(VALU_DEP_1) | instskip(NEXT) | instid1(VALU_DEP_1)
	v_dual_add_nc_u32 v16, 6, v17 :: v_dual_add_nc_u32 v2, v0, v14
                                        ; implicit-def: $vgpr14_vgpr15
                                        ; implicit-def: $vgpr0
	v_cmpx_ne_u32_e32 0, v16
	s_xor_b32 s13, exec_lo, s13
; %bb.3951:                             ;   in Loop: Header=BB6_2849 Depth=4
	s_delay_alu instid0(VALU_DEP_2) | instskip(SKIP_2) | instid1(VALU_DEP_2)
	v_cmp_lt_u64_e32 vcc_lo, 0xffffff, v[2:3]
	v_add_nc_u32_e32 v0, 7, v17
	v_cndmask_b32_e64 v14, 0, 1, vcc_lo
	v_cndmask_b32_e32 v0, v16, v0, vcc_lo
	s_delay_alu instid0(VALU_DEP_2)
	v_lshrrev_b64 v[14:15], v14, v[2:3]
; %bb.3952:                             ;   in Loop: Header=BB6_2849 Depth=4
	s_and_not1_saveexec_b32 s13, s13
; %bb.3953:                             ;   in Loop: Header=BB6_2849 Depth=4
	v_mov_b64_e32 v[14:15], v[2:3]
	v_bfe_u32 v0, v2, 23, 1
; %bb.3954:                             ;   in Loop: Header=BB6_2849 Depth=4
	s_or_b32 exec_lo, exec_lo, s13
	s_delay_alu instid0(VALU_DEP_2) | instskip(NEXT) | instid1(VALU_DEP_2)
	v_lshrrev_b64 v[14:15], 20, v[14:15]
	v_cmp_gt_i32_e32 vcc_lo, 16, v0
	v_cmp_ne_u32_e64 s13, 0, v0
                                        ; implicit-def: $vgpr24
	s_delay_alu instid0(VALU_DEP_3) | instskip(NEXT) | instid1(VALU_DEP_1)
	v_dual_cndmask_b32 v15, 0, v15 :: v_dual_cndmask_b32 v14, 7, v14
	v_cmp_ne_u64_e32 vcc_lo, 0, v[14:15]
	s_or_b32 s13, s13, vcc_lo
	s_delay_alu instid0(SALU_CYCLE_1) | instskip(NEXT) | instid1(SALU_CYCLE_1)
	s_and_saveexec_b32 s77, s13
	s_xor_b32 s13, exec_lo, s77
; %bb.3955:                             ;   in Loop: Header=BB6_2849 Depth=4
	v_min_i32_e32 v0, 15, v0
	s_delay_alu instid0(VALU_DEP_1) | instskip(NEXT) | instid1(VALU_DEP_1)
	v_lshl_or_b32 v0, v0, 3, v25
                                        ; implicit-def: $vgpr25
	v_and_or_b32 v24, v14, 7, v0
; %bb.3956:                             ;   in Loop: Header=BB6_2849 Depth=4
	s_and_not1_saveexec_b32 s13, s13
; %bb.3957:                             ;   in Loop: Header=BB6_2849 Depth=4
	v_mov_b32_e32 v24, v25
; %bb.3958:                             ;   in Loop: Header=BB6_2849 Depth=4
	s_or_b32 exec_lo, exec_lo, s13
.LBB6_3959:                             ;   in Loop: Header=BB6_2849 Depth=4
	s_delay_alu instid0(SALU_CYCLE_1)
	s_or_b32 exec_lo, exec_lo, s76
                                        ; implicit-def: $vgpr25
.LBB6_3960:                             ;   in Loop: Header=BB6_2849 Depth=4
	s_and_not1_saveexec_b32 s13, s75
; %bb.3961:                             ;   in Loop: Header=BB6_2849 Depth=4
	v_or_b32_e32 v24, 0x7e, v25
; %bb.3962:                             ;   in Loop: Header=BB6_2849 Depth=4
	s_or_b32 exec_lo, exec_lo, s13
                                        ; implicit-def: $vgpr14
.LBB6_3963:                             ;   in Loop: Header=BB6_2849 Depth=4
	s_and_not1_saveexec_b32 s13, s74
; %bb.3964:                             ;   in Loop: Header=BB6_2849 Depth=4
	v_or_b32_e32 v24, 0x7f, v14
; %bb.3965:                             ;   in Loop: Header=BB6_2849 Depth=4
	s_or_b32 exec_lo, exec_lo, s13
	v_and_b32_e32 v0, 0xff, v22
	v_dual_mov_b32 v14, 0 :: v_dual_mov_b32 v15, 0
	s_mov_b32 s13, exec_lo
	s_delay_alu instid0(VALU_DEP_2)
	v_cmpx_ne_u16_e32 0, v0
	s_cbranch_execz .LBB6_3973
; %bb.3966:                             ;   in Loop: Header=BB6_2849 Depth=4
	v_bfrev_b32_e32 v15, 1
	s_mov_b32 s74, exec_lo
	v_cmpx_ne_u16_e32 0x80, v0
	s_cbranch_execz .LBB6_3972
; %bb.3967:                             ;   in Loop: Header=BB6_2849 Depth=4
	v_and_b32_e32 v16, 0x7f, v22
	v_mov_b32_e32 v15, 0x7f800001
	s_mov_b32 s75, exec_lo
	s_delay_alu instid0(VALU_DEP_2)
	v_cmpx_ne_u32_e32 0x7f, v16
	s_cbranch_execz .LBB6_3971
; %bb.3968:                             ;   in Loop: Header=BB6_2849 Depth=4
	v_and_b32_e32 v2, 7, v0
	v_lshrrev_b32_e32 v0, 3, v16
	s_mov_b32 s76, exec_lo
	v_cmpx_gt_u32_e32 8, v16
; %bb.3969:                             ;   in Loop: Header=BB6_2849 Depth=4
	s_delay_alu instid0(VALU_DEP_3) | instskip(NEXT) | instid1(VALU_DEP_1)
	v_clz_i32_u32_e32 v0, v2
	v_min_u32_e32 v0, 32, v0
	s_delay_alu instid0(VALU_DEP_1) | instskip(SKIP_1) | instid1(VALU_DEP_2)
	v_subrev_nc_u32_e32 v15, 28, v0
	v_sub_nc_u32_e32 v0, 29, v0
	v_lshlrev_b64_e32 v[16:17], v15, v[2:3]
	s_delay_alu instid0(VALU_DEP_1)
	v_and_b32_e32 v2, 7, v16
; %bb.3970:                             ;   in Loop: Header=BB6_2849 Depth=4
	s_or_b32 exec_lo, exec_lo, s76
	v_lshlrev_b32_e32 v15, 24, v22
	s_delay_alu instid0(VALU_DEP_2) | instskip(SKIP_1) | instid1(VALU_DEP_3)
	v_lshlrev_b32_e32 v2, 20, v2
	v_lshl_add_u32 v0, v0, 23, 0x3c000000
	v_and_b32_e32 v15, 0x80000000, v15
	s_delay_alu instid0(VALU_DEP_1)
	v_or3_b32 v15, v2, v15, v0
.LBB6_3971:                             ;   in Loop: Header=BB6_2849 Depth=4
	s_or_b32 exec_lo, exec_lo, s75
.LBB6_3972:                             ;   in Loop: Header=BB6_2849 Depth=4
	s_delay_alu instid0(SALU_CYCLE_1)
	s_or_b32 exec_lo, exec_lo, s74
.LBB6_3973:                             ;   in Loop: Header=BB6_2849 Depth=4
	s_delay_alu instid0(SALU_CYCLE_1) | instskip(SKIP_3) | instid1(VALU_DEP_1)
	s_or_b32 exec_lo, exec_lo, s13
	s_wait_loadcnt_dscnt 0x0
	v_and_b32_e32 v0, 0xff, v21
	s_mov_b32 s13, exec_lo
	v_cmpx_ne_u16_e32 0, v0
	s_cbranch_execz .LBB6_3981
; %bb.3974:                             ;   in Loop: Header=BB6_2849 Depth=4
	v_bfrev_b32_e32 v14, 1
	s_mov_b32 s74, exec_lo
	v_cmpx_ne_u16_e32 0x80, v0
	s_cbranch_execz .LBB6_3980
; %bb.3975:                             ;   in Loop: Header=BB6_2849 Depth=4
	v_and_b32_e32 v16, 0x7f, v21
	v_mov_b32_e32 v14, 0x7f800001
	s_mov_b32 s75, exec_lo
	s_delay_alu instid0(VALU_DEP_2)
	v_cmpx_ne_u32_e32 0x7f, v16
	s_cbranch_execz .LBB6_3979
; %bb.3976:                             ;   in Loop: Header=BB6_2849 Depth=4
	v_and_b32_e32 v2, 7, v0
	v_lshrrev_b32_e32 v0, 3, v16
	s_mov_b32 s76, exec_lo
	v_cmpx_gt_u32_e32 8, v16
; %bb.3977:                             ;   in Loop: Header=BB6_2849 Depth=4
	s_delay_alu instid0(VALU_DEP_3) | instskip(NEXT) | instid1(VALU_DEP_1)
	v_clz_i32_u32_e32 v0, v2
	v_min_u32_e32 v0, 32, v0
	s_delay_alu instid0(VALU_DEP_1) | instskip(SKIP_1) | instid1(VALU_DEP_2)
	v_subrev_nc_u32_e32 v14, 28, v0
	v_sub_nc_u32_e32 v0, 29, v0
	v_lshlrev_b64_e32 v[16:17], v14, v[2:3]
	s_delay_alu instid0(VALU_DEP_1)
	v_and_b32_e32 v2, 7, v16
; %bb.3978:                             ;   in Loop: Header=BB6_2849 Depth=4
	s_or_b32 exec_lo, exec_lo, s76
	s_delay_alu instid0(VALU_DEP_1) | instskip(SKIP_1) | instid1(VALU_DEP_2)
	v_dual_lshlrev_b32 v14, 24, v21 :: v_dual_lshlrev_b32 v2, 20, v2
	v_lshl_add_u32 v0, v0, 23, 0x3c000000
	v_and_b32_e32 v14, 0x80000000, v14
	s_delay_alu instid0(VALU_DEP_1)
	v_or3_b32 v14, v2, v14, v0
.LBB6_3979:                             ;   in Loop: Header=BB6_2849 Depth=4
	s_or_b32 exec_lo, exec_lo, s75
.LBB6_3980:                             ;   in Loop: Header=BB6_2849 Depth=4
	s_delay_alu instid0(SALU_CYCLE_1)
	s_or_b32 exec_lo, exec_lo, s74
.LBB6_3981:                             ;   in Loop: Header=BB6_2849 Depth=4
	s_delay_alu instid0(SALU_CYCLE_1) | instskip(NEXT) | instid1(VALU_DEP_1)
	s_or_b32 exec_lo, exec_lo, s13
	v_add_f32_e32 v0, v15, v14
	s_delay_alu instid0(VALU_DEP_1) | instskip(SKIP_1) | instid1(VALU_DEP_2)
	v_and_b32_e32 v2, 0x7f800000, v0
	v_lshrrev_b32_e32 v14, 24, v0
	v_cmp_ne_u64_e32 vcc_lo, 0x7f800000, v[2:3]
                                        ; implicit-def: $vgpr2
	s_and_saveexec_b32 s13, vcc_lo
	s_delay_alu instid0(SALU_CYCLE_1)
	s_xor_b32 s74, exec_lo, s13
	s_cbranch_execz .LBB6_3999
; %bb.3982:                             ;   in Loop: Header=BB6_2849 Depth=4
	v_and_b32_e32 v2, 0x7fffffff, v0
	v_and_b32_e32 v21, 0x80, v14
	s_delay_alu instid0(VALU_DEP_2) | instskip(SKIP_1) | instid1(SALU_CYCLE_1)
	v_cmp_gt_u64_e32 vcc_lo, 0x43e00001, v[2:3]
                                        ; implicit-def: $vgpr2
	s_and_saveexec_b32 s13, vcc_lo
	s_xor_b32 s75, exec_lo, s13
	s_cbranch_execz .LBB6_3996
; %bb.3983:                             ;   in Loop: Header=BB6_2849 Depth=4
	v_mov_b32_e32 v2, 0
	s_mov_b32 s76, exec_lo
	v_cmpx_ne_u32_e32 0, v0
	s_cbranch_execz .LBB6_3995
; %bb.3984:                             ;   in Loop: Header=BB6_2849 Depth=4
	v_and_b32_e32 v2, 0x7fffff, v0
	v_bfe_u32 v0, v0, 23, 8
	s_delay_alu instid0(VALU_DEP_2) | instskip(NEXT) | instid1(VALU_DEP_2)
	v_or_b32_e32 v15, 0x800000, v2
	v_cmp_gt_u32_e64 s13, 0x7a, v0
	v_sub_nc_u32_e32 v14, 0x79, v0
	v_cmp_eq_u32_e32 vcc_lo, 0, v0
	s_delay_alu instid0(VALU_DEP_2) | instskip(SKIP_1) | instid1(VALU_DEP_2)
	v_cndmask_b32_e64 v14, 0, v14, s13
	v_cndmask_b32_e32 v2, v15, v2, vcc_lo
	v_cndmask_b32_e64 v22, v14, 0x78, vcc_lo
	s_delay_alu instid0(VALU_DEP_1) | instskip(NEXT) | instid1(VALU_DEP_1)
	v_dual_add_nc_u32 v14, 20, v22 :: v_dual_add_nc_u32 v16, 19, v22
	v_lshlrev_b64_e64 v[14:15], v14, -1
	s_delay_alu instid0(VALU_DEP_2) | instskip(NEXT) | instid1(VALU_DEP_2)
	v_lshlrev_b64_e64 v[16:17], v16, 1
	v_bfi_b32 v15, v15, 0, 0
	s_delay_alu instid0(VALU_DEP_3) | instskip(NEXT) | instid1(VALU_DEP_1)
	v_bfi_b32 v14, v14, 0, v2
	v_cmp_eq_u64_e64 s13, v[14:15], v[16:17]
	v_lshrrev_b64 v[14:15], v22, v[2:3]
	s_delay_alu instid0(VALU_DEP_1)
	v_mov_b64_e32 v[16:17], v[14:15]
	s_and_saveexec_b32 s77, s13
; %bb.3985:                             ;   in Loop: Header=BB6_2849 Depth=4
	v_bfe_u32 v2, v14, 20, 1
	s_delay_alu instid0(VALU_DEP_1) | instskip(NEXT) | instid1(VALU_DEP_1)
	v_add_nc_u64_e32 v[16:17], v[14:15], v[2:3]
	v_add_nc_u64_e32 v[16:17], -1, v[16:17]
; %bb.3986:                             ;   in Loop: Header=BB6_2849 Depth=4
	s_or_b32 exec_lo, exec_lo, s77
	v_add_nc_u32_e32 v0, 0xffffff81, v0
	v_lshrrev_b32_e32 v2, 23, v14
	s_mov_b32 s13, exec_lo
	s_delay_alu instid0(VALU_DEP_2) | instskip(NEXT) | instid1(VALU_DEP_1)
	v_cndmask_b32_e64 v0, v0, 0xffffff82, vcc_lo
	v_add3_u32 v17, v22, v0, v2
	v_and_b32_e32 v0, 0xfffff, v16
	s_delay_alu instid0(VALU_DEP_1) | instskip(NEXT) | instid1(VALU_DEP_1)
	v_dual_add_nc_u32 v16, 6, v17 :: v_dual_add_nc_u32 v2, v0, v14
                                        ; implicit-def: $vgpr14_vgpr15
                                        ; implicit-def: $vgpr0
	v_cmpx_ne_u32_e32 0, v16
	s_xor_b32 s13, exec_lo, s13
; %bb.3987:                             ;   in Loop: Header=BB6_2849 Depth=4
	s_delay_alu instid0(VALU_DEP_2) | instskip(SKIP_2) | instid1(VALU_DEP_2)
	v_cmp_lt_u64_e32 vcc_lo, 0xffffff, v[2:3]
	v_add_nc_u32_e32 v0, 7, v17
	v_cndmask_b32_e64 v14, 0, 1, vcc_lo
	v_cndmask_b32_e32 v0, v16, v0, vcc_lo
	s_delay_alu instid0(VALU_DEP_2)
	v_lshrrev_b64 v[14:15], v14, v[2:3]
; %bb.3988:                             ;   in Loop: Header=BB6_2849 Depth=4
	s_and_not1_saveexec_b32 s13, s13
; %bb.3989:                             ;   in Loop: Header=BB6_2849 Depth=4
	v_mov_b64_e32 v[14:15], v[2:3]
	v_bfe_u32 v0, v2, 23, 1
; %bb.3990:                             ;   in Loop: Header=BB6_2849 Depth=4
	s_or_b32 exec_lo, exec_lo, s13
	s_delay_alu instid0(VALU_DEP_2) | instskip(NEXT) | instid1(VALU_DEP_2)
	v_lshrrev_b64 v[14:15], 20, v[14:15]
	v_cmp_gt_i32_e32 vcc_lo, 16, v0
	v_cmp_ne_u32_e64 s13, 0, v0
                                        ; implicit-def: $vgpr2
	s_delay_alu instid0(VALU_DEP_3) | instskip(NEXT) | instid1(VALU_DEP_1)
	v_dual_cndmask_b32 v15, 0, v15 :: v_dual_cndmask_b32 v14, 7, v14
	v_cmp_ne_u64_e32 vcc_lo, 0, v[14:15]
	s_or_b32 s13, s13, vcc_lo
	s_delay_alu instid0(SALU_CYCLE_1) | instskip(NEXT) | instid1(SALU_CYCLE_1)
	s_and_saveexec_b32 s77, s13
	s_xor_b32 s13, exec_lo, s77
; %bb.3991:                             ;   in Loop: Header=BB6_2849 Depth=4
	v_min_i32_e32 v0, 15, v0
	s_delay_alu instid0(VALU_DEP_1) | instskip(NEXT) | instid1(VALU_DEP_1)
	v_lshl_or_b32 v0, v0, 3, v21
                                        ; implicit-def: $vgpr21
	v_and_or_b32 v2, v14, 7, v0
; %bb.3992:                             ;   in Loop: Header=BB6_2849 Depth=4
	s_and_not1_saveexec_b32 s13, s13
; %bb.3993:                             ;   in Loop: Header=BB6_2849 Depth=4
	v_mov_b32_e32 v2, v21
; %bb.3994:                             ;   in Loop: Header=BB6_2849 Depth=4
	s_or_b32 exec_lo, exec_lo, s13
.LBB6_3995:                             ;   in Loop: Header=BB6_2849 Depth=4
	s_delay_alu instid0(SALU_CYCLE_1)
	s_or_b32 exec_lo, exec_lo, s76
                                        ; implicit-def: $vgpr21
.LBB6_3996:                             ;   in Loop: Header=BB6_2849 Depth=4
	s_and_not1_saveexec_b32 s13, s75
; %bb.3997:                             ;   in Loop: Header=BB6_2849 Depth=4
	v_or_b32_e32 v2, 0x7e, v21
; %bb.3998:                             ;   in Loop: Header=BB6_2849 Depth=4
	s_or_b32 exec_lo, exec_lo, s13
                                        ; implicit-def: $vgpr14
.LBB6_3999:                             ;   in Loop: Header=BB6_2849 Depth=4
	s_and_not1_saveexec_b32 s13, s74
	s_cbranch_execz .LBB6_2848
; %bb.4000:                             ;   in Loop: Header=BB6_2849 Depth=4
	v_or_b32_e32 v2, 0x7f, v14
	s_branch .LBB6_2848
.LBB6_4001:                             ;   in Loop: Header=BB6_274 Depth=3
	s_or_b32 exec_lo, exec_lo, s73
	s_clause 0x1
	scratch_load_b32 v42, off, s33 offset:212
	scratch_load_b32 v95, off, s33 offset:216
	v_dual_mov_b32 v43, 1 :: v_dual_mov_b32 v94, 0x90
.LBB6_4002:                             ;   in Loop: Header=BB6_274 Depth=3
	s_wait_xcnt 0x0
	s_or_b32 exec_lo, exec_lo, s15
	v_lshlrev_b32_e32 v0, 10, v20
	s_delay_alu instid0(VALU_DEP_1)
	v_cmp_ne_u32_e32 vcc_lo, v4, v0
	s_and_b32 exec_lo, exec_lo, vcc_lo
	s_cbranch_execz .LBB6_4042
; %bb.4003:                             ;   in Loop: Header=BB6_274 Depth=3
	v_add_nc_u32_e32 v2, v5, v19
	s_delay_alu instid0(VALU_DEP_1) | instskip(NEXT) | instid1(VALU_DEP_1)
	v_and_b32_e32 v2, 0xffffffe0, v2
	v_sub_nc_u32_e32 v2, v5, v2
	v_lshlrev_b32_e32 v5, 5, v18
	s_delay_alu instid0(VALU_DEP_1) | instskip(NEXT) | instid1(VALU_DEP_1)
	v_sub_nc_u32_e32 v2, v2, v5
	v_add_nc_u32_e32 v0, v0, v2
	s_delay_alu instid0(VALU_DEP_1) | instskip(NEXT) | instid1(VALU_DEP_1)
	v_sub_nc_u32_e32 v4, v4, v0
	v_cmp_lt_i32_e32 vcc_lo, 0, v4
	s_and_b32 exec_lo, exec_lo, vcc_lo
	s_cbranch_execz .LBB6_4042
; %bb.4004:                             ;   in Loop: Header=BB6_274 Depth=3
	s_trap 2
	ds_load_b128 v[8:11], v0
	ds_load_b64 v[12:13], v0
	v_add_nc_u32_e32 v0, v0, v1
	s_mov_b32 s15, 0
	s_delay_alu instid0(VALU_DEP_1) | instskip(SKIP_1) | instid1(VALU_DEP_1)
	v_ashrrev_i32_e32 v1, 31, v0
	s_wait_dscnt 0x1
	v_add_nc_u64_e32 v[8:9], v[8:9], v[0:1]
	v_add_nc_u64_e32 v[10:11], v[10:11], v[0:1]
	s_wait_dscnt 0x0
	v_add_nc_u64_e32 v[12:13], v[12:13], v[0:1]
	s_branch .LBB6_4006
.LBB6_4005:                             ;   in Loop: Header=BB6_4006 Depth=4
	s_or_b32 exec_lo, exec_lo, s13
	v_sub_nc_u32_e32 v4, v4, v86
	flat_store_b8 v[12:13], v2 th:TH_STORE_NT
	v_add_nc_u64_e32 v[8:9], v[8:9], v[86:87]
	v_add_nc_u64_e32 v[10:11], v[10:11], v[86:87]
	s_wait_xcnt 0x0
	v_add_nc_u64_e32 v[12:13], v[12:13], v[86:87]
	v_cmp_gt_i32_e32 vcc_lo, 1, v4
	s_or_b32 s15, vcc_lo, s15
	s_delay_alu instid0(SALU_CYCLE_1)
	s_and_not1_b32 exec_lo, exec_lo, s15
	s_cbranch_execz .LBB6_4042
.LBB6_4006:                             ;   Parent Loop BB6_47 Depth=1
                                        ;     Parent Loop BB6_271 Depth=2
                                        ;       Parent Loop BB6_274 Depth=3
                                        ; =>      This Inner Loop Header: Depth=4
	flat_load_u8 v0, v[8:9] th:TH_LOAD_NT
	flat_load_u8 v1, v[10:11] th:TH_LOAD_NT
	v_dual_mov_b32 v5, 0 :: v_dual_mov_b32 v14, 0
	s_mov_b32 s13, exec_lo
	s_wait_loadcnt_dscnt 0x101
	s_wait_xcnt 0x0
	v_cmpx_ne_u16_e32 0, v0
	s_cbranch_execz .LBB6_4014
; %bb.4007:                             ;   in Loop: Header=BB6_4006 Depth=4
	v_bfrev_b32_e32 v14, 1
	s_mov_b32 s73, exec_lo
	v_cmpx_ne_u16_e32 0x80, v0
	s_cbranch_execz .LBB6_4013
; %bb.4008:                             ;   in Loop: Header=BB6_4006 Depth=4
	v_and_b32_e32 v2, 0xffff, v0
	v_mov_b32_e32 v14, 0x7f800001
	s_mov_b32 s74, exec_lo
	s_delay_alu instid0(VALU_DEP_2) | instskip(NEXT) | instid1(VALU_DEP_1)
	v_and_b32_e32 v15, 0x7f, v2
	v_cmpx_ne_u32_e32 0x7f, v15
	s_cbranch_execz .LBB6_4012
; %bb.4009:                             ;   in Loop: Header=BB6_4006 Depth=4
	v_dual_lshrrev_b32 v14, 3, v15 :: v_dual_bitop2_b32 v2, 7, v2 bitop3:0x40
	s_mov_b32 s75, exec_lo
	v_cmpx_gt_u32_e32 8, v15
; %bb.4010:                             ;   in Loop: Header=BB6_4006 Depth=4
	s_delay_alu instid0(VALU_DEP_2) | instskip(NEXT) | instid1(VALU_DEP_1)
	v_clz_i32_u32_e32 v14, v2
	v_min_u32_e32 v14, 32, v14
	s_delay_alu instid0(VALU_DEP_1) | instskip(NEXT) | instid1(VALU_DEP_1)
	v_subrev_nc_u32_e32 v15, 28, v14
	v_lshlrev_b64_e32 v[16:17], v15, v[2:3]
	s_delay_alu instid0(VALU_DEP_1)
	v_dual_sub_nc_u32 v14, 29, v14 :: v_dual_bitop2_b32 v2, 7, v16 bitop3:0x40
; %bb.4011:                             ;   in Loop: Header=BB6_4006 Depth=4
	s_or_b32 exec_lo, exec_lo, s75
	s_delay_alu instid0(VALU_DEP_1) | instskip(NEXT) | instid1(VALU_DEP_2)
	v_dual_lshlrev_b32 v0, 24, v0 :: v_dual_lshlrev_b32 v2, 20, v2
	v_lshl_add_u32 v14, v14, 23, 0x3c000000
	s_delay_alu instid0(VALU_DEP_2) | instskip(NEXT) | instid1(VALU_DEP_1)
	v_and_b32_e32 v0, 0x80000000, v0
	v_or3_b32 v14, v2, v0, v14
.LBB6_4012:                             ;   in Loop: Header=BB6_4006 Depth=4
	s_or_b32 exec_lo, exec_lo, s74
.LBB6_4013:                             ;   in Loop: Header=BB6_4006 Depth=4
	s_delay_alu instid0(SALU_CYCLE_1)
	s_or_b32 exec_lo, exec_lo, s73
.LBB6_4014:                             ;   in Loop: Header=BB6_4006 Depth=4
	s_delay_alu instid0(SALU_CYCLE_1) | instskip(SKIP_3) | instid1(VALU_DEP_1)
	s_or_b32 exec_lo, exec_lo, s13
	s_wait_loadcnt_dscnt 0x0
	v_and_b32_e32 v0, 0xff, v1
	s_mov_b32 s13, exec_lo
	v_cmpx_ne_u16_e32 0, v0
	s_cbranch_execz .LBB6_4022
; %bb.4015:                             ;   in Loop: Header=BB6_4006 Depth=4
	v_bfrev_b32_e32 v5, 1
	s_mov_b32 s73, exec_lo
	v_cmpx_ne_u16_e32 0x80, v0
	s_cbranch_execz .LBB6_4021
; %bb.4016:                             ;   in Loop: Header=BB6_4006 Depth=4
	v_and_b32_e32 v15, 0x7f, v1
	v_mov_b32_e32 v5, 0x7f800001
	s_mov_b32 s74, exec_lo
	s_delay_alu instid0(VALU_DEP_2)
	v_cmpx_ne_u32_e32 0x7f, v15
	s_cbranch_execz .LBB6_4020
; %bb.4017:                             ;   in Loop: Header=BB6_4006 Depth=4
	v_dual_lshrrev_b32 v0, 3, v15 :: v_dual_bitop2_b32 v2, 7, v0 bitop3:0x40
	s_mov_b32 s75, exec_lo
	v_cmpx_gt_u32_e32 8, v15
; %bb.4018:                             ;   in Loop: Header=BB6_4006 Depth=4
	s_delay_alu instid0(VALU_DEP_2) | instskip(NEXT) | instid1(VALU_DEP_1)
	v_clz_i32_u32_e32 v0, v2
	v_min_u32_e32 v0, 32, v0
	s_delay_alu instid0(VALU_DEP_1) | instskip(SKIP_1) | instid1(VALU_DEP_2)
	v_subrev_nc_u32_e32 v5, 28, v0
	v_sub_nc_u32_e32 v0, 29, v0
	v_lshlrev_b64_e32 v[16:17], v5, v[2:3]
	s_delay_alu instid0(VALU_DEP_1)
	v_and_b32_e32 v2, 7, v16
; %bb.4019:                             ;   in Loop: Header=BB6_4006 Depth=4
	s_or_b32 exec_lo, exec_lo, s75
	s_delay_alu instid0(VALU_DEP_1) | instskip(SKIP_1) | instid1(VALU_DEP_2)
	v_dual_lshlrev_b32 v1, 24, v1 :: v_dual_lshlrev_b32 v2, 20, v2
	v_lshl_add_u32 v0, v0, 23, 0x3c000000
	v_and_b32_e32 v1, 0x80000000, v1
	s_delay_alu instid0(VALU_DEP_1)
	v_or3_b32 v5, v2, v1, v0
.LBB6_4020:                             ;   in Loop: Header=BB6_4006 Depth=4
	s_or_b32 exec_lo, exec_lo, s74
.LBB6_4021:                             ;   in Loop: Header=BB6_4006 Depth=4
	s_delay_alu instid0(SALU_CYCLE_1)
	s_or_b32 exec_lo, exec_lo, s73
.LBB6_4022:                             ;   in Loop: Header=BB6_4006 Depth=4
	s_delay_alu instid0(SALU_CYCLE_1) | instskip(NEXT) | instid1(VALU_DEP_1)
	s_or_b32 exec_lo, exec_lo, s13
	v_add_f32_e32 v0, v14, v5
	s_delay_alu instid0(VALU_DEP_1) | instskip(NEXT) | instid1(VALU_DEP_1)
	v_and_b32_e32 v2, 0x7f800000, v0
	v_cmp_ne_u64_e32 vcc_lo, 0x7f800000, v[2:3]
                                        ; implicit-def: $vgpr2
	s_and_saveexec_b32 s13, vcc_lo
	s_delay_alu instid0(SALU_CYCLE_1)
	s_xor_b32 s73, exec_lo, s13
	s_cbranch_execz .LBB6_4040
; %bb.4023:                             ;   in Loop: Header=BB6_4006 Depth=4
	v_and_b32_e32 v2, 0x7fffffff, v0
	v_lshrrev_b32_e32 v1, 24, v0
	s_delay_alu instid0(VALU_DEP_2) | instskip(NEXT) | instid1(VALU_DEP_2)
	v_cmp_gt_u64_e32 vcc_lo, 0x43e00001, v[2:3]
	v_and_b32_e32 v1, 0x80, v1
                                        ; implicit-def: $vgpr2
	s_and_saveexec_b32 s13, vcc_lo
	s_delay_alu instid0(SALU_CYCLE_1)
	s_xor_b32 s74, exec_lo, s13
	s_cbranch_execz .LBB6_4037
; %bb.4024:                             ;   in Loop: Header=BB6_4006 Depth=4
	v_mov_b32_e32 v2, 0
	s_mov_b32 s75, exec_lo
	v_cmpx_ne_u32_e32 0, v0
	s_cbranch_execz .LBB6_4036
; %bb.4025:                             ;   in Loop: Header=BB6_4006 Depth=4
	v_bfe_u32 v5, v0, 23, 8
	v_and_b32_e32 v0, 0x7fffff, v0
	s_delay_alu instid0(VALU_DEP_2) | instskip(SKIP_1) | instid1(VALU_DEP_3)
	v_sub_nc_u32_e32 v2, 0x79, v5
	v_cmp_gt_u32_e32 vcc_lo, 0x7a, v5
	v_or_b32_e32 v16, 0x800000, v0
	s_delay_alu instid0(VALU_DEP_3) | instskip(SKIP_1) | instid1(VALU_DEP_2)
	v_cndmask_b32_e32 v2, 0, v2, vcc_lo
	v_cmp_eq_u32_e32 vcc_lo, 0, v5
	v_cndmask_b32_e64 v18, v2, 0x78, vcc_lo
	s_delay_alu instid0(VALU_DEP_1) | instskip(NEXT) | instid1(VALU_DEP_1)
	v_dual_add_nc_u32 v2, 20, v18 :: v_dual_add_nc_u32 v17, 19, v18
	v_lshlrev_b64_e64 v[14:15], v2, -1
	v_cndmask_b32_e32 v2, v16, v0, vcc_lo
	s_delay_alu instid0(VALU_DEP_3) | instskip(NEXT) | instid1(VALU_DEP_3)
	v_lshlrev_b64_e64 v[16:17], v17, 1
	v_bfi_b32 v21, v15, 0, 0
	s_delay_alu instid0(VALU_DEP_3) | instskip(SKIP_1) | instid1(VALU_DEP_2)
	v_bfi_b32 v20, v14, 0, v2
	v_lshrrev_b64 v[14:15], v18, v[2:3]
	v_cmp_eq_u64_e64 s13, v[20:21], v[16:17]
	s_delay_alu instid0(VALU_DEP_2)
	v_mov_b64_e32 v[16:17], v[14:15]
	s_and_saveexec_b32 s76, s13
; %bb.4026:                             ;   in Loop: Header=BB6_4006 Depth=4
	v_bfe_u32 v2, v14, 20, 1
	s_delay_alu instid0(VALU_DEP_1) | instskip(NEXT) | instid1(VALU_DEP_1)
	v_add_nc_u64_e32 v[16:17], v[14:15], v[2:3]
	v_add_nc_u64_e32 v[16:17], -1, v[16:17]
; %bb.4027:                             ;   in Loop: Header=BB6_4006 Depth=4
	s_or_b32 exec_lo, exec_lo, s76
	v_add_nc_u32_e32 v0, 0xffffff81, v5
	v_lshrrev_b32_e32 v2, 23, v14
	s_mov_b32 s13, exec_lo
	s_delay_alu instid0(VALU_DEP_2) | instskip(NEXT) | instid1(VALU_DEP_1)
	v_cndmask_b32_e64 v0, v0, 0xffffff82, vcc_lo
	v_add3_u32 v5, v18, v0, v2
	v_and_b32_e32 v0, 0xfffff, v16
	s_delay_alu instid0(VALU_DEP_1) | instskip(NEXT) | instid1(VALU_DEP_1)
	v_dual_add_nc_u32 v16, 6, v5 :: v_dual_add_nc_u32 v2, v0, v14
                                        ; implicit-def: $vgpr14_vgpr15
                                        ; implicit-def: $vgpr0
	v_cmpx_ne_u32_e32 0, v16
	s_xor_b32 s13, exec_lo, s13
; %bb.4028:                             ;   in Loop: Header=BB6_4006 Depth=4
	s_delay_alu instid0(VALU_DEP_2) | instskip(SKIP_2) | instid1(VALU_DEP_2)
	v_cmp_lt_u64_e32 vcc_lo, 0xffffff, v[2:3]
	v_add_nc_u32_e32 v0, 7, v5
	v_cndmask_b32_e64 v5, 0, 1, vcc_lo
	v_cndmask_b32_e32 v0, v16, v0, vcc_lo
	s_delay_alu instid0(VALU_DEP_2)
	v_lshrrev_b64 v[14:15], v5, v[2:3]
; %bb.4029:                             ;   in Loop: Header=BB6_4006 Depth=4
	s_and_not1_saveexec_b32 s13, s13
; %bb.4030:                             ;   in Loop: Header=BB6_4006 Depth=4
	v_mov_b64_e32 v[14:15], v[2:3]
	v_bfe_u32 v0, v2, 23, 1
; %bb.4031:                             ;   in Loop: Header=BB6_4006 Depth=4
	s_or_b32 exec_lo, exec_lo, s13
	s_delay_alu instid0(VALU_DEP_2) | instskip(NEXT) | instid1(VALU_DEP_2)
	v_lshrrev_b64 v[14:15], 20, v[14:15]
	v_cmp_gt_i32_e32 vcc_lo, 16, v0
	v_cmp_ne_u32_e64 s13, 0, v0
                                        ; implicit-def: $vgpr2
	s_delay_alu instid0(VALU_DEP_3) | instskip(NEXT) | instid1(VALU_DEP_1)
	v_dual_cndmask_b32 v15, 0, v15 :: v_dual_cndmask_b32 v14, 7, v14
	v_cmp_ne_u64_e32 vcc_lo, 0, v[14:15]
	s_or_b32 s13, s13, vcc_lo
	s_delay_alu instid0(SALU_CYCLE_1) | instskip(NEXT) | instid1(SALU_CYCLE_1)
	s_and_saveexec_b32 s76, s13
	s_xor_b32 s13, exec_lo, s76
; %bb.4032:                             ;   in Loop: Header=BB6_4006 Depth=4
	v_min_i32_e32 v0, 15, v0
	s_delay_alu instid0(VALU_DEP_1) | instskip(NEXT) | instid1(VALU_DEP_1)
	v_lshl_or_b32 v0, v0, 3, v1
                                        ; implicit-def: $vgpr1
	v_and_or_b32 v2, v14, 7, v0
; %bb.4033:                             ;   in Loop: Header=BB6_4006 Depth=4
	s_and_not1_saveexec_b32 s13, s13
; %bb.4034:                             ;   in Loop: Header=BB6_4006 Depth=4
	v_mov_b32_e32 v2, v1
; %bb.4035:                             ;   in Loop: Header=BB6_4006 Depth=4
	s_or_b32 exec_lo, exec_lo, s13
.LBB6_4036:                             ;   in Loop: Header=BB6_4006 Depth=4
	s_delay_alu instid0(SALU_CYCLE_1)
	s_or_b32 exec_lo, exec_lo, s75
                                        ; implicit-def: $vgpr1
.LBB6_4037:                             ;   in Loop: Header=BB6_4006 Depth=4
	s_and_not1_saveexec_b32 s13, s74
; %bb.4038:                             ;   in Loop: Header=BB6_4006 Depth=4
	v_or_b32_e32 v2, 0x7e, v1
; %bb.4039:                             ;   in Loop: Header=BB6_4006 Depth=4
	s_or_b32 exec_lo, exec_lo, s13
                                        ; implicit-def: $vgpr0
.LBB6_4040:                             ;   in Loop: Header=BB6_4006 Depth=4
	s_and_not1_saveexec_b32 s13, s73
	s_cbranch_execz .LBB6_4005
; %bb.4041:                             ;   in Loop: Header=BB6_4006 Depth=4
	v_lshrrev_b32_e32 v0, 24, v0
	s_delay_alu instid0(VALU_DEP_1)
	v_or_b32_e32 v2, 0x7f, v0
	s_branch .LBB6_4005
.LBB6_4042:                             ;   in Loop: Header=BB6_274 Depth=3
	s_or_b32 exec_lo, exec_lo, s14
	v_cmp_lt_i32_e64 s13, 0, v75
	s_and_saveexec_b32 s14, s2
	s_cbranch_execz .LBB6_349
.LBB6_4043:                             ;   in Loop: Header=BB6_274 Depth=3
	s_and_saveexec_b32 s15, s3
	s_delay_alu instid0(SALU_CYCLE_1)
	s_xor_b32 s15, exec_lo, s15
	s_cbranch_execz .LBB6_4058
; %bb.4044:                             ;   in Loop: Header=BB6_274 Depth=3
	s_and_saveexec_b32 s73, s6
	s_cbranch_execz .LBB6_4057
; %bb.4045:                             ;   in Loop: Header=BB6_274 Depth=3
	s_mov_b32 s75, exec_lo
	s_mov_b32 s74, exec_lo
	v_mbcnt_lo_u32_b32 v0, s75, 0
	global_wb scope:SCOPE_DEV
	s_wait_storecnt 0x0
	s_wait_loadcnt_dscnt 0x0
	global_inv scope:SCOPE_DEV
	v_cmpx_eq_u32_e32 0, v0
	s_cbranch_execz .LBB6_4047
; %bb.4046:                             ;   in Loop: Header=BB6_274 Depth=3
	s_bcnt1_i32_b32 s75, s75
	s_delay_alu instid0(SALU_CYCLE_1)
	v_mov_b32_e32 v2, s75
	s_wait_loadcnt 0x0
	ds_add_u64 v0, v[2:3]
	s_trap 2
.LBB6_4047:                             ;   in Loop: Header=BB6_274 Depth=3
	s_or_b32 exec_lo, exec_lo, s74
	s_trap 2
	ds_load_b64 v[0:1], v0
	s_wait_dscnt 0x0
	v_add_nc_u64_e32 v[80:81], v[80:81], v[84:85]
	s_mov_b32 s74, exec_lo
	s_delay_alu instid0(VALU_DEP_1)
	v_cmpx_lt_u64_e64 v[0:1], v[80:81]
	s_cbranch_execz .LBB6_4056
; %bb.4048:                             ;   in Loop: Header=BB6_274 Depth=3
	s_mov_b32 s75, 0
	s_mov_b32 s78, 0
                                        ; implicit-def: $sgpr76
                                        ; implicit-def: $sgpr77
	s_branch .LBB6_4050
.LBB6_4049:                             ;   in Loop: Header=BB6_4050 Depth=4
	s_or_b32 exec_lo, exec_lo, s88
	s_delay_alu instid0(SALU_CYCLE_1) | instskip(NEXT) | instid1(SALU_CYCLE_1)
	s_and_b32 s79, exec_lo, s89
	s_or_b32 s75, s79, s75
	s_and_not1_b32 s76, s76, exec_lo
	s_and_b32 s79, s77, exec_lo
	s_delay_alu instid0(SALU_CYCLE_1)
	s_or_b32 s76, s76, s79
	s_and_not1_b32 exec_lo, exec_lo, s75
	s_cbranch_execz .LBB6_4054
.LBB6_4050:                             ;   Parent Loop BB6_47 Depth=1
                                        ;     Parent Loop BB6_271 Depth=2
                                        ;       Parent Loop BB6_274 Depth=3
                                        ; =>      This Inner Loop Header: Depth=4
	s_add_co_i32 s78, s78, 1
	s_delay_alu instid0(SALU_CYCLE_1) | instskip(SKIP_1) | instid1(SALU_CYCLE_1)
	s_cmp_lg_u32 s78, 0x2710
	s_cselect_b32 s79, -1, 0
	s_and_b32 vcc_lo, exec_lo, s79
	s_cbranch_vccz .LBB6_4052
; %bb.4051:                             ;   in Loop: Header=BB6_4050 Depth=4
	s_mov_b32 s89, -1
	s_or_b32 s77, s77, exec_lo
	s_and_saveexec_b32 s88, s79
	s_cbranch_execz .LBB6_4049
	s_branch .LBB6_4053
.LBB6_4052:                             ;   in Loop: Header=BB6_4050 Depth=4
	s_trap 2
	ds_load_b64 v[0:1], v0
	s_and_not1_b32 s79, s79, exec_lo
	s_mov_b32 s78, 0
	s_wait_loadcnt_dscnt 0x0
	flat_load_b32 v0, v[0:1] scope:SCOPE_SYS
	s_wait_loadcnt_dscnt 0x0
	global_inv scope:SCOPE_SYS
	v_cmp_eq_u32_e32 vcc_lo, 0, v0
	s_and_b32 s88, vcc_lo, exec_lo
	s_delay_alu instid0(SALU_CYCLE_1)
	s_or_b32 s79, s79, s88
	s_mov_b32 s89, -1
	s_or_b32 s77, s77, exec_lo
	s_wait_xcnt 0x0
	s_and_saveexec_b32 s88, s79
	s_cbranch_execz .LBB6_4049
.LBB6_4053:                             ;   in Loop: Header=BB6_4050 Depth=4
	s_sleep 1
	s_trap 2
	ds_load_b64 v[0:1], v0
	s_wait_dscnt 0x0
	s_and_not1_b32 s77, s77, exec_lo
	v_cmp_ge_u64_e32 vcc_lo, v[0:1], v[80:81]
	s_or_not1_b32 s89, vcc_lo, exec_lo
	s_branch .LBB6_4049
.LBB6_4054:                             ;   in Loop: Header=BB6_274 Depth=3
	s_or_b32 exec_lo, exec_lo, s75
	s_and_saveexec_b32 s75, s76
	s_delay_alu instid0(SALU_CYCLE_1)
	s_xor_b32 s75, exec_lo, s75
	s_cbranch_execz .LBB6_4056
; %bb.4055:                             ;   in Loop: Header=BB6_274 Depth=3
	ds_store_b32 v0, v43
	s_trap 2
.LBB6_4056:                             ;   in Loop: Header=BB6_274 Depth=3
	s_or_b32 exec_lo, exec_lo, s74
	;;#ASMSTART
	s_wakeup
	;;#ASMEND
.LBB6_4057:                             ;   in Loop: Header=BB6_274 Depth=3
	s_or_b32 exec_lo, exec_lo, s73
.LBB6_4058:                             ;   in Loop: Header=BB6_274 Depth=3
	s_and_not1_saveexec_b32 s15, s15
	s_cbranch_execz .LBB6_4060
; %bb.4059:                             ;   in Loop: Header=BB6_274 Depth=3
	global_wb scope:SCOPE_DEV
	s_wait_storecnt 0x0
	s_wait_loadcnt_dscnt 0x0
	global_inv scope:SCOPE_DEV
	s_barrier_signal -1
	s_barrier_wait -1
.LBB6_4060:                             ;   in Loop: Header=BB6_274 Depth=3
	s_or_b32 exec_lo, exec_lo, s15
	s_delay_alu instid0(SALU_CYCLE_1) | instskip(SKIP_1) | instid1(SALU_CYCLE_1)
	s_or_b32 exec_lo, exec_lo, s14
                                        ; implicit-def: $vgpr0
	s_and_saveexec_b32 s14, s10
	s_xor_b32 s14, exec_lo, s14
	s_cbranch_execnz .LBB6_350
.LBB6_4061:                             ;   in Loop: Header=BB6_274 Depth=3
	s_and_not1_saveexec_b32 s13, s14
	s_cbranch_execz .LBB6_4080
.LBB6_4062:                             ;   in Loop: Header=BB6_274 Depth=3
	s_and_saveexec_b32 s14, s3
	s_delay_alu instid0(SALU_CYCLE_1)
	s_xor_b32 s14, exec_lo, s14
	s_cbranch_execz .LBB6_4077
; %bb.4063:                             ;   in Loop: Header=BB6_274 Depth=3
	s_and_saveexec_b32 s15, s6
	s_cbranch_execz .LBB6_4076
; %bb.4064:                             ;   in Loop: Header=BB6_274 Depth=3
	s_mov_b32 s74, exec_lo
	s_mov_b32 s73, exec_lo
	v_mbcnt_lo_u32_b32 v0, s74, 0
	;;#ASMSTART
	s_waitcnt lgkmcnt(0) vmcnt(0)
	;;#ASMEND
	s_delay_alu instid0(VALU_DEP_1)
	v_cmpx_eq_u32_e32 0, v0
	s_cbranch_execz .LBB6_4066
; %bb.4065:                             ;   in Loop: Header=BB6_274 Depth=3
	s_bcnt1_i32_b32 s74, s74
	s_delay_alu instid0(SALU_CYCLE_1)
	v_mov_b32_e32 v2, s74
	s_wait_storecnt 0x0
	s_wait_loadcnt_dscnt 0x0
	ds_add_u64 v0, v[2:3]
	s_trap 2
.LBB6_4066:                             ;   in Loop: Header=BB6_274 Depth=3
	s_or_b32 exec_lo, exec_lo, s73
	s_trap 2
	ds_load_b64 v[0:1], v0
	s_wait_dscnt 0x0
	v_add_nc_u64_e32 v[80:81], v[80:81], v[84:85]
	s_mov_b32 s73, exec_lo
	s_delay_alu instid0(VALU_DEP_1)
	v_cmpx_lt_u64_e64 v[0:1], v[80:81]
	s_cbranch_execz .LBB6_4075
; %bb.4067:                             ;   in Loop: Header=BB6_274 Depth=3
	s_mov_b32 s74, 0
	s_mov_b32 s77, 0
                                        ; implicit-def: $sgpr75
                                        ; implicit-def: $sgpr76
	s_branch .LBB6_4069
.LBB6_4068:                             ;   in Loop: Header=BB6_4069 Depth=4
	s_or_b32 exec_lo, exec_lo, s79
	s_delay_alu instid0(SALU_CYCLE_1) | instskip(NEXT) | instid1(SALU_CYCLE_1)
	s_and_b32 s78, exec_lo, s88
	s_or_b32 s74, s78, s74
	s_and_not1_b32 s75, s75, exec_lo
	s_and_b32 s78, s76, exec_lo
	s_delay_alu instid0(SALU_CYCLE_1)
	s_or_b32 s75, s75, s78
	s_and_not1_b32 exec_lo, exec_lo, s74
	s_cbranch_execz .LBB6_4073
.LBB6_4069:                             ;   Parent Loop BB6_47 Depth=1
                                        ;     Parent Loop BB6_271 Depth=2
                                        ;       Parent Loop BB6_274 Depth=3
                                        ; =>      This Inner Loop Header: Depth=4
	s_add_co_i32 s77, s77, 1
	s_delay_alu instid0(SALU_CYCLE_1) | instskip(SKIP_1) | instid1(SALU_CYCLE_1)
	s_cmp_lg_u32 s77, 0x2710
	s_cselect_b32 s78, -1, 0
	s_and_b32 vcc_lo, exec_lo, s78
	s_cbranch_vccz .LBB6_4071
; %bb.4070:                             ;   in Loop: Header=BB6_4069 Depth=4
	s_mov_b32 s88, -1
	s_or_b32 s76, s76, exec_lo
	s_and_saveexec_b32 s79, s78
	s_cbranch_execz .LBB6_4068
	s_branch .LBB6_4072
.LBB6_4071:                             ;   in Loop: Header=BB6_4069 Depth=4
	s_trap 2
	ds_load_b64 v[0:1], v0
	s_and_not1_b32 s78, s78, exec_lo
	s_mov_b32 s77, 0
	s_wait_storecnt 0x0
	s_wait_loadcnt_dscnt 0x0
	flat_load_b32 v0, v[0:1] scope:SCOPE_SYS
	s_wait_loadcnt_dscnt 0x0
	global_inv scope:SCOPE_SYS
	v_cmp_eq_u32_e32 vcc_lo, 0, v0
	s_and_b32 s79, vcc_lo, exec_lo
	s_delay_alu instid0(SALU_CYCLE_1)
	s_or_b32 s78, s78, s79
	s_mov_b32 s88, -1
	s_or_b32 s76, s76, exec_lo
	s_wait_xcnt 0x0
	s_and_saveexec_b32 s79, s78
	s_cbranch_execz .LBB6_4068
.LBB6_4072:                             ;   in Loop: Header=BB6_4069 Depth=4
	s_sleep 1
	s_trap 2
	ds_load_b64 v[0:1], v0
	s_wait_dscnt 0x0
	s_and_not1_b32 s76, s76, exec_lo
	v_cmp_ge_u64_e32 vcc_lo, v[0:1], v[80:81]
	s_or_not1_b32 s88, vcc_lo, exec_lo
	s_branch .LBB6_4068
.LBB6_4073:                             ;   in Loop: Header=BB6_274 Depth=3
	s_or_b32 exec_lo, exec_lo, s74
	s_and_saveexec_b32 s74, s75
	s_delay_alu instid0(SALU_CYCLE_1)
	s_xor_b32 s74, exec_lo, s74
	s_cbranch_execz .LBB6_4075
; %bb.4074:                             ;   in Loop: Header=BB6_274 Depth=3
	ds_store_b32 v0, v43
	s_trap 2
.LBB6_4075:                             ;   in Loop: Header=BB6_274 Depth=3
	s_or_b32 exec_lo, exec_lo, s73
	;;#ASMSTART
	s_wakeup
	;;#ASMEND
.LBB6_4076:                             ;   in Loop: Header=BB6_274 Depth=3
	s_or_b32 exec_lo, exec_lo, s15
.LBB6_4077:                             ;   in Loop: Header=BB6_274 Depth=3
	s_and_not1_saveexec_b32 s14, s14
	s_cbranch_execz .LBB6_4079
; %bb.4078:                             ;   in Loop: Header=BB6_274 Depth=3
	;;#ASMSTART
	s_waitcnt lgkmcnt(0) vmcnt(0)
	;;#ASMEND
	s_barrier_signal -1
	s_barrier_wait -1
.LBB6_4079:                             ;   in Loop: Header=BB6_274 Depth=3
	s_or_b32 exec_lo, exec_lo, s14
	v_and_b32_e32 v0, 16, v30
.LBB6_4080:                             ;   in Loop: Header=BB6_274 Depth=3
	s_or_b32 exec_lo, exec_lo, s13
	s_delay_alu instid0(VALU_DEP_1) | instskip(SKIP_1) | instid1(SALU_CYCLE_1)
	v_cmp_ne_u32_e32 vcc_lo, 0, v0
	s_xor_b32 s13, s4, -1
	s_and_b32 s14, vcc_lo, s13
	s_delay_alu instid0(SALU_CYCLE_1)
	s_and_saveexec_b32 s13, s14
	s_cbranch_execz .LBB6_4082
; %bb.4081:                             ;   in Loop: Header=BB6_274 Depth=3
	global_wb scope:SCOPE_SYS
	s_wait_storecnt 0x0
	s_wait_loadcnt_dscnt 0x0
	flat_store_b32 v[70:71], v43 scope:SCOPE_SYS
.LBB6_4082:                             ;   in Loop: Header=BB6_274 Depth=3
	s_wait_xcnt 0x0
	s_or_b32 exec_lo, exec_lo, s13
	v_and_b32_e32 v0, 48, v30
	s_mov_b32 s13, exec_lo
	s_delay_alu instid0(VALU_DEP_1)
	v_cmpx_ne_u32_e32 0, v0
	s_cbranch_execz .LBB6_273
; %bb.4083:                             ;   in Loop: Header=BB6_274 Depth=3
	v_add_nc_u64_e32 v[60:61], 2, v[60:61]
	global_wb scope:SCOPE_SYS
	s_wait_storecnt 0x0
	s_wait_loadcnt_dscnt 0x0
	flat_store_b64 v[64:65], v[60:61] scope:SCOPE_SYS
	s_branch .LBB6_273
.LBB6_4084:                             ;   in Loop: Header=BB6_271 Depth=2
	s_or_b32 exec_lo, exec_lo, s44
.LBB6_4085:                             ;   in Loop: Header=BB6_271 Depth=2
	s_delay_alu instid0(SALU_CYCLE_1) | instskip(NEXT) | instid1(SALU_CYCLE_1)
	s_or_b32 exec_lo, exec_lo, s41
	s_mov_b32 s14, exec_lo
	v_cmpx_gt_i32_e32 2, v0
	s_cbranch_execz .LBB6_270
; %bb.4086:                             ;   in Loop: Header=BB6_271 Depth=2
	v_cmp_eq_u32_e64 s41, 0, v0
	s_mov_b32 s15, 0
	s_branch .LBB6_4088
.LBB6_4087:                             ;   in Loop: Header=BB6_4088 Depth=3
	s_wait_xcnt 0x0
	s_or_b32 exec_lo, exec_lo, s13
	v_add_nc_u32_e32 v76, v74, v76
	s_mov_b32 s41, 0
	s_and_not1_b32 exec_lo, exec_lo, s15
	s_cbranch_execz .LBB6_269
.LBB6_4088:                             ;   Parent Loop BB6_47 Depth=1
                                        ;     Parent Loop BB6_271 Depth=2
                                        ; =>    This Loop Header: Depth=3
                                        ;         Child Loop BB6_4094 Depth 4
                                        ;         Child Loop BB6_4122 Depth 4
	;; [unrolled: 1-line block ×3, first 2 shown]
	s_delay_alu instid0(VALU_DEP_1) | instskip(SKIP_1) | instid1(VALU_DEP_1)
	v_dual_sub_nc_u32 v0, v110, v76 :: v_dual_bitop2_b32 v1, 12, v30 bitop3:0x40
	s_mov_b32 s44, exec_lo
	v_min_i32_e32 v74, v74, v0
	s_delay_alu instid0(VALU_DEP_2)
	v_cmpx_ne_u32_e32 0, v1
	s_cbranch_execz .LBB6_4114
; %bb.4089:                             ;   in Loop: Header=BB6_4088 Depth=3
	v_and_b32_e32 v2, 8, v30
	v_add_nc_u64_e32 v[8:9], 2, v[60:61]
	s_mov_b32 s45, exec_lo
	s_wait_loadcnt_dscnt 0x1
	s_delay_alu instid0(VALU_DEP_2) | instskip(NEXT) | instid1(VALU_DEP_1)
	v_add_nc_u64_e32 v[0:1], v[82:83], v[2:3]
	v_cmpx_lt_u64_e64 v[0:1], v[8:9]
	s_cbranch_execz .LBB6_4101
; %bb.4090:                             ;   in Loop: Header=BB6_4088 Depth=3
	v_and_b32_e32 v0, 64, v30
	s_mov_b32 s72, 0
	s_mov_b32 s76, 0
                                        ; implicit-def: $sgpr73
                                        ; implicit-def: $sgpr74
                                        ; implicit-def: $sgpr75
	s_delay_alu instid0(VALU_DEP_1)
	v_cmp_eq_u32_e32 vcc_lo, 0, v0
	s_branch .LBB6_4094
.LBB6_4091:                             ;   in Loop: Header=BB6_4094 Depth=4
	s_wait_loadcnt_dscnt 0x0
	v_add_nc_u64_e32 v[4:5], v[82:83], v[2:3]
	s_or_b32 s79, s79, exec_lo
	s_delay_alu instid0(VALU_DEP_1)
	v_cmp_ge_u64_e64 s13, v[4:5], v[8:9]
	s_or_not1_b32 s78, s13, exec_lo
.LBB6_4092:                             ;   in Loop: Header=BB6_4094 Depth=4
	s_or_b32 exec_lo, exec_lo, s89
	s_delay_alu instid0(SALU_CYCLE_1)
	s_and_not1_b32 s13, s75, exec_lo
	s_and_b32 s75, s79, exec_lo
	s_and_not1_b32 s74, s74, exec_lo
	s_and_b32 s78, s78, exec_lo
	s_or_b32 s75, s13, s75
	s_or_b32 s74, s74, s78
.LBB6_4093:                             ;   in Loop: Header=BB6_4094 Depth=4
	s_or_b32 exec_lo, exec_lo, s77
	s_delay_alu instid0(SALU_CYCLE_1) | instskip(NEXT) | instid1(SALU_CYCLE_1)
	s_and_b32 s13, exec_lo, s74
	s_or_b32 s72, s13, s72
	s_and_not1_b32 s13, s73, exec_lo
	s_and_b32 s73, s75, exec_lo
	s_delay_alu instid0(SALU_CYCLE_1)
	s_or_b32 s73, s13, s73
	s_and_not1_b32 exec_lo, exec_lo, s72
	s_cbranch_execz .LBB6_4098
.LBB6_4094:                             ;   Parent Loop BB6_47 Depth=1
                                        ;     Parent Loop BB6_271 Depth=2
                                        ;       Parent Loop BB6_4088 Depth=3
                                        ; =>      This Inner Loop Header: Depth=4
	s_sleep 1
	s_wait_loadcnt_dscnt 0x0
	flat_load_b64 v[82:83], v[64:65] scope:SCOPE_SYS
	s_or_b32 s75, s75, exec_lo
	s_or_b32 s74, s74, exec_lo
                                        ; implicit-def: $vgpr1
	s_wait_xcnt 0x0
	s_and_saveexec_b32 s77, vcc_lo
	s_cbranch_execz .LBB6_4093
; %bb.4095:                             ;   in Loop: Header=BB6_4094 Depth=4
	s_cmp_lt_i32 s76, 0x270f
	s_mov_b32 s78, -1
	s_cselect_b32 s88, -1, 0
	s_cmp_gt_i32 s76, 0x270e
	s_cbranch_scc0 .LBB6_4097
; %bb.4096:                             ;   in Loop: Header=BB6_4094 Depth=4
	s_trap 2
	ds_load_b64 v[0:1], v0
	s_and_not1_b32 s76, s88, exec_lo
	s_mov_b32 s79, 0
	s_wait_storecnt 0x0
	s_wait_loadcnt_dscnt 0x0
	flat_load_b32 v1, v[0:1] scope:SCOPE_SYS
	s_wait_loadcnt_dscnt 0x0
	global_inv scope:SCOPE_SYS
	v_cmp_eq_u32_e64 s13, 0, v1
	s_and_b32 s13, s13, exec_lo
	s_delay_alu instid0(SALU_CYCLE_1)
	s_or_b32 s88, s76, s13
	s_mov_b32 s76, 0
	s_wait_xcnt 0x0
	s_and_saveexec_b32 s89, s88
	s_cbranch_execz .LBB6_4092
	s_branch .LBB6_4091
.LBB6_4097:                             ;   in Loop: Header=BB6_4094 Depth=4
	s_add_co_i32 s76, s76, 1
	s_mov_b32 s79, -1
                                        ; implicit-def: $vgpr1
	s_and_saveexec_b32 s89, s88
	s_cbranch_execz .LBB6_4092
	s_branch .LBB6_4091
.LBB6_4098:                             ;   in Loop: Header=BB6_4088 Depth=3
	s_or_b32 exec_lo, exec_lo, s72
	s_xor_b32 s13, s73, -1
	s_delay_alu instid0(SALU_CYCLE_1) | instskip(NEXT) | instid1(SALU_CYCLE_1)
	s_and_saveexec_b32 s72, s13
	s_xor_b32 s13, exec_lo, s72
	s_cbranch_execz .LBB6_4100
; %bb.4099:                             ;   in Loop: Header=BB6_4088 Depth=3
	v_or_b32_e32 v30, 64, v30
	s_wait_storecnt 0x0
	s_wait_loadcnt_dscnt 0x0
	ds_store_b32 v0, v1
	s_trap 2
.LBB6_4100:                             ;   in Loop: Header=BB6_4088 Depth=3
	s_or_b32 exec_lo, exec_lo, s13
.LBB6_4101:                             ;   in Loop: Header=BB6_4088 Depth=3
	s_delay_alu instid0(SALU_CYCLE_1) | instskip(SKIP_3) | instid1(VALU_DEP_1)
	s_or_b32 exec_lo, exec_lo, s45
	v_and_b32_e32 v0, 0x108, v30
	s_mov_b32 s13, exec_lo
	;;#ASMSTART
	s_wakeup
	;;#ASMEND
                                        ; implicit-def: $vgpr10_vgpr11
	v_cmpx_ne_u32_e32 0x108, v0
	s_xor_b32 s13, exec_lo, s13
; %bb.4102:                             ;   in Loop: Header=BB6_4088 Depth=3
	v_dual_mov_b32 v11, v3 :: v_dual_bitop2_b32 v10, 7, v60 bitop3:0x40
                                        ; implicit-def: $vgpr60_vgpr61
; %bb.4103:                             ;   in Loop: Header=BB6_4088 Depth=3
	s_and_not1_saveexec_b32 s13, s13
	s_cbranch_execz .LBB6_4105
; %bb.4104:                             ;   in Loop: Header=BB6_4088 Depth=3
	v_dual_ashrrev_i32 v75, 31, v74 :: v_dual_bitop2_b32 v10, 7, v60 bitop3:0x40
	v_mov_b32_e32 v11, v3
	s_delay_alu instid0(VALU_DEP_2)
	v_mad_nc_u64_u32 v[0:1], v10, 24, v[6:7]
	flat_store_b64 v[0:1], v[74:75] offset:8
.LBB6_4105:                             ;   in Loop: Header=BB6_4088 Depth=3
	s_wait_xcnt 0x0
	s_or_b32 exec_lo, exec_lo, s13
	v_and_b32_e32 v0, 0x100, v30
	s_mov_b32 s13, -1
	s_mov_b32 s45, exec_lo
                                        ; implicit-def: $vgpr12_vgpr13
	s_delay_alu instid0(VALU_DEP_1)
	v_cmpx_ne_u32_e32 0, v0
	s_cbranch_execz .LBB6_4109
; %bb.4106:                             ;   in Loop: Header=BB6_4088 Depth=3
	v_mad_nc_u64_u32 v[14:15], v10, 24, v[6:7]
	s_mov_b32 s72, exec_lo
                                        ; implicit-def: $vgpr12_vgpr13
	s_delay_alu instid0(VALU_DEP_1)
	v_mad_u32 v15, v11, 24, v15
	flat_load_b32 v0, v[14:15]
	s_wait_loadcnt_dscnt 0x0
	v_cmp_ne_u32_e32 vcc_lo, 1, v0
	s_wait_xcnt 0x0
	v_cmpx_eq_u32_e32 1, v0
	s_cbranch_execz .LBB6_4108
; %bb.4107:                             ;   in Loop: Header=BB6_4088 Depth=3
	flat_load_b32 v12, v[14:15] offset:4 scope:SCOPE_SYS
	s_wait_loadcnt_dscnt 0x0
	v_ashrrev_i32_e32 v13, 31, v12
.LBB6_4108:                             ;   in Loop: Header=BB6_4088 Depth=3
	s_wait_xcnt 0x0
	s_or_b32 exec_lo, exec_lo, s72
	s_delay_alu instid0(SALU_CYCLE_1)
	s_or_not1_b32 s13, vcc_lo, exec_lo
.LBB6_4109:                             ;   in Loop: Header=BB6_4088 Depth=3
	s_or_b32 exec_lo, exec_lo, s45
	s_and_saveexec_b32 s45, s13
	s_cbranch_execz .LBB6_4111
; %bb.4110:                             ;   in Loop: Header=BB6_4088 Depth=3
	scratch_load_b64 v[0:1], off, s33 offset:204 ; 8-byte Folded Reload
	s_wait_loadcnt 0x0
	v_mul_u64_e32 v[12:13], v[10:11], v[0:1]
.LBB6_4111:                             ;   in Loop: Header=BB6_4088 Depth=3
	s_wait_xcnt 0x0
	s_or_b32 exec_lo, exec_lo, s45
	v_cmp_eq_u32_e32 vcc_lo, 0, v2
	s_delay_alu instid0(VALU_DEP_2) | instskip(SKIP_3) | instid1(VALU_DEP_1)
	v_add_nc_u64_e32 v[0:1], v[68:69], v[12:13]
	v_and_b32_e32 v4, 0x2000, v30
	s_mov_b32 s13, exec_lo
	v_cndmask_b32_e32 v2, 0xc8, v94, vcc_lo
	v_add_nc_u32_e32 v2, v0, v2
	ds_store_b64 v2, v[0:1] offset:584
	v_cmpx_ne_u32_e32 0, v4
	s_cbranch_execz .LBB6_4113
; %bb.4112:                             ;   in Loop: Header=BB6_4088 Depth=3
	ds_load_b64 v[0:1], v0 offset:872
	s_wait_dscnt 0x0
	v_add_nc_u64_e32 v[0:1], 1, v[0:1]
	ds_store_b64 v0, v[0:1] offset:872
.LBB6_4113:                             ;   in Loop: Header=BB6_4088 Depth=3
	s_or_b32 exec_lo, exec_lo, s13
	v_mov_b64_e32 v[60:61], v[8:9]
.LBB6_4114:                             ;   in Loop: Header=BB6_4088 Depth=3
	s_or_b32 exec_lo, exec_lo, s44
	s_xor_b32 s13, s41, -1
	s_delay_alu instid0(SALU_CYCLE_1) | instskip(NEXT) | instid1(SALU_CYCLE_1)
	s_and_b32 s13, exec_lo, s13
	s_or_b32 s15, s13, s15
	s_and_saveexec_b32 s13, s2
	s_cbranch_execz .LBB6_4133
; %bb.4115:                             ;   in Loop: Header=BB6_4088 Depth=3
	s_and_saveexec_b32 s41, s3
	s_delay_alu instid0(SALU_CYCLE_1)
	s_xor_b32 s41, exec_lo, s41
	s_cbranch_execz .LBB6_4130
; %bb.4116:                             ;   in Loop: Header=BB6_4088 Depth=3
	s_and_saveexec_b32 s44, s6
	s_cbranch_execz .LBB6_4129
; %bb.4117:                             ;   in Loop: Header=BB6_4088 Depth=3
	s_mov_b32 s72, exec_lo
	s_mov_b32 s45, exec_lo
	v_mbcnt_lo_u32_b32 v0, s72, 0
	global_wb scope:SCOPE_DEV
	s_wait_storecnt 0x0
	s_wait_loadcnt_dscnt 0x0
	global_inv scope:SCOPE_DEV
	v_cmpx_eq_u32_e32 0, v0
	s_cbranch_execz .LBB6_4119
; %bb.4118:                             ;   in Loop: Header=BB6_4088 Depth=3
	s_bcnt1_i32_b32 s72, s72
	s_delay_alu instid0(SALU_CYCLE_1)
	v_mov_b32_e32 v2, s72
	s_wait_loadcnt 0x0
	ds_add_u64 v0, v[2:3]
	s_trap 2
.LBB6_4119:                             ;   in Loop: Header=BB6_4088 Depth=3
	s_or_b32 exec_lo, exec_lo, s45
	s_trap 2
	ds_load_b64 v[0:1], v0
	s_wait_dscnt 0x0
	v_add_nc_u64_e32 v[80:81], v[80:81], v[84:85]
	s_mov_b32 s45, exec_lo
	s_delay_alu instid0(VALU_DEP_1)
	v_cmpx_lt_u64_e64 v[0:1], v[80:81]
	s_cbranch_execz .LBB6_4128
; %bb.4120:                             ;   in Loop: Header=BB6_4088 Depth=3
	s_mov_b32 s72, 0
	s_mov_b32 s75, 0
                                        ; implicit-def: $sgpr73
                                        ; implicit-def: $sgpr74
	s_branch .LBB6_4122
.LBB6_4121:                             ;   in Loop: Header=BB6_4122 Depth=4
	s_or_b32 exec_lo, exec_lo, s77
	s_delay_alu instid0(SALU_CYCLE_1) | instskip(NEXT) | instid1(SALU_CYCLE_1)
	s_and_b32 s76, exec_lo, s78
	s_or_b32 s72, s76, s72
	s_and_not1_b32 s73, s73, exec_lo
	s_and_b32 s76, s74, exec_lo
	s_delay_alu instid0(SALU_CYCLE_1)
	s_or_b32 s73, s73, s76
	s_and_not1_b32 exec_lo, exec_lo, s72
	s_cbranch_execz .LBB6_4126
.LBB6_4122:                             ;   Parent Loop BB6_47 Depth=1
                                        ;     Parent Loop BB6_271 Depth=2
                                        ;       Parent Loop BB6_4088 Depth=3
                                        ; =>      This Inner Loop Header: Depth=4
	s_add_co_i32 s75, s75, 1
	s_delay_alu instid0(SALU_CYCLE_1) | instskip(SKIP_1) | instid1(SALU_CYCLE_1)
	s_cmp_lg_u32 s75, 0x2710
	s_cselect_b32 s76, -1, 0
	s_and_b32 vcc_lo, exec_lo, s76
	s_cbranch_vccz .LBB6_4124
; %bb.4123:                             ;   in Loop: Header=BB6_4122 Depth=4
	s_mov_b32 s78, -1
	s_or_b32 s74, s74, exec_lo
	s_and_saveexec_b32 s77, s76
	s_cbranch_execz .LBB6_4121
	s_branch .LBB6_4125
.LBB6_4124:                             ;   in Loop: Header=BB6_4122 Depth=4
	s_trap 2
	ds_load_b64 v[0:1], v0
	s_and_not1_b32 s76, s76, exec_lo
	s_mov_b32 s75, 0
	s_wait_loadcnt_dscnt 0x0
	flat_load_b32 v0, v[0:1] scope:SCOPE_SYS
	s_wait_loadcnt_dscnt 0x0
	global_inv scope:SCOPE_SYS
	v_cmp_eq_u32_e32 vcc_lo, 0, v0
	s_and_b32 s77, vcc_lo, exec_lo
	s_delay_alu instid0(SALU_CYCLE_1)
	s_or_b32 s76, s76, s77
	s_mov_b32 s78, -1
	s_or_b32 s74, s74, exec_lo
	s_wait_xcnt 0x0
	s_and_saveexec_b32 s77, s76
	s_cbranch_execz .LBB6_4121
.LBB6_4125:                             ;   in Loop: Header=BB6_4122 Depth=4
	s_sleep 1
	s_trap 2
	ds_load_b64 v[0:1], v0
	s_wait_dscnt 0x0
	s_and_not1_b32 s74, s74, exec_lo
	v_cmp_ge_u64_e32 vcc_lo, v[0:1], v[80:81]
	s_or_not1_b32 s78, vcc_lo, exec_lo
	s_branch .LBB6_4121
.LBB6_4126:                             ;   in Loop: Header=BB6_4088 Depth=3
	s_or_b32 exec_lo, exec_lo, s72
	s_and_saveexec_b32 s72, s73
	s_delay_alu instid0(SALU_CYCLE_1)
	s_xor_b32 s72, exec_lo, s72
	s_cbranch_execz .LBB6_4128
; %bb.4127:                             ;   in Loop: Header=BB6_4088 Depth=3
	ds_store_b32 v0, v43
	s_trap 2
.LBB6_4128:                             ;   in Loop: Header=BB6_4088 Depth=3
	s_or_b32 exec_lo, exec_lo, s45
	;;#ASMSTART
	s_wakeup
	;;#ASMEND
.LBB6_4129:                             ;   in Loop: Header=BB6_4088 Depth=3
	s_or_b32 exec_lo, exec_lo, s44
.LBB6_4130:                             ;   in Loop: Header=BB6_4088 Depth=3
	s_and_not1_saveexec_b32 s41, s41
	s_cbranch_execz .LBB6_4132
; %bb.4131:                             ;   in Loop: Header=BB6_4088 Depth=3
	global_wb scope:SCOPE_DEV
	s_wait_storecnt 0x0
	s_wait_loadcnt_dscnt 0x0
	global_inv scope:SCOPE_DEV
	s_barrier_signal -1
	s_barrier_wait -1
.LBB6_4132:                             ;   in Loop: Header=BB6_4088 Depth=3
	s_or_b32 exec_lo, exec_lo, s41
.LBB6_4133:                             ;   in Loop: Header=BB6_4088 Depth=3
	s_delay_alu instid0(SALU_CYCLE_1) | instskip(SKIP_1) | instid1(SALU_CYCLE_1)
	s_or_b32 exec_lo, exec_lo, s13
                                        ; implicit-def: $vgpr0
	s_and_saveexec_b32 s13, s59
	s_xor_b32 s13, exec_lo, s13
	s_cbranch_execz .LBB6_4145
; %bb.4134:                             ;   in Loop: Header=BB6_4088 Depth=3
	s_and_saveexec_b32 s41, s3
	s_delay_alu instid0(SALU_CYCLE_1)
	s_xor_b32 s41, exec_lo, s41
	s_cbranch_execz .LBB6_4150
; %bb.4135:                             ;   in Loop: Header=BB6_4088 Depth=3
	s_and_saveexec_b32 s44, s6
	s_cbranch_execz .LBB6_4149
; %bb.4136:                             ;   in Loop: Header=BB6_4088 Depth=3
	s_mov_b32 s72, exec_lo
	s_mov_b32 s45, exec_lo
	v_mbcnt_lo_u32_b32 v0, s72, 0
	;;#ASMSTART
	s_waitcnt lgkmcnt(0) vmcnt(0)
	;;#ASMEND
	s_delay_alu instid0(VALU_DEP_1)
	v_cmpx_eq_u32_e32 0, v0
	s_cbranch_execz .LBB6_4138
; %bb.4137:                             ;   in Loop: Header=BB6_4088 Depth=3
	s_bcnt1_i32_b32 s72, s72
	s_delay_alu instid0(SALU_CYCLE_1)
	v_mov_b32_e32 v2, s72
	s_wait_storecnt 0x0
	s_wait_loadcnt_dscnt 0x0
	ds_add_u64 v0, v[2:3]
	s_trap 2
.LBB6_4138:                             ;   in Loop: Header=BB6_4088 Depth=3
	s_or_b32 exec_lo, exec_lo, s45
	s_trap 2
	ds_load_b64 v[0:1], v0
	s_wait_dscnt 0x0
	v_add_nc_u64_e32 v[80:81], v[80:81], v[84:85]
	s_mov_b32 s45, exec_lo
	s_delay_alu instid0(VALU_DEP_1)
	v_cmpx_lt_u64_e64 v[0:1], v[80:81]
	s_cbranch_execz .LBB6_4148
; %bb.4139:                             ;   in Loop: Header=BB6_4088 Depth=3
	s_mov_b32 s72, 0
	s_mov_b32 s75, 0
                                        ; implicit-def: $sgpr73
                                        ; implicit-def: $sgpr74
	s_branch .LBB6_4141
.LBB6_4140:                             ;   in Loop: Header=BB6_4141 Depth=4
	s_or_b32 exec_lo, exec_lo, s77
	s_delay_alu instid0(SALU_CYCLE_1) | instskip(NEXT) | instid1(SALU_CYCLE_1)
	s_and_b32 s76, exec_lo, s78
	s_or_b32 s72, s76, s72
	s_and_not1_b32 s73, s73, exec_lo
	s_and_b32 s76, s74, exec_lo
	s_delay_alu instid0(SALU_CYCLE_1)
	s_or_b32 s73, s73, s76
	s_and_not1_b32 exec_lo, exec_lo, s72
	s_cbranch_execz .LBB6_4146
.LBB6_4141:                             ;   Parent Loop BB6_47 Depth=1
                                        ;     Parent Loop BB6_271 Depth=2
                                        ;       Parent Loop BB6_4088 Depth=3
                                        ; =>      This Inner Loop Header: Depth=4
	s_add_co_i32 s75, s75, 1
	s_delay_alu instid0(SALU_CYCLE_1) | instskip(SKIP_1) | instid1(SALU_CYCLE_1)
	s_cmp_lg_u32 s75, 0x2710
	s_cselect_b32 s76, -1, 0
	s_and_b32 vcc_lo, exec_lo, s76
	s_cbranch_vccz .LBB6_4143
; %bb.4142:                             ;   in Loop: Header=BB6_4141 Depth=4
	s_mov_b32 s78, -1
	s_or_b32 s74, s74, exec_lo
	s_and_saveexec_b32 s77, s76
	s_cbranch_execz .LBB6_4140
	s_branch .LBB6_4144
.LBB6_4143:                             ;   in Loop: Header=BB6_4141 Depth=4
	s_trap 2
	ds_load_b64 v[0:1], v0
	s_and_not1_b32 s76, s76, exec_lo
	s_mov_b32 s75, 0
	s_wait_storecnt 0x0
	s_wait_loadcnt_dscnt 0x0
	flat_load_b32 v0, v[0:1] scope:SCOPE_SYS
	s_wait_loadcnt_dscnt 0x0
	global_inv scope:SCOPE_SYS
	v_cmp_eq_u32_e32 vcc_lo, 0, v0
	s_and_b32 s77, vcc_lo, exec_lo
	s_delay_alu instid0(SALU_CYCLE_1)
	s_or_b32 s76, s76, s77
	s_mov_b32 s78, -1
	s_or_b32 s74, s74, exec_lo
	s_wait_xcnt 0x0
	s_and_saveexec_b32 s77, s76
	s_cbranch_execz .LBB6_4140
.LBB6_4144:                             ;   in Loop: Header=BB6_4141 Depth=4
	s_sleep 1
	s_trap 2
	ds_load_b64 v[0:1], v0
	s_wait_dscnt 0x0
	s_and_not1_b32 s74, s74, exec_lo
	v_cmp_ge_u64_e32 vcc_lo, v[0:1], v[80:81]
	s_or_not1_b32 s78, vcc_lo, exec_lo
	s_branch .LBB6_4140
.LBB6_4145:                             ;   in Loop: Header=BB6_4088 Depth=3
	s_and_not1_saveexec_b32 s41, s13
	s_cbranch_execnz .LBB6_4153
	s_branch .LBB6_4156
.LBB6_4146:                             ;   in Loop: Header=BB6_4088 Depth=3
	s_or_b32 exec_lo, exec_lo, s72
	s_and_saveexec_b32 s72, s73
	s_delay_alu instid0(SALU_CYCLE_1)
	s_xor_b32 s72, exec_lo, s72
	s_cbranch_execz .LBB6_4148
; %bb.4147:                             ;   in Loop: Header=BB6_4088 Depth=3
	ds_store_b32 v0, v43
	s_trap 2
.LBB6_4148:                             ;   in Loop: Header=BB6_4088 Depth=3
	s_or_b32 exec_lo, exec_lo, s45
	;;#ASMSTART
	s_wakeup
	;;#ASMEND
.LBB6_4149:                             ;   in Loop: Header=BB6_4088 Depth=3
	s_or_b32 exec_lo, exec_lo, s44
.LBB6_4150:                             ;   in Loop: Header=BB6_4088 Depth=3
	s_and_not1_saveexec_b32 s41, s41
	s_cbranch_execz .LBB6_4152
; %bb.4151:                             ;   in Loop: Header=BB6_4088 Depth=3
	;;#ASMSTART
	s_waitcnt lgkmcnt(0) vmcnt(0)
	;;#ASMEND
	s_barrier_signal -1
	s_barrier_wait -1
.LBB6_4152:                             ;   in Loop: Header=BB6_4088 Depth=3
	s_or_b32 exec_lo, exec_lo, s41
	v_and_b32_e32 v0, 16, v30
	s_and_not1_saveexec_b32 s41, s13
	s_cbranch_execz .LBB6_4156
.LBB6_4153:                             ;   in Loop: Header=BB6_4088 Depth=3
	s_trap 2
	ds_load_b32 v0, v0
	v_cmp_lt_i32_e32 vcc_lo, 0, v74
	s_wait_dscnt 0x0
	v_readfirstlane_b32 s13, v0
	v_and_b32_e32 v0, 16, v30
	s_cmp_eq_u32 s13, 0
	s_delay_alu instid0(VALU_DEP_1) | instskip(SKIP_3) | instid1(SALU_CYCLE_1)
	v_cmp_ne_u32_e64 s13, 0, v0
	s_cselect_b32 s44, -1, 0
	v_and_b32_e32 v0, 16, v30
	s_and_b32 s44, vcc_lo, s44
	s_and_b32 s44, s13, s44
	s_delay_alu instid0(SALU_CYCLE_1)
	s_and_saveexec_b32 s13, s44
	s_cbranch_execz .LBB6_4155
; %bb.4154:                             ;   in Loop: Header=BB6_4088 Depth=3
	v_mov_b32_e32 v0, 1
	global_wb scope:SCOPE_SYS
	s_wait_loadcnt 0x0
	s_wait_storecnt 0x0
	global_inv scope:SCOPE_SYS
.LBB6_4155:                             ;   in Loop: Header=BB6_4088 Depth=3
	s_or_b32 exec_lo, exec_lo, s13
.LBB6_4156:                             ;   in Loop: Header=BB6_4088 Depth=3
	s_delay_alu instid0(SALU_CYCLE_1) | instskip(NEXT) | instid1(VALU_DEP_1)
	s_or_b32 exec_lo, exec_lo, s41
	v_cmp_ne_u32_e32 vcc_lo, 0, v0
	s_xor_b32 s13, s4, -1
	s_delay_alu instid0(SALU_CYCLE_1) | instskip(NEXT) | instid1(SALU_CYCLE_1)
	s_and_b32 s41, vcc_lo, s13
	s_and_saveexec_b32 s13, s41
	s_cbranch_execz .LBB6_4158
; %bb.4157:                             ;   in Loop: Header=BB6_4088 Depth=3
	global_wb scope:SCOPE_SYS
	s_wait_storecnt 0x0
	s_wait_loadcnt_dscnt 0x0
	flat_store_b32 v[70:71], v43 scope:SCOPE_SYS
.LBB6_4158:                             ;   in Loop: Header=BB6_4088 Depth=3
	s_wait_xcnt 0x0
	s_or_b32 exec_lo, exec_lo, s13
	v_and_b32_e32 v0, 48, v30
	s_mov_b32 s13, exec_lo
	s_delay_alu instid0(VALU_DEP_1)
	v_cmpx_ne_u32_e32 0, v0
	s_cbranch_execz .LBB6_4087
; %bb.4159:                             ;   in Loop: Header=BB6_4088 Depth=3
	v_add_nc_u64_e32 v[60:61], 2, v[60:61]
	global_wb scope:SCOPE_SYS
	s_wait_storecnt 0x0
	s_wait_loadcnt_dscnt 0x0
	flat_store_b64 v[64:65], v[60:61] scope:SCOPE_SYS
	s_branch .LBB6_4087
.LBB6_4160:                             ;   in Loop: Header=BB6_47 Depth=1
	s_clause 0x1
	scratch_load_b64 v[4:5], off, s33 offset:232
	scratch_load_b64 v[0:1], off, s33 offset:224
	s_wait_xcnt 0x2
	v_mov_b32_e32 v76, 0
	s_wait_loadcnt 0x1
	v_mul_u64_e32 v[8:9], s[16:17], v[4:5]
	s_wait_loadcnt 0x0
	s_delay_alu instid0(VALU_DEP_1) | instskip(NEXT) | instid1(VALU_DEP_1)
	v_sub_nc_u64_e32 v[0:1], v[0:1], v[8:9]
	v_min_i64 v[4:5], v[4:5], v[0:1]
	s_delay_alu instid0(VALU_DEP_1) | instskip(SKIP_1) | instid1(VALU_DEP_2)
	v_max_i32_e32 v122, 0, v4
	v_cmp_lt_i32_e32 vcc_lo, 0, v4
	v_add_nc_u32_e32 v0, 31, v122
	s_and_b32 s13, s61, vcc_lo
	s_delay_alu instid0(VALU_DEP_1) | instskip(NEXT) | instid1(VALU_DEP_1)
	v_lshrrev_b32_e32 v0, 1, v0
	v_and_b32_e32 v1, 0x3ffffff0, v0
	s_delay_alu instid0(VALU_DEP_1)
	v_dual_mov_b32 v0, 0 :: v_dual_max_i32 v74, s57, v1
	s_wait_xcnt 0x0
	s_and_saveexec_b32 s18, s13
	s_cbranch_execnz .LBB6_4161
; %bb.12271:                            ;   in Loop: Header=BB6_47 Depth=1
	s_add_pc_i64 .LBB6_11677-.Lpost_addpc25
.Lpost_addpc25:
.LBB6_4161:                             ;   in Loop: Header=BB6_47 Depth=1
	scratch_load_b64 v[0:1], off, s33 offset:196 ; 8-byte Folded Reload
	v_mov_b32_e32 v76, 0
	s_mov_b32 s73, 1
	s_mov_b32 s72, -1
	s_mov_b32 s41, 0
	s_wait_loadcnt 0x0
	v_add_nc_u64_e32 v[40:41], v[8:9], v[0:1]
	s_branch .LBB6_4163
.LBB6_4162:                             ;   in Loop: Header=BB6_4163 Depth=2
	s_wait_xcnt 0x0
	s_or_b32 exec_lo, exec_lo, s13
	v_dual_add_nc_u32 v76, v74, v76 :: v_dual_mov_b32 v0, s73
	s_xor_b32 s13, s72, -1
	s_mov_b32 s72, 0
	s_mov_b32 s73, 2
	s_delay_alu instid0(VALU_DEP_1) | instskip(SKIP_1) | instid1(SALU_CYCLE_1)
	v_cmp_ge_i32_e32 vcc_lo, v76, v122
	s_or_b32 s13, s13, vcc_lo
	s_and_b32 s13, exec_lo, s13
	s_delay_alu instid0(SALU_CYCLE_1) | instskip(NEXT) | instid1(SALU_CYCLE_1)
	s_or_b32 s41, s13, s41
	s_and_not1_b32 exec_lo, exec_lo, s41
	s_cbranch_execnz .LBB6_4163
; %bb.12273:                            ;   in Loop: Header=BB6_47 Depth=1
	s_add_pc_i64 .LBB6_11676-.Lpost_addpc26
.Lpost_addpc26:
.LBB6_4163:                             ;   Parent Loop BB6_47 Depth=1
                                        ; =>  This Loop Header: Depth=2
                                        ;       Child Loop BB6_4171 Depth 3
                                        ;       Child Loop BB6_4199 Depth 3
	;; [unrolled: 1-line block ×5, first 2 shown]
                                        ;         Child Loop BB6_6731 Depth 4
                                        ;       Child Loop BB6_6741 Depth 3
                                        ;       Child Loop BB6_7897 Depth 3
                                        ;         Child Loop BB6_7934 Depth 4
                                        ;       Child Loop BB6_7947 Depth 3
                                        ;       Child Loop BB6_9936 Depth 3
	;; [unrolled: 1-line block ×6, first 2 shown]
	s_wait_xcnt 0x0
	s_and_saveexec_b32 s13, s0
	s_cbranch_execz .LBB6_4165
; %bb.4164:                             ;   in Loop: Header=BB6_4163 Depth=2
	s_trap 2
	ds_load_b64 v[0:1], v0
	s_wait_dscnt 0x0
	ds_load_2addr_b64 v[8:11], v0 offset1:1
	v_add_nc_u64_e32 v[4:5], v[0:1], v[40:41]
	v_cmp_ne_u64_e32 vcc_lo, 0, v[0:1]
	v_ashrrev_i32_e32 v77, 31, v76
	s_delay_alu instid0(VALU_DEP_1) | instskip(NEXT) | instid1(VALU_DEP_1)
	v_add_nc_u64_e32 v[4:5], v[4:5], v[76:77]
	v_dual_cndmask_b32 v5, 0, v5 :: v_dual_cndmask_b32 v4, 0, v4
	s_wait_dscnt 0x0
	v_add_nc_u64_e32 v[8:9], v[8:9], v[40:41]
	v_add_nc_u64_e32 v[10:11], v[10:11], v[40:41]
	s_delay_alu instid0(VALU_DEP_2) | instskip(NEXT) | instid1(VALU_DEP_2)
	v_add_nc_u64_e32 v[0:1], v[8:9], v[76:77]
	v_add_nc_u64_e32 v[8:9], v[10:11], v[76:77]
	ds_store_b64 v0, v[0:1]
	ds_store_b64 v0, v[8:9]
	;; [unrolled: 1-line block ×3, first 2 shown]
.LBB6_4165:                             ;   in Loop: Header=BB6_4163 Depth=2
	s_or_b32 exec_lo, exec_lo, s13
	v_dual_sub_nc_u32 v0, v122, v76 :: v_dual_bitop2_b32 v1, 12, v30 bitop3:0x40
	s_mov_b32 s14, exec_lo
	s_delay_alu instid0(VALU_DEP_1) | instskip(NEXT) | instid1(VALU_DEP_2)
	v_min_i32_e32 v74, v74, v0
	v_cmpx_ne_u32_e32 0, v1
	s_cbranch_execz .LBB6_4191
; %bb.4166:                             ;   in Loop: Header=BB6_4163 Depth=2
	v_and_b32_e32 v2, 8, v30
	v_add_nc_u64_e32 v[8:9], 2, v[60:61]
	s_mov_b32 s15, exec_lo
	s_wait_loadcnt_dscnt 0x1
	s_delay_alu instid0(VALU_DEP_2) | instskip(NEXT) | instid1(VALU_DEP_1)
	v_add_nc_u64_e32 v[0:1], v[82:83], v[2:3]
	v_cmpx_lt_u64_e64 v[0:1], v[8:9]
	s_cbranch_execz .LBB6_4178
; %bb.4167:                             ;   in Loop: Header=BB6_4163 Depth=2
	v_and_b32_e32 v0, 64, v30
	s_mov_b32 s44, 0
	s_mov_b32 s76, 0
                                        ; implicit-def: $sgpr45
                                        ; implicit-def: $sgpr74
                                        ; implicit-def: $sgpr75
	s_delay_alu instid0(VALU_DEP_1)
	v_cmp_eq_u32_e32 vcc_lo, 0, v0
	s_branch .LBB6_4171
.LBB6_4168:                             ;   in Loop: Header=BB6_4171 Depth=3
	s_wait_loadcnt_dscnt 0x0
	v_add_nc_u64_e32 v[4:5], v[82:83], v[2:3]
	s_or_b32 s79, s79, exec_lo
	s_delay_alu instid0(VALU_DEP_1)
	v_cmp_ge_u64_e64 s13, v[4:5], v[8:9]
	s_or_not1_b32 s78, s13, exec_lo
.LBB6_4169:                             ;   in Loop: Header=BB6_4171 Depth=3
	s_or_b32 exec_lo, exec_lo, s89
	s_delay_alu instid0(SALU_CYCLE_1)
	s_and_not1_b32 s13, s75, exec_lo
	s_and_b32 s75, s79, exec_lo
	s_and_not1_b32 s74, s74, exec_lo
	s_and_b32 s78, s78, exec_lo
	s_or_b32 s75, s13, s75
	s_or_b32 s74, s74, s78
.LBB6_4170:                             ;   in Loop: Header=BB6_4171 Depth=3
	s_or_b32 exec_lo, exec_lo, s77
	s_delay_alu instid0(SALU_CYCLE_1) | instskip(NEXT) | instid1(SALU_CYCLE_1)
	s_and_b32 s13, exec_lo, s74
	s_or_b32 s44, s13, s44
	s_and_not1_b32 s13, s45, exec_lo
	s_and_b32 s45, s75, exec_lo
	s_delay_alu instid0(SALU_CYCLE_1)
	s_or_b32 s45, s13, s45
	s_and_not1_b32 exec_lo, exec_lo, s44
	s_cbranch_execz .LBB6_4175
.LBB6_4171:                             ;   Parent Loop BB6_47 Depth=1
                                        ;     Parent Loop BB6_4163 Depth=2
                                        ; =>    This Inner Loop Header: Depth=3
	s_sleep 1
	s_wait_loadcnt_dscnt 0x0
	flat_load_b64 v[82:83], v[64:65] scope:SCOPE_SYS
	s_or_b32 s75, s75, exec_lo
	s_or_b32 s74, s74, exec_lo
                                        ; implicit-def: $vgpr1
	s_wait_xcnt 0x0
	s_and_saveexec_b32 s77, vcc_lo
	s_cbranch_execz .LBB6_4170
; %bb.4172:                             ;   in Loop: Header=BB6_4171 Depth=3
	s_cmp_lt_i32 s76, 0x270f
	s_mov_b32 s78, -1
	s_cselect_b32 s88, -1, 0
	s_cmp_gt_i32 s76, 0x270e
	s_cbranch_scc0 .LBB6_4174
; %bb.4173:                             ;   in Loop: Header=BB6_4171 Depth=3
	s_trap 2
	ds_load_b64 v[0:1], v0
	s_and_not1_b32 s76, s88, exec_lo
	s_mov_b32 s79, 0
	s_wait_storecnt 0x0
	s_wait_loadcnt_dscnt 0x0
	flat_load_b32 v1, v[0:1] scope:SCOPE_SYS
	s_wait_loadcnt_dscnt 0x0
	global_inv scope:SCOPE_SYS
	v_cmp_eq_u32_e64 s13, 0, v1
	s_and_b32 s13, s13, exec_lo
	s_delay_alu instid0(SALU_CYCLE_1)
	s_or_b32 s88, s76, s13
	s_mov_b32 s76, 0
	s_wait_xcnt 0x0
	s_and_saveexec_b32 s89, s88
	s_cbranch_execz .LBB6_4169
	s_branch .LBB6_4168
.LBB6_4174:                             ;   in Loop: Header=BB6_4171 Depth=3
	s_add_co_i32 s76, s76, 1
	s_mov_b32 s79, -1
                                        ; implicit-def: $vgpr1
	s_and_saveexec_b32 s89, s88
	s_cbranch_execz .LBB6_4169
	s_branch .LBB6_4168
.LBB6_4175:                             ;   in Loop: Header=BB6_4163 Depth=2
	s_or_b32 exec_lo, exec_lo, s44
	s_xor_b32 s13, s45, -1
	s_delay_alu instid0(SALU_CYCLE_1) | instskip(NEXT) | instid1(SALU_CYCLE_1)
	s_and_saveexec_b32 s44, s13
	s_xor_b32 s13, exec_lo, s44
	s_cbranch_execz .LBB6_4177
; %bb.4176:                             ;   in Loop: Header=BB6_4163 Depth=2
	v_or_b32_e32 v30, 64, v30
	s_wait_storecnt 0x0
	s_wait_loadcnt_dscnt 0x0
	ds_store_b32 v0, v1
	s_trap 2
.LBB6_4177:                             ;   in Loop: Header=BB6_4163 Depth=2
	s_or_b32 exec_lo, exec_lo, s13
.LBB6_4178:                             ;   in Loop: Header=BB6_4163 Depth=2
	s_delay_alu instid0(SALU_CYCLE_1) | instskip(SKIP_3) | instid1(VALU_DEP_1)
	s_or_b32 exec_lo, exec_lo, s15
	v_and_b32_e32 v0, 0x108, v30
	s_mov_b32 s13, exec_lo
	;;#ASMSTART
	s_wakeup
	;;#ASMEND
                                        ; implicit-def: $vgpr10_vgpr11
	v_cmpx_ne_u32_e32 0x108, v0
	s_xor_b32 s13, exec_lo, s13
; %bb.4179:                             ;   in Loop: Header=BB6_4163 Depth=2
	v_dual_mov_b32 v11, v3 :: v_dual_bitop2_b32 v10, 7, v60 bitop3:0x40
                                        ; implicit-def: $vgpr60_vgpr61
; %bb.4180:                             ;   in Loop: Header=BB6_4163 Depth=2
	s_and_not1_saveexec_b32 s13, s13
	s_cbranch_execz .LBB6_4182
; %bb.4181:                             ;   in Loop: Header=BB6_4163 Depth=2
	v_dual_ashrrev_i32 v75, 31, v74 :: v_dual_bitop2_b32 v10, 7, v60 bitop3:0x40
	v_mov_b32_e32 v11, v3
	s_delay_alu instid0(VALU_DEP_2)
	v_mad_nc_u64_u32 v[0:1], v10, 24, v[6:7]
	flat_store_b64 v[0:1], v[74:75] offset:8
.LBB6_4182:                             ;   in Loop: Header=BB6_4163 Depth=2
	s_wait_xcnt 0x0
	s_or_b32 exec_lo, exec_lo, s13
	v_and_b32_e32 v0, 0x100, v30
	s_mov_b32 s13, -1
	s_mov_b32 s15, exec_lo
                                        ; implicit-def: $vgpr12_vgpr13
	s_delay_alu instid0(VALU_DEP_1)
	v_cmpx_ne_u32_e32 0, v0
	s_cbranch_execz .LBB6_4186
; %bb.4183:                             ;   in Loop: Header=BB6_4163 Depth=2
	v_mad_nc_u64_u32 v[14:15], v10, 24, v[6:7]
	s_mov_b32 s44, exec_lo
                                        ; implicit-def: $vgpr12_vgpr13
	s_delay_alu instid0(VALU_DEP_1)
	v_mad_u32 v15, v11, 24, v15
	flat_load_b32 v0, v[14:15]
	s_wait_loadcnt_dscnt 0x0
	v_cmp_ne_u32_e32 vcc_lo, 1, v0
	s_wait_xcnt 0x0
	v_cmpx_eq_u32_e32 1, v0
	s_cbranch_execz .LBB6_4185
; %bb.4184:                             ;   in Loop: Header=BB6_4163 Depth=2
	flat_load_b32 v12, v[14:15] offset:4 scope:SCOPE_SYS
	s_wait_loadcnt_dscnt 0x0
	v_ashrrev_i32_e32 v13, 31, v12
.LBB6_4185:                             ;   in Loop: Header=BB6_4163 Depth=2
	s_wait_xcnt 0x0
	s_or_b32 exec_lo, exec_lo, s44
	s_delay_alu instid0(SALU_CYCLE_1)
	s_or_not1_b32 s13, vcc_lo, exec_lo
.LBB6_4186:                             ;   in Loop: Header=BB6_4163 Depth=2
	s_or_b32 exec_lo, exec_lo, s15
	s_and_saveexec_b32 s15, s13
	s_cbranch_execz .LBB6_4188
; %bb.4187:                             ;   in Loop: Header=BB6_4163 Depth=2
	scratch_load_b64 v[0:1], off, s33 offset:204 ; 8-byte Folded Reload
	s_wait_loadcnt 0x0
	v_mul_u64_e32 v[12:13], v[10:11], v[0:1]
.LBB6_4188:                             ;   in Loop: Header=BB6_4163 Depth=2
	s_wait_xcnt 0x0
	s_or_b32 exec_lo, exec_lo, s15
	v_cmp_eq_u32_e32 vcc_lo, 0, v2
	s_delay_alu instid0(VALU_DEP_2) | instskip(SKIP_3) | instid1(VALU_DEP_1)
	v_add_nc_u64_e32 v[0:1], v[68:69], v[12:13]
	v_and_b32_e32 v4, 0x2000, v30
	s_mov_b32 s13, exec_lo
	v_cndmask_b32_e32 v2, 0xd0, v94, vcc_lo
	v_add_nc_u32_e32 v2, v0, v2
	ds_store_b64 v2, v[0:1] offset:584
	v_cmpx_ne_u32_e32 0, v4
	s_cbranch_execz .LBB6_4190
; %bb.4189:                             ;   in Loop: Header=BB6_4163 Depth=2
	ds_load_b64 v[0:1], v0 offset:872
	s_wait_dscnt 0x0
	v_add_nc_u64_e32 v[0:1], 1, v[0:1]
	ds_store_b64 v0, v[0:1] offset:872
.LBB6_4190:                             ;   in Loop: Header=BB6_4163 Depth=2
	s_or_b32 exec_lo, exec_lo, s13
	v_mov_b64_e32 v[60:61], v[8:9]
.LBB6_4191:                             ;   in Loop: Header=BB6_4163 Depth=2
	s_or_b32 exec_lo, exec_lo, s14
	s_and_saveexec_b32 s13, s2
	s_cbranch_execz .LBB6_4210
; %bb.4192:                             ;   in Loop: Header=BB6_4163 Depth=2
	s_and_saveexec_b32 s14, s3
	s_delay_alu instid0(SALU_CYCLE_1)
	s_xor_b32 s14, exec_lo, s14
	s_cbranch_execz .LBB6_4207
; %bb.4193:                             ;   in Loop: Header=BB6_4163 Depth=2
	s_and_saveexec_b32 s15, s6
	s_cbranch_execz .LBB6_4206
; %bb.4194:                             ;   in Loop: Header=BB6_4163 Depth=2
	s_mov_b32 s45, exec_lo
	s_mov_b32 s44, exec_lo
	v_mbcnt_lo_u32_b32 v0, s45, 0
	global_wb scope:SCOPE_DEV
	s_wait_storecnt 0x0
	s_wait_loadcnt_dscnt 0x0
	global_inv scope:SCOPE_DEV
	v_cmpx_eq_u32_e32 0, v0
	s_cbranch_execz .LBB6_4196
; %bb.4195:                             ;   in Loop: Header=BB6_4163 Depth=2
	s_bcnt1_i32_b32 s45, s45
	s_delay_alu instid0(SALU_CYCLE_1)
	v_mov_b32_e32 v2, s45
	s_wait_loadcnt 0x0
	ds_add_u64 v0, v[2:3]
	s_trap 2
.LBB6_4196:                             ;   in Loop: Header=BB6_4163 Depth=2
	s_or_b32 exec_lo, exec_lo, s44
	s_trap 2
	ds_load_b64 v[0:1], v0
	s_wait_dscnt 0x0
	v_add_nc_u64_e32 v[80:81], v[80:81], v[84:85]
	s_mov_b32 s44, exec_lo
	s_delay_alu instid0(VALU_DEP_1)
	v_cmpx_lt_u64_e64 v[0:1], v[80:81]
	s_cbranch_execz .LBB6_4205
; %bb.4197:                             ;   in Loop: Header=BB6_4163 Depth=2
	s_mov_b32 s45, 0
	s_mov_b32 s76, 0
                                        ; implicit-def: $sgpr74
                                        ; implicit-def: $sgpr75
	s_branch .LBB6_4199
.LBB6_4198:                             ;   in Loop: Header=BB6_4199 Depth=3
	s_or_b32 exec_lo, exec_lo, s78
	s_delay_alu instid0(SALU_CYCLE_1) | instskip(NEXT) | instid1(SALU_CYCLE_1)
	s_and_b32 s77, exec_lo, s79
	s_or_b32 s45, s77, s45
	s_and_not1_b32 s74, s74, exec_lo
	s_and_b32 s77, s75, exec_lo
	s_delay_alu instid0(SALU_CYCLE_1)
	s_or_b32 s74, s74, s77
	s_and_not1_b32 exec_lo, exec_lo, s45
	s_cbranch_execz .LBB6_4203
.LBB6_4199:                             ;   Parent Loop BB6_47 Depth=1
                                        ;     Parent Loop BB6_4163 Depth=2
                                        ; =>    This Inner Loop Header: Depth=3
	s_add_co_i32 s76, s76, 1
	s_delay_alu instid0(SALU_CYCLE_1) | instskip(SKIP_1) | instid1(SALU_CYCLE_1)
	s_cmp_lg_u32 s76, 0x2710
	s_cselect_b32 s77, -1, 0
	s_and_b32 vcc_lo, exec_lo, s77
	s_cbranch_vccz .LBB6_4201
; %bb.4200:                             ;   in Loop: Header=BB6_4199 Depth=3
	s_mov_b32 s79, -1
	s_or_b32 s75, s75, exec_lo
	s_and_saveexec_b32 s78, s77
	s_cbranch_execz .LBB6_4198
	s_branch .LBB6_4202
.LBB6_4201:                             ;   in Loop: Header=BB6_4199 Depth=3
	s_trap 2
	ds_load_b64 v[0:1], v0
	s_and_not1_b32 s77, s77, exec_lo
	s_mov_b32 s76, 0
	s_wait_loadcnt_dscnt 0x0
	flat_load_b32 v0, v[0:1] scope:SCOPE_SYS
	s_wait_loadcnt_dscnt 0x0
	global_inv scope:SCOPE_SYS
	v_cmp_eq_u32_e32 vcc_lo, 0, v0
	s_and_b32 s78, vcc_lo, exec_lo
	s_delay_alu instid0(SALU_CYCLE_1)
	s_or_b32 s77, s77, s78
	s_mov_b32 s79, -1
	s_or_b32 s75, s75, exec_lo
	s_wait_xcnt 0x0
	s_and_saveexec_b32 s78, s77
	s_cbranch_execz .LBB6_4198
.LBB6_4202:                             ;   in Loop: Header=BB6_4199 Depth=3
	s_sleep 1
	s_trap 2
	ds_load_b64 v[0:1], v0
	s_wait_dscnt 0x0
	s_and_not1_b32 s75, s75, exec_lo
	v_cmp_ge_u64_e32 vcc_lo, v[0:1], v[80:81]
	s_or_not1_b32 s79, vcc_lo, exec_lo
	s_branch .LBB6_4198
.LBB6_4203:                             ;   in Loop: Header=BB6_4163 Depth=2
	s_or_b32 exec_lo, exec_lo, s45
	s_and_saveexec_b32 s45, s74
	s_delay_alu instid0(SALU_CYCLE_1)
	s_xor_b32 s45, exec_lo, s45
	s_cbranch_execz .LBB6_4205
; %bb.4204:                             ;   in Loop: Header=BB6_4163 Depth=2
	ds_store_b32 v0, v43
	s_trap 2
.LBB6_4205:                             ;   in Loop: Header=BB6_4163 Depth=2
	s_or_b32 exec_lo, exec_lo, s44
	;;#ASMSTART
	s_wakeup
	;;#ASMEND
.LBB6_4206:                             ;   in Loop: Header=BB6_4163 Depth=2
	s_or_b32 exec_lo, exec_lo, s15
.LBB6_4207:                             ;   in Loop: Header=BB6_4163 Depth=2
	s_and_not1_saveexec_b32 s14, s14
	s_cbranch_execz .LBB6_4209
; %bb.4208:                             ;   in Loop: Header=BB6_4163 Depth=2
	global_wb scope:SCOPE_DEV
	s_wait_storecnt 0x0
	s_wait_loadcnt_dscnt 0x0
	global_inv scope:SCOPE_DEV
	s_barrier_signal -1
	s_barrier_wait -1
.LBB6_4209:                             ;   in Loop: Header=BB6_4163 Depth=2
	s_or_b32 exec_lo, exec_lo, s14
.LBB6_4210:                             ;   in Loop: Header=BB6_4163 Depth=2
	s_delay_alu instid0(SALU_CYCLE_1) | instskip(SKIP_4) | instid1(VALU_DEP_1)
	s_or_b32 exec_lo, exec_lo, s13
	s_trap 2
	ds_load_b32 v1, v0
	v_and_b32_e32 v0, 0x4000, v30
	s_xor_b32 s13, s1, -1
	v_cmp_ne_u32_e32 vcc_lo, 0, v0
	s_and_b32 s14, s13, vcc_lo
	s_delay_alu instid0(SALU_CYCLE_1)
	s_and_saveexec_b32 s13, s14
	s_cbranch_execz .LBB6_4229
; %bb.4211:                             ;   in Loop: Header=BB6_4163 Depth=2
	s_and_saveexec_b32 s14, s3
	s_delay_alu instid0(SALU_CYCLE_1)
	s_xor_b32 s14, exec_lo, s14
	s_cbranch_execz .LBB6_4226
; %bb.4212:                             ;   in Loop: Header=BB6_4163 Depth=2
	s_and_saveexec_b32 s15, s6
	s_cbranch_execz .LBB6_4225
; %bb.4213:                             ;   in Loop: Header=BB6_4163 Depth=2
	s_mov_b32 s45, exec_lo
	s_mov_b32 s44, exec_lo
	v_mbcnt_lo_u32_b32 v0, s45, 0
	global_wb scope:SCOPE_DEV
	s_wait_storecnt 0x0
	s_wait_loadcnt_dscnt 0x0
	global_inv scope:SCOPE_DEV
	v_cmpx_eq_u32_e32 0, v0
	s_cbranch_execz .LBB6_4215
; %bb.4214:                             ;   in Loop: Header=BB6_4163 Depth=2
	s_bcnt1_i32_b32 s45, s45
	s_delay_alu instid0(SALU_CYCLE_1)
	v_mov_b32_e32 v2, s45
	s_wait_loadcnt 0x0
	ds_add_u64 v0, v[2:3]
	s_trap 2
.LBB6_4215:                             ;   in Loop: Header=BB6_4163 Depth=2
	s_or_b32 exec_lo, exec_lo, s44
	s_trap 2
	ds_load_b64 v[4:5], v0
	s_wait_dscnt 0x0
	v_add_nc_u64_e32 v[80:81], v[80:81], v[84:85]
	s_mov_b32 s44, exec_lo
	s_delay_alu instid0(VALU_DEP_1)
	v_cmpx_lt_u64_e64 v[4:5], v[80:81]
	s_cbranch_execz .LBB6_4224
; %bb.4216:                             ;   in Loop: Header=BB6_4163 Depth=2
	s_mov_b32 s45, 0
	s_mov_b32 s76, 0
                                        ; implicit-def: $sgpr74
                                        ; implicit-def: $sgpr75
	s_branch .LBB6_4218
.LBB6_4217:                             ;   in Loop: Header=BB6_4218 Depth=3
	s_or_b32 exec_lo, exec_lo, s78
	s_delay_alu instid0(SALU_CYCLE_1) | instskip(NEXT) | instid1(SALU_CYCLE_1)
	s_and_b32 s77, exec_lo, s79
	s_or_b32 s45, s77, s45
	s_and_not1_b32 s74, s74, exec_lo
	s_and_b32 s77, s75, exec_lo
	s_delay_alu instid0(SALU_CYCLE_1)
	s_or_b32 s74, s74, s77
	s_and_not1_b32 exec_lo, exec_lo, s45
	s_cbranch_execz .LBB6_4222
.LBB6_4218:                             ;   Parent Loop BB6_47 Depth=1
                                        ;     Parent Loop BB6_4163 Depth=2
                                        ; =>    This Inner Loop Header: Depth=3
	s_add_co_i32 s76, s76, 1
	s_delay_alu instid0(SALU_CYCLE_1) | instskip(SKIP_1) | instid1(SALU_CYCLE_1)
	s_cmp_lg_u32 s76, 0x2710
	s_cselect_b32 s77, -1, 0
	s_and_b32 vcc_lo, exec_lo, s77
	s_cbranch_vccz .LBB6_4220
; %bb.4219:                             ;   in Loop: Header=BB6_4218 Depth=3
	s_mov_b32 s79, -1
	s_or_b32 s75, s75, exec_lo
	s_and_saveexec_b32 s78, s77
	s_cbranch_execz .LBB6_4217
	s_branch .LBB6_4221
.LBB6_4220:                             ;   in Loop: Header=BB6_4218 Depth=3
	s_trap 2
	ds_load_b64 v[4:5], v0
	s_and_not1_b32 s77, s77, exec_lo
	s_mov_b32 s76, 0
	s_wait_loadcnt_dscnt 0x0
	flat_load_b32 v0, v[4:5] scope:SCOPE_SYS
	s_wait_loadcnt_dscnt 0x0
	global_inv scope:SCOPE_SYS
	v_cmp_eq_u32_e32 vcc_lo, 0, v0
	s_and_b32 s78, vcc_lo, exec_lo
	s_delay_alu instid0(SALU_CYCLE_1)
	s_or_b32 s77, s77, s78
	s_mov_b32 s79, -1
	s_or_b32 s75, s75, exec_lo
	s_wait_xcnt 0x0
	s_and_saveexec_b32 s78, s77
	s_cbranch_execz .LBB6_4217
.LBB6_4221:                             ;   in Loop: Header=BB6_4218 Depth=3
	s_sleep 1
	s_trap 2
	ds_load_b64 v[4:5], v0
	s_wait_dscnt 0x0
	s_and_not1_b32 s75, s75, exec_lo
	v_cmp_ge_u64_e32 vcc_lo, v[4:5], v[80:81]
	s_or_not1_b32 s79, vcc_lo, exec_lo
	s_branch .LBB6_4217
.LBB6_4222:                             ;   in Loop: Header=BB6_4163 Depth=2
	s_or_b32 exec_lo, exec_lo, s45
	s_and_saveexec_b32 s45, s74
	s_delay_alu instid0(SALU_CYCLE_1)
	s_xor_b32 s45, exec_lo, s45
	s_cbranch_execz .LBB6_4224
; %bb.4223:                             ;   in Loop: Header=BB6_4163 Depth=2
	ds_store_b32 v0, v43
	s_trap 2
.LBB6_4224:                             ;   in Loop: Header=BB6_4163 Depth=2
	s_or_b32 exec_lo, exec_lo, s44
	;;#ASMSTART
	s_wakeup
	;;#ASMEND
.LBB6_4225:                             ;   in Loop: Header=BB6_4163 Depth=2
	s_or_b32 exec_lo, exec_lo, s15
.LBB6_4226:                             ;   in Loop: Header=BB6_4163 Depth=2
	s_and_not1_saveexec_b32 s14, s14
	s_cbranch_execz .LBB6_4228
; %bb.4227:                             ;   in Loop: Header=BB6_4163 Depth=2
	global_wb scope:SCOPE_DEV
	s_wait_storecnt 0x0
	s_wait_loadcnt_dscnt 0x0
	global_inv scope:SCOPE_DEV
	s_barrier_signal -1
	s_barrier_wait -1
.LBB6_4228:                             ;   in Loop: Header=BB6_4163 Depth=2
	s_or_b32 exec_lo, exec_lo, s14
.LBB6_4229:                             ;   in Loop: Header=BB6_4163 Depth=2
	s_delay_alu instid0(SALU_CYCLE_1)
	s_or_b32 exec_lo, exec_lo, s13
	s_trap 2
	ds_load_b64 v[4:5], v0
	s_wait_dscnt 0x0
	v_cmp_eq_u64_e32 vcc_lo, 0, v[4:5]
	scratch_store_b64 off, v[4:5], s33 offset:248 ; 8-byte Folded Spill
	s_cbranch_vccnz .LBB6_4238
; %bb.4230:                             ;   in Loop: Header=BB6_4163 Depth=2
	s_trap 2
	s_wait_xcnt 0x0
	ds_load_b64 v[4:5], v0
	s_wait_dscnt 0x0
	v_cmp_eq_u64_e32 vcc_lo, 0, v[4:5]
	scratch_store_b64 off, v[4:5], s33 offset:256 ; 8-byte Folded Spill
	s_cbranch_vccnz .LBB6_4238
; %bb.4231:                             ;   in Loop: Header=BB6_4163 Depth=2
	s_trap 2
	ds_load_b64 v[92:93], v0
	v_cmp_eq_u32_e64 s13, 0, v1
	s_delay_alu instid0(VALU_DEP_1)
	v_cndmask_b32_e64 v75, 0, v74, s13
	s_mov_b32 s13, -1
	s_wait_dscnt 0x0
	v_cmp_ne_u64_e32 vcc_lo, 0, v[92:93]
	s_cbranch_vccz .LBB6_7937
; %bb.4232:                             ;   in Loop: Header=BB6_4163 Depth=2
	s_wait_xcnt 0x0
	s_and_saveexec_b32 s14, s12
	s_cbranch_execz .LBB6_4234
; %bb.4233:                             ;   in Loop: Header=BB6_4163 Depth=2
	ds_load_b32 v0, v0 offset:720
	s_wait_dscnt 0x0
	v_and_b32_e32 v0, 15, v0
	s_delay_alu instid0(VALU_DEP_1)
	v_cmp_eq_u32_e32 vcc_lo, 0, v0
	s_or_not1_b32 s13, vcc_lo, exec_lo
.LBB6_4234:                             ;   in Loop: Header=BB6_4163 Depth=2
	s_or_b32 exec_lo, exec_lo, s14
	s_and_saveexec_b32 s14, s12
	s_cbranch_execz .LBB6_4236
; %bb.4235:                             ;   in Loop: Header=BB6_4163 Depth=2
	ds_load_b32 v0, v0 offset:784
	s_wait_dscnt 0x0
	v_and_b32_e32 v0, 15, v0
	s_delay_alu instid0(VALU_DEP_1) | instskip(SKIP_3) | instid1(SALU_CYCLE_1)
	v_cmp_eq_u32_e32 vcc_lo, 0, v0
	s_and_b32 s15, s13, vcc_lo
	s_and_not1_b32 s13, s13, exec_lo
	s_and_b32 s15, s15, exec_lo
	s_or_b32 s13, s13, s15
.LBB6_4236:                             ;   in Loop: Header=BB6_4163 Depth=2
	s_or_b32 exec_lo, exec_lo, s14
	s_xor_b32 s13, s13, -1
	v_dual_mov_b32 v1, 0 :: v_dual_mov_b32 v4, v75
	v_cndmask_b32_e64 v0, 0, 1, s13
	s_wait_loadcnt 0x0
	v_dual_mov_b32 v5, v42 :: v_dual_mov_b32 v2, v95
	s_mov_b32 s13, -1
	s_delay_alu instid0(VALU_DEP_2)
	v_cmp_ne_u32_e32 vcc_lo, 0, v0
	s_cbranch_vccz .LBB6_4243
; %bb.4237:                             ;   in Loop: Header=BB6_4163 Depth=2
	s_and_saveexec_b32 s15, s13
	s_cbranch_execnz .LBB6_6738
	s_branch .LBB6_7936
.LBB6_4238:                             ;   in Loop: Header=BB6_4163 Depth=2
	s_mov_b32 s13, 0
	s_wait_xcnt 0x0
	s_and_saveexec_b32 s14, s2
	s_cbranch_execz .LBB6_4239
; %bb.12275:                            ;   in Loop: Header=BB6_4163 Depth=2
	s_add_pc_i64 .LBB6_11635-.Lpost_addpc27
.Lpost_addpc27:
.LBB6_4239:                             ;   in Loop: Header=BB6_4163 Depth=2
	s_or_b32 exec_lo, exec_lo, s14
                                        ; implicit-def: $vgpr0
	s_and_saveexec_b32 s14, s10
	s_delay_alu instid0(SALU_CYCLE_1)
	s_xor_b32 s14, exec_lo, s14
	s_cbranch_execnz .LBB6_4240
; %bb.12277:                            ;   in Loop: Header=BB6_4163 Depth=2
	s_add_pc_i64 .LBB6_11653-.Lpost_addpc28
.Lpost_addpc28:
.LBB6_4240:                             ;   in Loop: Header=BB6_4163 Depth=2
	v_and_b32_e32 v0, 16, v30
	s_delay_alu instid0(VALU_DEP_1) | instskip(SKIP_2) | instid1(SALU_CYCLE_1)
	v_cmp_ne_u32_e32 vcc_lo, 0, v0
	v_and_b32_e32 v0, 16, v30
	s_and_b32 s15, vcc_lo, s13
	s_and_saveexec_b32 s13, s15
	s_cbranch_execz .LBB6_4242
; %bb.4241:                             ;   in Loop: Header=BB6_4163 Depth=2
	v_mov_b32_e32 v0, 1
	global_wb scope:SCOPE_SYS
	s_wait_storecnt 0x0
	s_wait_loadcnt_dscnt 0x0
	global_inv scope:SCOPE_SYS
.LBB6_4242:                             ;   in Loop: Header=BB6_4163 Depth=2
	s_or_b32 exec_lo, exec_lo, s13
	s_and_not1_saveexec_b32 s13, s14
	s_cbranch_execnz .LBB6_12261
; %bb.12279:                            ;   in Loop: Header=BB6_4163 Depth=2
	s_add_pc_i64 .LBB6_11672-.Lpost_addpc29
.Lpost_addpc29:
.LBB6_12261:                            ;   in Loop: Header=BB6_4163 Depth=2
	s_add_pc_i64 .LBB6_11654-.Lpost_addpc20
.Lpost_addpc20:
.LBB6_4243:                             ;   in Loop: Header=BB6_4163 Depth=2
	v_ashrrev_i32_e32 v0, 31, v75
	s_mov_b32 s14, exec_lo
	s_delay_alu instid0(VALU_DEP_1) | instskip(NEXT) | instid1(VALU_DEP_1)
	v_lshrrev_b32_e32 v0, 21, v0
	v_add_nc_u32_e32 v0, v75, v0
	s_delay_alu instid0(VALU_DEP_1) | instskip(NEXT) | instid1(VALU_DEP_1)
	v_ashrrev_i32_e32 v0, 11, v0
	v_sub_nc_u32_e32 v77, v0, v95
	s_delay_alu instid0(VALU_DEP_1)
	v_cmpx_lt_i32_e32 0, v77
	s_cbranch_execz .LBB6_6231
; %bb.4244:                             ;   in Loop: Header=BB6_4163 Depth=2
	scratch_store_b32 off, v0, s33 offset:280 ; 4-byte Folded Spill
	s_trap 2
	s_wait_xcnt 0x0
	ds_load_b64 v[0:1], v0
	s_clause 0x1
	scratch_load_b64 v[4:5], off, s33 offset:240
	scratch_load_b64 v[8:9], off, s33 offset:256
	s_mov_b32 s15, 0
	s_wait_loadcnt 0x1
	v_add_nc_u64_e32 v[104:105], v[92:93], v[4:5]
	s_wait_loadcnt 0x0
	v_add_nc_u64_e32 v[94:95], v[8:9], v[4:5]
	scratch_load_b64 v[8:9], off, s33 offset:248 ; 8-byte Folded Reload
	s_wait_dscnt 0x0
	v_add_nc_u64_e32 v[108:109], v[0:1], v[4:5]
	s_wait_loadcnt 0x0
	v_add_nc_u64_e32 v[106:107], v[8:9], v[4:5]
	s_branch .LBB6_4246
.LBB6_4245:                             ;   in Loop: Header=BB6_4246 Depth=3
	s_or_b32 exec_lo, exec_lo, s13
	v_lshl_or_b32 v0, v58, 8, v97
	v_dual_lshlrev_b32 v8, 16, v24 :: v_dual_lshlrev_b32 v9, 24, v25
	v_lshl_or_b32 v10, v35, 8, v34
	v_lshlrev_b32_e32 v11, 16, v91
	v_lshl_or_b32 v13, v27, 8, v26
	v_dual_lshlrev_b32 v14, 16, v59 :: v_dual_lshlrev_b32 v15, 24, v72
	v_or3_b32 v9, v0, v8, v9
	v_dual_lshlrev_b32 v0, 24, v96 :: v_dual_lshlrev_b32 v21, 24, v21
	v_lshlrev_b32_e32 v20, 16, v20
	v_lshl_or_b32 v24, v56, 8, v73
	v_lshl_or_b32 v1, v1, 8, v31
	v_dual_lshlrev_b32 v25, 16, v36 :: v_dual_lshlrev_b32 v26, 24, v37
	v_lshl_or_b32 v27, v51, 8, v50
	v_dual_lshlrev_b32 v31, 16, v63 :: v_dual_lshlrev_b32 v34, 24, v54
	v_or3_b32 v8, v10, v11, v0
	v_or3_b32 v10, v13, v14, v15
	v_or3_b32 v11, v24, v20, v21
	v_or3_b32 v25, v1, v25, v26
	v_lshl_or_b32 v0, v39, 8, v38
	v_dual_lshlrev_b32 v1, 16, v78 :: v_dual_lshlrev_b32 v13, 24, v79
	v_lshl_or_b32 v4, v4, 8, v101
	v_dual_lshlrev_b32 v5, 16, v5 :: v_dual_lshlrev_b32 v21, 24, v110
	v_dual_lshlrev_b32 v14, 24, v33 :: v_dual_lshlrev_b32 v15, 16, v32
	v_lshl_or_b32 v20, v90, 8, v53
	v_or3_b32 v24, v27, v31, v34
	v_lshl_or_b32 v28, v28, 8, v55
	v_dual_lshlrev_b32 v29, 16, v29 :: v_dual_lshlrev_b32 v31, 24, v100
	v_lshl_or_b32 v34, v120, 8, v111
	v_dual_lshlrev_b32 v35, 16, v121 :: v_dual_lshlrev_b32 v36, 24, v98
	v_or3_b32 v26, v0, v1, v13
	v_or3_b32 v33, v4, v5, v21
	v_dual_lshlrev_b32 v0, 24, v49 :: v_dual_lshlrev_b32 v1, 16, v48
	v_lshl_or_b32 v4, v62, 8, v99
	v_or3_b32 v27, v20, v15, v14
	v_lshl_or_b32 v5, v126, 8, v47
	v_dual_lshlrev_b32 v13, 16, v16 :: v_dual_lshlrev_b32 v14, 24, v17
	v_lshl_or_b32 v15, v23, 8, v22
	v_dual_lshlrev_b32 v16, 16, v57 :: v_dual_lshlrev_b32 v17, 24, v46
	;; [unrolled: 2-line block ×3, first 2 shown]
	v_dual_lshlrev_b32 v2, 24, v2 :: v_dual_lshlrev_b32 v21, 16, v12
	v_lshl_or_b32 v22, v66, 8, v43
	v_or3_b32 v32, v28, v29, v31
	v_or3_b32 v34, v34, v35, v36
	;; [unrolled: 1-line block ×3, first 2 shown]
	v_sub_nc_u32_e32 v77, v77, v84
	v_or3_b32 v13, v5, v13, v14
	v_or3_b32 v12, v15, v16, v17
	;; [unrolled: 1-line block ×4, first 2 shown]
	s_clause 0x3
	global_store_b128 v[94:95], v[32:35], off th:TH_STORE_NT
	global_store_b128 v[94:95], v[24:27], off offset:512 th:TH_STORE_NT
	global_store_b128 v[94:95], v[8:11], off offset:1024 th:TH_STORE_NT
	;; [unrolled: 1-line block ×3, first 2 shown]
	s_clause 0x3
	global_store_b128 v[104:105], v[32:35], off th:TH_STORE_NT
	global_store_b128 v[104:105], v[24:27], off offset:512 th:TH_STORE_NT
	global_store_b128 v[104:105], v[8:11], off offset:1024 th:TH_STORE_NT
	;; [unrolled: 1-line block ×3, first 2 shown]
	v_add_nc_u64_e32 v[106:107], v[106:107], v[116:117]
	v_add_nc_u64_e32 v[108:109], v[108:109], v[116:117]
	s_wait_xcnt 0x4
	v_add_nc_u64_e32 v[94:95], v[94:95], v[116:117]
	v_cmp_gt_i32_e32 vcc_lo, 1, v77
	s_wait_xcnt 0x0
	v_add_nc_u64_e32 v[104:105], v[104:105], v[116:117]
	s_or_b32 s15, vcc_lo, s15
	s_delay_alu instid0(SALU_CYCLE_1)
	s_and_not1_b32 exec_lo, exec_lo, s15
	s_cbranch_execz .LBB6_6230
.LBB6_4246:                             ;   Parent Loop BB6_47 Depth=1
                                        ;     Parent Loop BB6_4163 Depth=2
                                        ; =>    This Inner Loop Header: Depth=3
	s_clause 0x3
	global_load_b128 v[48:51], v[106:107], off th:TH_LOAD_NT
	global_load_b128 v[32:35], v[106:107], off offset:512 th:TH_LOAD_NT
	global_load_b128 v[20:23], v[106:107], off offset:1024 th:TH_LOAD_NT
	;; [unrolled: 1-line block ×3, first 2 shown]
	s_clause 0x3
	global_load_b128 v[36:39], v[108:109], off th:TH_LOAD_NT
	global_load_b128 v[24:27], v[108:109], off offset:512 th:TH_LOAD_NT
	global_load_b128 v[16:19], v[108:109], off offset:1024 th:TH_LOAD_NT
	;; [unrolled: 1-line block ×3, first 2 shown]
	v_dual_mov_b32 v1, 0 :: v_dual_mov_b32 v2, 0
	s_mov_b32 s13, exec_lo
	s_wait_loadcnt 0x7
	v_and_b32_e32 v0, 0xff, v48
	s_wait_xcnt 0x0
	s_delay_alu instid0(VALU_DEP_1)
	v_cmpx_ne_u16_e32 0, v0
	s_cbranch_execz .LBB6_4252
; %bb.4247:                             ;   in Loop: Header=BB6_4246 Depth=3
	v_bfrev_b32_e32 v2, 1
	s_mov_b32 s44, exec_lo
	v_cmpx_ne_u16_e32 0x80, v0
	s_cbranch_execz .LBB6_4251
; %bb.4248:                             ;   in Loop: Header=BB6_4246 Depth=3
	v_and_b32_e32 v0, 0x7f, v48
	v_mov_b32_e32 v2, 0x7f800001
	s_mov_b32 s45, exec_lo
	s_delay_alu instid0(VALU_DEP_2)
	v_cmpx_ne_u32_e32 0x7f, v0
	s_cbranch_execz .LBB6_4250
; %bb.4249:                             ;   in Loop: Header=BB6_4246 Depth=3
	v_and_b32_e32 v2, 7, v48
	v_lshrrev_b32_e32 v4, 3, v0
	v_cmp_gt_u32_e32 vcc_lo, 8, v0
	s_delay_alu instid0(VALU_DEP_3) | instskip(NEXT) | instid1(VALU_DEP_1)
	v_clz_i32_u32_e32 v0, v2
	v_min_u32_e32 v0, 32, v0
	s_delay_alu instid0(VALU_DEP_1) | instskip(NEXT) | instid1(VALU_DEP_1)
	v_subrev_nc_u32_e32 v2, 28, v0
	v_dual_sub_nc_u32 v0, 29, v0 :: v_dual_cndmask_b32 v2, 0, v2, vcc_lo
	s_delay_alu instid0(VALU_DEP_1) | instskip(NEXT) | instid1(VALU_DEP_2)
	v_cndmask_b32_e32 v0, v4, v0, vcc_lo
	v_lshlrev_b64_e32 v[4:5], v2, v[48:49]
	s_delay_alu instid0(VALU_DEP_2) | instskip(NEXT) | instid1(VALU_DEP_2)
	v_lshl_add_u32 v0, v0, 23, 0x3c000000
	v_lshlrev_b32_e32 v2, 20, v4
	v_lshlrev_b32_e32 v4, 24, v48
	s_delay_alu instid0(VALU_DEP_2) | instskip(NEXT) | instid1(VALU_DEP_2)
	v_and_b32_e32 v2, 0x700000, v2
	v_and_b32_e32 v4, 0x80000000, v4
	s_delay_alu instid0(VALU_DEP_1)
	v_or3_b32 v2, v2, v4, v0
.LBB6_4250:                             ;   in Loop: Header=BB6_4246 Depth=3
	s_or_b32 exec_lo, exec_lo, s45
.LBB6_4251:                             ;   in Loop: Header=BB6_4246 Depth=3
	s_delay_alu instid0(SALU_CYCLE_1)
	s_or_b32 exec_lo, exec_lo, s44
.LBB6_4252:                             ;   in Loop: Header=BB6_4246 Depth=3
	s_delay_alu instid0(SALU_CYCLE_1) | instskip(SKIP_3) | instid1(VALU_DEP_1)
	s_or_b32 exec_lo, exec_lo, s13
	s_wait_loadcnt 0x3
	v_and_b32_e32 v0, 0xff, v36
	s_mov_b32 s13, exec_lo
	v_cmpx_ne_u16_e32 0, v0
	s_cbranch_execz .LBB6_4258
; %bb.4253:                             ;   in Loop: Header=BB6_4246 Depth=3
	v_bfrev_b32_e32 v1, 1
	s_mov_b32 s44, exec_lo
	v_cmpx_ne_u16_e32 0x80, v0
	s_cbranch_execz .LBB6_4257
; %bb.4254:                             ;   in Loop: Header=BB6_4246 Depth=3
	v_and_b32_e32 v0, 0x7f, v36
	v_mov_b32_e32 v1, 0x7f800001
	s_mov_b32 s45, exec_lo
	s_delay_alu instid0(VALU_DEP_2)
	v_cmpx_ne_u32_e32 0x7f, v0
	s_cbranch_execz .LBB6_4256
; %bb.4255:                             ;   in Loop: Header=BB6_4246 Depth=3
	v_and_b32_e32 v1, 7, v36
	v_lshrrev_b32_e32 v4, 3, v0
	v_cmp_gt_u32_e32 vcc_lo, 8, v0
	s_delay_alu instid0(VALU_DEP_3) | instskip(NEXT) | instid1(VALU_DEP_1)
	v_clz_i32_u32_e32 v0, v1
	v_min_u32_e32 v0, 32, v0
	s_delay_alu instid0(VALU_DEP_1) | instskip(SKIP_1) | instid1(VALU_DEP_1)
	v_subrev_nc_u32_e32 v1, 28, v0
	v_sub_nc_u32_e32 v0, 29, v0
	v_dual_cndmask_b32 v4, v4, v0, vcc_lo :: v_dual_cndmask_b32 v0, 0, v1, vcc_lo
	s_delay_alu instid0(VALU_DEP_1) | instskip(NEXT) | instid1(VALU_DEP_2)
	v_lshl_add_u32 v4, v4, 23, 0x3c000000
	v_lshlrev_b64_e32 v[0:1], v0, v[36:37]
	v_lshlrev_b32_e32 v1, 24, v36
	s_delay_alu instid0(VALU_DEP_1) | instskip(NEXT) | instid1(VALU_DEP_3)
	v_and_b32_e32 v1, 0x80000000, v1
	v_lshlrev_b32_e32 v0, 20, v0
	s_delay_alu instid0(VALU_DEP_1) | instskip(NEXT) | instid1(VALU_DEP_1)
	v_and_b32_e32 v0, 0x700000, v0
	v_or3_b32 v1, v0, v1, v4
.LBB6_4256:                             ;   in Loop: Header=BB6_4246 Depth=3
	s_or_b32 exec_lo, exec_lo, s45
.LBB6_4257:                             ;   in Loop: Header=BB6_4246 Depth=3
	s_delay_alu instid0(SALU_CYCLE_1)
	s_or_b32 exec_lo, exec_lo, s44
.LBB6_4258:                             ;   in Loop: Header=BB6_4246 Depth=3
	s_delay_alu instid0(SALU_CYCLE_1) | instskip(NEXT) | instid1(VALU_DEP_1)
	s_or_b32 exec_lo, exec_lo, s13
	v_add_f32_e32 v0, v2, v1
                                        ; implicit-def: $vgpr55
	s_mov_b32 s13, exec_lo
	s_delay_alu instid0(VALU_DEP_1) | instskip(SKIP_1) | instid1(VALU_DEP_2)
	v_and_b32_e32 v2, 0x7f800000, v0
	v_lshrrev_b32_e32 v1, 24, v0
	v_cmpx_ne_u64_e32 0x7f800000, v[2:3]
	s_xor_b32 s44, exec_lo, s13
	s_cbranch_execz .LBB6_4272
; %bb.4259:                             ;   in Loop: Header=BB6_4246 Depth=3
	v_and_b32_e32 v2, 0x7fffffff, v0
	v_and_b32_e32 v1, 0x80, v1
                                        ; implicit-def: $vgpr55
	s_mov_b32 s13, exec_lo
	s_delay_alu instid0(VALU_DEP_2)
	v_cmpx_gt_u64_e32 0x43e00001, v[2:3]
	s_xor_b32 s45, exec_lo, s13
	s_cbranch_execz .LBB6_4269
; %bb.4260:                             ;   in Loop: Header=BB6_4246 Depth=3
	v_mov_b32_e32 v55, 0
	s_mov_b32 s74, exec_lo
	v_cmpx_ne_u32_e32 0, v0
	s_cbranch_execz .LBB6_4268
; %bb.4261:                             ;   in Loop: Header=BB6_4246 Depth=3
	v_bfe_u32 v4, v0, 23, 8
	v_and_b32_e32 v2, 0x7fffff, v0
	s_mov_b32 s75, exec_lo
	s_delay_alu instid0(VALU_DEP_2) | instskip(SKIP_3) | instid1(VALU_DEP_1)
	v_cmp_gt_u32_e64 s13, 0x7a, v4
	v_sub_nc_u32_e32 v0, 0x79, v4
	v_cmp_eq_u32_e32 vcc_lo, 0, v4
	v_or_b32_e32 v5, 0x800000, v2
	v_dual_cndmask_b32 v0, 0, v0, s13 :: v_dual_cndmask_b32 v2, v5, v2, vcc_lo
	s_delay_alu instid0(VALU_DEP_1) | instskip(NEXT) | instid1(VALU_DEP_1)
	v_cndmask_b32_e64 v0, v0, 0x78, vcc_lo
	v_add_nc_u32_e32 v5, 20, v0
	s_delay_alu instid0(VALU_DEP_3) | instskip(NEXT) | instid1(VALU_DEP_2)
	v_lshrrev_b64 v[110:111], v0, v[2:3]
	v_lshlrev_b64_e64 v[28:29], v5, -1
	v_add_nc_u32_e32 v5, 19, v0
	s_delay_alu instid0(VALU_DEP_3) | instskip(NEXT) | instid1(VALU_DEP_2)
	v_mov_b64_e32 v[120:121], v[110:111]
	v_lshlrev_b64_e64 v[52:53], v5, 1
	s_delay_alu instid0(VALU_DEP_4) | instskip(SKIP_1) | instid1(VALU_DEP_1)
	v_bfi_b32 v29, v29, 0, 0
	v_bfi_b32 v28, v28, 0, v2
	v_cmpx_eq_u64_e64 v[28:29], v[52:53]
; %bb.4262:                             ;   in Loop: Header=BB6_4246 Depth=3
	v_bfe_u32 v2, v110, 20, 1
	s_delay_alu instid0(VALU_DEP_1) | instskip(NEXT) | instid1(VALU_DEP_1)
	v_add_nc_u64_e32 v[28:29], v[110:111], v[2:3]
	v_add_nc_u64_e32 v[120:121], -1, v[28:29]
; %bb.4263:                             ;   in Loop: Header=BB6_4246 Depth=3
	s_or_b32 exec_lo, exec_lo, s75
	v_add_nc_u32_e32 v2, 0xffffff81, v4
	v_lshrrev_b32_e32 v4, 23, v110
	s_mov_b32 s13, exec_lo
	s_delay_alu instid0(VALU_DEP_2) | instskip(NEXT) | instid1(VALU_DEP_1)
	v_cndmask_b32_e64 v2, v2, 0xffffff82, vcc_lo
	v_add3_u32 v5, v0, v2, v4
	v_and_b32_e32 v0, 0xfffff, v120
	s_delay_alu instid0(VALU_DEP_1) | instskip(NEXT) | instid1(VALU_DEP_1)
	v_dual_add_nc_u32 v4, 6, v5 :: v_dual_add_nc_u32 v2, v0, v110
                                        ; implicit-def: $vgpr110_vgpr111
                                        ; implicit-def: $vgpr0
	v_cmpx_ne_u32_e32 0, v4
	s_xor_b32 s13, exec_lo, s13
; %bb.4264:                             ;   in Loop: Header=BB6_4246 Depth=3
	s_delay_alu instid0(VALU_DEP_2) | instskip(SKIP_1) | instid1(VALU_DEP_1)
	v_cmp_lt_u64_e32 vcc_lo, 0xffffff, v[2:3]
	v_add_nc_u32_e32 v0, 7, v5
	v_cndmask_b32_e32 v0, v4, v0, vcc_lo
	v_cndmask_b32_e64 v4, 0, 1, vcc_lo
	s_delay_alu instid0(VALU_DEP_1)
	v_lshrrev_b64 v[110:111], v4, v[2:3]
; %bb.4265:                             ;   in Loop: Header=BB6_4246 Depth=3
	s_and_not1_saveexec_b32 s13, s13
; %bb.4266:                             ;   in Loop: Header=BB6_4246 Depth=3
	v_mov_b64_e32 v[110:111], v[2:3]
	v_bfe_u32 v0, v2, 23, 1
; %bb.4267:                             ;   in Loop: Header=BB6_4246 Depth=3
	s_or_b32 exec_lo, exec_lo, s13
	s_delay_alu instid0(VALU_DEP_2) | instskip(NEXT) | instid1(VALU_DEP_2)
	v_lshrrev_b64 v[4:5], 20, v[110:111]
	v_cmp_gt_i32_e32 vcc_lo, 16, v0
	v_min_i32_e32 v2, 15, v0
	v_cmp_eq_u32_e64 s13, 0, v0
	s_delay_alu instid0(VALU_DEP_2) | instskip(SKIP_1) | instid1(VALU_DEP_2)
	v_dual_cndmask_b32 v5, 0, v5 :: v_dual_lshlrev_b32 v2, 3, v2
	v_cndmask_b32_e32 v4, 7, v4, vcc_lo
	v_and_b32_e32 v2, 0xf8, v2
	s_delay_alu instid0(VALU_DEP_2) | instskip(NEXT) | instid1(VALU_DEP_2)
	v_cmp_eq_u64_e32 vcc_lo, 0, v[4:5]
	v_and_or_b32 v0, v4, 7, v2
	s_and_b32 s13, s13, vcc_lo
	s_delay_alu instid0(VALU_DEP_1) | instid1(SALU_CYCLE_1)
	v_cndmask_b32_e64 v0, v0, 0, s13
	s_delay_alu instid0(VALU_DEP_1)
	v_or_b32_e32 v55, v0, v1
.LBB6_4268:                             ;   in Loop: Header=BB6_4246 Depth=3
	s_or_b32 exec_lo, exec_lo, s74
                                        ; implicit-def: $vgpr1
.LBB6_4269:                             ;   in Loop: Header=BB6_4246 Depth=3
	s_and_not1_saveexec_b32 s13, s45
; %bb.4270:                             ;   in Loop: Header=BB6_4246 Depth=3
	v_or_b32_e32 v55, 0x7e, v1
; %bb.4271:                             ;   in Loop: Header=BB6_4246 Depth=3
	s_or_b32 exec_lo, exec_lo, s13
                                        ; implicit-def: $vgpr1
.LBB6_4272:                             ;   in Loop: Header=BB6_4246 Depth=3
	s_and_not1_saveexec_b32 s13, s44
; %bb.4273:                             ;   in Loop: Header=BB6_4246 Depth=3
	v_or_b32_e32 v55, 0x7f, v1
; %bb.4274:                             ;   in Loop: Header=BB6_4246 Depth=3
	s_or_b32 exec_lo, exec_lo, s13
	v_lshrrev_b16 v0, 8, v48
	v_dual_mov_b32 v1, 0 :: v_dual_mov_b32 v4, 0
	s_mov_b32 s13, exec_lo
	s_delay_alu instid0(VALU_DEP_2)
	v_cmpx_ne_u16_e32 0, v0
	s_cbranch_execz .LBB6_4282
; %bb.4275:                             ;   in Loop: Header=BB6_4246 Depth=3
	v_bfrev_b32_e32 v4, 1
	s_mov_b32 s44, exec_lo
	v_cmpx_ne_u16_e32 0x80, v0
	s_cbranch_execz .LBB6_4281
; %bb.4276:                             ;   in Loop: Header=BB6_4246 Depth=3
	v_and_b32_e32 v0, 0xffff, v0
	v_mov_b32_e32 v4, 0x7f800001
	s_mov_b32 s45, exec_lo
	s_delay_alu instid0(VALU_DEP_2) | instskip(NEXT) | instid1(VALU_DEP_1)
	v_and_b32_e32 v5, 0x7f, v0
	v_cmpx_ne_u32_e32 0x7f, v5
	s_cbranch_execz .LBB6_4280
; %bb.4277:                             ;   in Loop: Header=BB6_4246 Depth=3
	v_dual_lshrrev_b32 v0, 3, v5 :: v_dual_bitop2_b32 v2, 7, v0 bitop3:0x40
	s_mov_b32 s74, exec_lo
	s_delay_alu instid0(VALU_DEP_1)
	v_mov_b64_e32 v[110:111], v[2:3]
	v_cmpx_gt_u32_e32 8, v5
; %bb.4278:                             ;   in Loop: Header=BB6_4246 Depth=3
	v_clz_i32_u32_e32 v0, v2
	s_delay_alu instid0(VALU_DEP_1) | instskip(NEXT) | instid1(VALU_DEP_1)
	v_min_u32_e32 v0, 32, v0
	v_subrev_nc_u32_e32 v4, 28, v0
	v_sub_nc_u32_e32 v0, 29, v0
	s_delay_alu instid0(VALU_DEP_2) | instskip(NEXT) | instid1(VALU_DEP_1)
	v_lshlrev_b64_e32 v[4:5], v4, v[2:3]
	v_and_b32_e32 v110, 7, v4
; %bb.4279:                             ;   in Loop: Header=BB6_4246 Depth=3
	s_or_b32 exec_lo, exec_lo, s74
	s_delay_alu instid0(VALU_DEP_1) | instskip(SKIP_1) | instid1(VALU_DEP_2)
	v_dual_lshlrev_b32 v2, 16, v48 :: v_dual_lshlrev_b32 v4, 20, v110
	v_lshl_add_u32 v0, v0, 23, 0x3c000000
	v_and_b32_e32 v2, 0x80000000, v2
	s_delay_alu instid0(VALU_DEP_1)
	v_or3_b32 v4, v4, v2, v0
.LBB6_4280:                             ;   in Loop: Header=BB6_4246 Depth=3
	s_or_b32 exec_lo, exec_lo, s45
.LBB6_4281:                             ;   in Loop: Header=BB6_4246 Depth=3
	s_delay_alu instid0(SALU_CYCLE_1)
	s_or_b32 exec_lo, exec_lo, s44
.LBB6_4282:                             ;   in Loop: Header=BB6_4246 Depth=3
	s_delay_alu instid0(SALU_CYCLE_1) | instskip(SKIP_2) | instid1(VALU_DEP_1)
	s_or_b32 exec_lo, exec_lo, s13
	v_lshrrev_b16 v0, 8, v36
	s_mov_b32 s13, exec_lo
	v_cmpx_ne_u16_e32 0, v0
	s_cbranch_execz .LBB6_4290
; %bb.4283:                             ;   in Loop: Header=BB6_4246 Depth=3
	v_bfrev_b32_e32 v1, 1
	s_mov_b32 s44, exec_lo
	v_cmpx_ne_u16_e32 0x80, v0
	s_cbranch_execz .LBB6_4289
; %bb.4284:                             ;   in Loop: Header=BB6_4246 Depth=3
	v_and_b32_e32 v0, 0xffff, v0
	v_mov_b32_e32 v1, 0x7f800001
	s_mov_b32 s45, exec_lo
	s_delay_alu instid0(VALU_DEP_2) | instskip(NEXT) | instid1(VALU_DEP_1)
	v_and_b32_e32 v5, 0x7f, v0
	v_cmpx_ne_u32_e32 0x7f, v5
	s_cbranch_execz .LBB6_4288
; %bb.4285:                             ;   in Loop: Header=BB6_4246 Depth=3
	v_dual_lshrrev_b32 v0, 3, v5 :: v_dual_bitop2_b32 v2, 7, v0 bitop3:0x40
	s_mov_b32 s74, exec_lo
	s_delay_alu instid0(VALU_DEP_1)
	v_mov_b64_e32 v[110:111], v[2:3]
	v_cmpx_gt_u32_e32 8, v5
; %bb.4286:                             ;   in Loop: Header=BB6_4246 Depth=3
	v_clz_i32_u32_e32 v0, v2
	s_delay_alu instid0(VALU_DEP_1) | instskip(NEXT) | instid1(VALU_DEP_1)
	v_min_u32_e32 v0, 32, v0
	v_subrev_nc_u32_e32 v1, 28, v0
	v_sub_nc_u32_e32 v0, 29, v0
	s_delay_alu instid0(VALU_DEP_2) | instskip(NEXT) | instid1(VALU_DEP_1)
	v_lshlrev_b64_e32 v[28:29], v1, v[2:3]
	v_and_b32_e32 v110, 7, v28
; %bb.4287:                             ;   in Loop: Header=BB6_4246 Depth=3
	s_or_b32 exec_lo, exec_lo, s74
	s_delay_alu instid0(VALU_DEP_1) | instskip(SKIP_1) | instid1(VALU_DEP_2)
	v_dual_lshlrev_b32 v1, 16, v36 :: v_dual_lshlrev_b32 v2, 20, v110
	v_lshl_add_u32 v0, v0, 23, 0x3c000000
	v_and_b32_e32 v1, 0x80000000, v1
	s_delay_alu instid0(VALU_DEP_1)
	v_or3_b32 v1, v2, v1, v0
.LBB6_4288:                             ;   in Loop: Header=BB6_4246 Depth=3
	s_or_b32 exec_lo, exec_lo, s45
.LBB6_4289:                             ;   in Loop: Header=BB6_4246 Depth=3
	s_delay_alu instid0(SALU_CYCLE_1)
	s_or_b32 exec_lo, exec_lo, s44
.LBB6_4290:                             ;   in Loop: Header=BB6_4246 Depth=3
	s_delay_alu instid0(SALU_CYCLE_1) | instskip(NEXT) | instid1(VALU_DEP_1)
	s_or_b32 exec_lo, exec_lo, s13
	v_add_f32_e32 v0, v4, v1
                                        ; implicit-def: $vgpr28
	s_mov_b32 s13, exec_lo
	s_delay_alu instid0(VALU_DEP_1) | instskip(SKIP_1) | instid1(VALU_DEP_2)
	v_and_b32_e32 v2, 0x7f800000, v0
	v_lshrrev_b32_e32 v1, 24, v0
	v_cmpx_ne_u64_e32 0x7f800000, v[2:3]
	s_xor_b32 s44, exec_lo, s13
	s_cbranch_execz .LBB6_4304
; %bb.4291:                             ;   in Loop: Header=BB6_4246 Depth=3
	v_and_b32_e32 v2, 0x7fffffff, v0
	v_and_b32_e32 v1, 0x80, v1
                                        ; implicit-def: $vgpr28
	s_mov_b32 s13, exec_lo
	s_delay_alu instid0(VALU_DEP_2)
	v_cmpx_gt_u64_e32 0x43e00001, v[2:3]
	s_xor_b32 s45, exec_lo, s13
	s_cbranch_execz .LBB6_4301
; %bb.4292:                             ;   in Loop: Header=BB6_4246 Depth=3
	v_mov_b32_e32 v28, 0
	s_mov_b32 s74, exec_lo
	v_cmpx_ne_u32_e32 0, v0
	s_cbranch_execz .LBB6_4300
; %bb.4293:                             ;   in Loop: Header=BB6_4246 Depth=3
	v_bfe_u32 v4, v0, 23, 8
	v_and_b32_e32 v2, 0x7fffff, v0
	s_mov_b32 s75, exec_lo
	s_delay_alu instid0(VALU_DEP_2) | instskip(SKIP_3) | instid1(VALU_DEP_1)
	v_cmp_gt_u32_e64 s13, 0x7a, v4
	v_sub_nc_u32_e32 v0, 0x79, v4
	v_cmp_eq_u32_e32 vcc_lo, 0, v4
	v_or_b32_e32 v5, 0x800000, v2
	v_dual_cndmask_b32 v0, 0, v0, s13 :: v_dual_cndmask_b32 v2, v5, v2, vcc_lo
	s_delay_alu instid0(VALU_DEP_1) | instskip(NEXT) | instid1(VALU_DEP_1)
	v_cndmask_b32_e64 v0, v0, 0x78, vcc_lo
	v_add_nc_u32_e32 v5, 20, v0
	s_delay_alu instid0(VALU_DEP_3) | instskip(NEXT) | instid1(VALU_DEP_2)
	v_lshrrev_b64 v[110:111], v0, v[2:3]
	v_lshlrev_b64_e64 v[28:29], v5, -1
	v_add_nc_u32_e32 v5, 19, v0
	s_delay_alu instid0(VALU_DEP_3) | instskip(NEXT) | instid1(VALU_DEP_2)
	v_mov_b64_e32 v[120:121], v[110:111]
	v_lshlrev_b64_e64 v[52:53], v5, 1
	s_delay_alu instid0(VALU_DEP_4) | instskip(SKIP_1) | instid1(VALU_DEP_1)
	v_bfi_b32 v29, v29, 0, 0
	v_bfi_b32 v28, v28, 0, v2
	v_cmpx_eq_u64_e64 v[28:29], v[52:53]
; %bb.4294:                             ;   in Loop: Header=BB6_4246 Depth=3
	v_bfe_u32 v2, v110, 20, 1
	s_delay_alu instid0(VALU_DEP_1) | instskip(NEXT) | instid1(VALU_DEP_1)
	v_add_nc_u64_e32 v[28:29], v[110:111], v[2:3]
	v_add_nc_u64_e32 v[120:121], -1, v[28:29]
; %bb.4295:                             ;   in Loop: Header=BB6_4246 Depth=3
	s_or_b32 exec_lo, exec_lo, s75
	v_add_nc_u32_e32 v2, 0xffffff81, v4
	v_lshrrev_b32_e32 v4, 23, v110
	s_mov_b32 s13, exec_lo
	s_delay_alu instid0(VALU_DEP_2) | instskip(NEXT) | instid1(VALU_DEP_1)
	v_cndmask_b32_e64 v2, v2, 0xffffff82, vcc_lo
	v_add3_u32 v5, v0, v2, v4
	v_and_b32_e32 v0, 0xfffff, v120
	s_delay_alu instid0(VALU_DEP_1) | instskip(NEXT) | instid1(VALU_DEP_1)
	v_dual_add_nc_u32 v4, 6, v5 :: v_dual_add_nc_u32 v2, v0, v110
                                        ; implicit-def: $vgpr110_vgpr111
                                        ; implicit-def: $vgpr0
	v_cmpx_ne_u32_e32 0, v4
	s_xor_b32 s13, exec_lo, s13
; %bb.4296:                             ;   in Loop: Header=BB6_4246 Depth=3
	s_delay_alu instid0(VALU_DEP_2) | instskip(SKIP_1) | instid1(VALU_DEP_1)
	v_cmp_lt_u64_e32 vcc_lo, 0xffffff, v[2:3]
	v_add_nc_u32_e32 v0, 7, v5
	v_cndmask_b32_e32 v0, v4, v0, vcc_lo
	v_cndmask_b32_e64 v4, 0, 1, vcc_lo
	s_delay_alu instid0(VALU_DEP_1)
	v_lshrrev_b64 v[110:111], v4, v[2:3]
; %bb.4297:                             ;   in Loop: Header=BB6_4246 Depth=3
	s_and_not1_saveexec_b32 s13, s13
; %bb.4298:                             ;   in Loop: Header=BB6_4246 Depth=3
	v_mov_b64_e32 v[110:111], v[2:3]
	v_bfe_u32 v0, v2, 23, 1
; %bb.4299:                             ;   in Loop: Header=BB6_4246 Depth=3
	s_or_b32 exec_lo, exec_lo, s13
	s_delay_alu instid0(VALU_DEP_2) | instskip(NEXT) | instid1(VALU_DEP_2)
	v_lshrrev_b64 v[4:5], 20, v[110:111]
	v_cmp_gt_i32_e32 vcc_lo, 16, v0
	v_min_i32_e32 v2, 15, v0
	v_cmp_eq_u32_e64 s13, 0, v0
	s_delay_alu instid0(VALU_DEP_2) | instskip(SKIP_1) | instid1(VALU_DEP_2)
	v_dual_cndmask_b32 v5, 0, v5 :: v_dual_lshlrev_b32 v2, 3, v2
	v_cndmask_b32_e32 v4, 7, v4, vcc_lo
	v_and_b32_e32 v2, 0xf8, v2
	s_delay_alu instid0(VALU_DEP_2) | instskip(NEXT) | instid1(VALU_DEP_2)
	v_cmp_eq_u64_e32 vcc_lo, 0, v[4:5]
	v_and_or_b32 v0, v4, 7, v2
	s_and_b32 s13, s13, vcc_lo
	s_delay_alu instid0(VALU_DEP_1) | instid1(SALU_CYCLE_1)
	v_cndmask_b32_e64 v0, v0, 0, s13
	s_delay_alu instid0(VALU_DEP_1)
	v_or_b32_e32 v28, v0, v1
.LBB6_4300:                             ;   in Loop: Header=BB6_4246 Depth=3
	s_or_b32 exec_lo, exec_lo, s74
                                        ; implicit-def: $vgpr1
.LBB6_4301:                             ;   in Loop: Header=BB6_4246 Depth=3
	s_and_not1_saveexec_b32 s13, s45
; %bb.4302:                             ;   in Loop: Header=BB6_4246 Depth=3
	v_or_b32_e32 v28, 0x7e, v1
; %bb.4303:                             ;   in Loop: Header=BB6_4246 Depth=3
	s_or_b32 exec_lo, exec_lo, s13
                                        ; implicit-def: $vgpr1
.LBB6_4304:                             ;   in Loop: Header=BB6_4246 Depth=3
	s_and_not1_saveexec_b32 s13, s44
; %bb.4305:                             ;   in Loop: Header=BB6_4246 Depth=3
	v_or_b32_e32 v28, 0x7f, v1
; %bb.4306:                             ;   in Loop: Header=BB6_4246 Depth=3
	s_or_b32 exec_lo, exec_lo, s13
	v_dual_mov_b32 v1, 0 :: v_dual_lshrrev_b32 v0, 16, v48
	v_mov_b32_e32 v4, 0
	s_mov_b32 s13, exec_lo
	s_delay_alu instid0(VALU_DEP_2) | instskip(NEXT) | instid1(VALU_DEP_1)
	v_and_b32_e32 v2, 0xff, v0
	v_cmpx_ne_u16_e32 0, v2
	s_cbranch_execz .LBB6_4314
; %bb.4307:                             ;   in Loop: Header=BB6_4246 Depth=3
	v_bfrev_b32_e32 v4, 1
	s_mov_b32 s44, exec_lo
	v_cmpx_ne_u16_e32 0x80, v2
	s_cbranch_execz .LBB6_4313
; %bb.4308:                             ;   in Loop: Header=BB6_4246 Depth=3
	v_bfe_u32 v5, v48, 16, 7
	v_mov_b32_e32 v4, 0x7f800001
	s_mov_b32 s45, exec_lo
	s_delay_alu instid0(VALU_DEP_2)
	v_cmpx_ne_u32_e32 0x7f, v5
	s_cbranch_execz .LBB6_4312
; %bb.4309:                             ;   in Loop: Header=BB6_4246 Depth=3
	v_dual_lshrrev_b32 v4, 3, v5 :: v_dual_bitop2_b32 v2, 7, v0 bitop3:0x40
	s_mov_b32 s74, exec_lo
	s_delay_alu instid0(VALU_DEP_1)
	v_mov_b64_e32 v[110:111], v[2:3]
	v_cmpx_gt_u32_e32 8, v5
; %bb.4310:                             ;   in Loop: Header=BB6_4246 Depth=3
	v_clz_i32_u32_e32 v4, v2
	s_delay_alu instid0(VALU_DEP_1) | instskip(NEXT) | instid1(VALU_DEP_1)
	v_min_u32_e32 v4, 32, v4
	v_subrev_nc_u32_e32 v5, 28, v4
	v_sub_nc_u32_e32 v4, 29, v4
	s_delay_alu instid0(VALU_DEP_2) | instskip(NEXT) | instid1(VALU_DEP_1)
	v_lshlrev_b64_e32 v[52:53], v5, v[2:3]
	v_and_b32_e32 v110, 7, v52
; %bb.4311:                             ;   in Loop: Header=BB6_4246 Depth=3
	s_or_b32 exec_lo, exec_lo, s74
	s_delay_alu instid0(VALU_DEP_1) | instskip(SKIP_1) | instid1(VALU_DEP_2)
	v_dual_lshlrev_b32 v0, 24, v0 :: v_dual_lshlrev_b32 v2, 20, v110
	v_lshl_add_u32 v4, v4, 23, 0x3c000000
	v_and_b32_e32 v0, 0x80000000, v0
	s_delay_alu instid0(VALU_DEP_1)
	v_or3_b32 v4, v2, v0, v4
.LBB6_4312:                             ;   in Loop: Header=BB6_4246 Depth=3
	s_or_b32 exec_lo, exec_lo, s45
.LBB6_4313:                             ;   in Loop: Header=BB6_4246 Depth=3
	s_delay_alu instid0(SALU_CYCLE_1)
	s_or_b32 exec_lo, exec_lo, s44
.LBB6_4314:                             ;   in Loop: Header=BB6_4246 Depth=3
	s_delay_alu instid0(SALU_CYCLE_1) | instskip(SKIP_2) | instid1(VALU_DEP_1)
	s_or_b32 exec_lo, exec_lo, s13
	v_lshrrev_b32_e32 v0, 16, v36
	s_mov_b32 s13, exec_lo
	v_and_b32_e32 v2, 0xff, v0
	s_delay_alu instid0(VALU_DEP_1)
	v_cmpx_ne_u16_e32 0, v2
	s_cbranch_execz .LBB6_4322
; %bb.4315:                             ;   in Loop: Header=BB6_4246 Depth=3
	v_bfrev_b32_e32 v1, 1
	s_mov_b32 s44, exec_lo
	v_cmpx_ne_u16_e32 0x80, v2
	s_cbranch_execz .LBB6_4321
; %bb.4316:                             ;   in Loop: Header=BB6_4246 Depth=3
	v_bfe_u32 v5, v36, 16, 7
	v_mov_b32_e32 v1, 0x7f800001
	s_mov_b32 s45, exec_lo
	s_delay_alu instid0(VALU_DEP_2)
	v_cmpx_ne_u32_e32 0x7f, v5
	s_cbranch_execz .LBB6_4320
; %bb.4317:                             ;   in Loop: Header=BB6_4246 Depth=3
	v_dual_lshrrev_b32 v0, 3, v5 :: v_dual_bitop2_b32 v2, 7, v0 bitop3:0x40
	s_mov_b32 s74, exec_lo
	s_delay_alu instid0(VALU_DEP_1)
	v_mov_b64_e32 v[110:111], v[2:3]
	v_cmpx_gt_u32_e32 8, v5
; %bb.4318:                             ;   in Loop: Header=BB6_4246 Depth=3
	v_clz_i32_u32_e32 v0, v2
	s_delay_alu instid0(VALU_DEP_1) | instskip(NEXT) | instid1(VALU_DEP_1)
	v_min_u32_e32 v0, 32, v0
	v_subrev_nc_u32_e32 v1, 28, v0
	v_sub_nc_u32_e32 v0, 29, v0
	s_delay_alu instid0(VALU_DEP_2) | instskip(NEXT) | instid1(VALU_DEP_1)
	v_lshlrev_b64_e32 v[52:53], v1, v[2:3]
	v_and_b32_e32 v110, 7, v52
; %bb.4319:                             ;   in Loop: Header=BB6_4246 Depth=3
	s_or_b32 exec_lo, exec_lo, s74
	s_delay_alu instid0(VALU_DEP_1) | instskip(SKIP_1) | instid1(VALU_DEP_2)
	v_dual_lshlrev_b32 v1, 8, v36 :: v_dual_lshlrev_b32 v2, 20, v110
	v_lshl_add_u32 v0, v0, 23, 0x3c000000
	v_and_b32_e32 v1, 0x80000000, v1
	s_delay_alu instid0(VALU_DEP_1)
	v_or3_b32 v1, v2, v1, v0
.LBB6_4320:                             ;   in Loop: Header=BB6_4246 Depth=3
	s_or_b32 exec_lo, exec_lo, s45
.LBB6_4321:                             ;   in Loop: Header=BB6_4246 Depth=3
	s_delay_alu instid0(SALU_CYCLE_1)
	s_or_b32 exec_lo, exec_lo, s44
.LBB6_4322:                             ;   in Loop: Header=BB6_4246 Depth=3
	s_delay_alu instid0(SALU_CYCLE_1) | instskip(NEXT) | instid1(VALU_DEP_1)
	s_or_b32 exec_lo, exec_lo, s13
	v_add_f32_e32 v0, v4, v1
                                        ; implicit-def: $vgpr29
	s_mov_b32 s13, exec_lo
	s_delay_alu instid0(VALU_DEP_1) | instskip(SKIP_1) | instid1(VALU_DEP_2)
	v_and_b32_e32 v2, 0x7f800000, v0
	v_lshrrev_b32_e32 v1, 24, v0
	v_cmpx_ne_u64_e32 0x7f800000, v[2:3]
	s_xor_b32 s44, exec_lo, s13
	s_cbranch_execz .LBB6_4336
; %bb.4323:                             ;   in Loop: Header=BB6_4246 Depth=3
	v_and_b32_e32 v2, 0x7fffffff, v0
	v_and_b32_e32 v1, 0x80, v1
                                        ; implicit-def: $vgpr29
	s_mov_b32 s13, exec_lo
	s_delay_alu instid0(VALU_DEP_2)
	v_cmpx_gt_u64_e32 0x43e00001, v[2:3]
	s_xor_b32 s45, exec_lo, s13
	s_cbranch_execz .LBB6_4333
; %bb.4324:                             ;   in Loop: Header=BB6_4246 Depth=3
	v_mov_b32_e32 v29, 0
	s_mov_b32 s74, exec_lo
	v_cmpx_ne_u32_e32 0, v0
	s_cbranch_execz .LBB6_4332
; %bb.4325:                             ;   in Loop: Header=BB6_4246 Depth=3
	v_bfe_u32 v4, v0, 23, 8
	v_and_b32_e32 v2, 0x7fffff, v0
	s_mov_b32 s75, exec_lo
	s_delay_alu instid0(VALU_DEP_2) | instskip(SKIP_3) | instid1(VALU_DEP_1)
	v_cmp_gt_u32_e64 s13, 0x7a, v4
	v_sub_nc_u32_e32 v0, 0x79, v4
	v_cmp_eq_u32_e32 vcc_lo, 0, v4
	v_or_b32_e32 v5, 0x800000, v2
	v_dual_cndmask_b32 v0, 0, v0, s13 :: v_dual_cndmask_b32 v2, v5, v2, vcc_lo
	s_delay_alu instid0(VALU_DEP_1) | instskip(NEXT) | instid1(VALU_DEP_1)
	v_cndmask_b32_e64 v0, v0, 0x78, vcc_lo
	v_add_nc_u32_e32 v5, 20, v0
	s_delay_alu instid0(VALU_DEP_3) | instskip(NEXT) | instid1(VALU_DEP_2)
	v_lshrrev_b64 v[110:111], v0, v[2:3]
	v_lshlrev_b64_e64 v[52:53], v5, -1
	v_add_nc_u32_e32 v5, 19, v0
	s_delay_alu instid0(VALU_DEP_3) | instskip(NEXT) | instid1(VALU_DEP_2)
	v_mov_b64_e32 v[120:121], v[110:111]
	v_lshlrev_b64_e64 v[66:67], v5, 1
	s_delay_alu instid0(VALU_DEP_4) | instskip(SKIP_1) | instid1(VALU_DEP_1)
	v_bfi_b32 v53, v53, 0, 0
	v_bfi_b32 v52, v52, 0, v2
	v_cmpx_eq_u64_e64 v[52:53], v[66:67]
; %bb.4326:                             ;   in Loop: Header=BB6_4246 Depth=3
	v_bfe_u32 v2, v110, 20, 1
	s_delay_alu instid0(VALU_DEP_1) | instskip(NEXT) | instid1(VALU_DEP_1)
	v_add_nc_u64_e32 v[52:53], v[110:111], v[2:3]
	v_add_nc_u64_e32 v[120:121], -1, v[52:53]
; %bb.4327:                             ;   in Loop: Header=BB6_4246 Depth=3
	s_or_b32 exec_lo, exec_lo, s75
	v_add_nc_u32_e32 v2, 0xffffff81, v4
	v_lshrrev_b32_e32 v4, 23, v110
	s_mov_b32 s13, exec_lo
	s_delay_alu instid0(VALU_DEP_2) | instskip(NEXT) | instid1(VALU_DEP_1)
	v_cndmask_b32_e64 v2, v2, 0xffffff82, vcc_lo
	v_add3_u32 v5, v0, v2, v4
	v_and_b32_e32 v0, 0xfffff, v120
	s_delay_alu instid0(VALU_DEP_1) | instskip(NEXT) | instid1(VALU_DEP_1)
	v_dual_add_nc_u32 v4, 6, v5 :: v_dual_add_nc_u32 v2, v0, v110
                                        ; implicit-def: $vgpr110_vgpr111
                                        ; implicit-def: $vgpr0
	v_cmpx_ne_u32_e32 0, v4
	s_xor_b32 s13, exec_lo, s13
; %bb.4328:                             ;   in Loop: Header=BB6_4246 Depth=3
	s_delay_alu instid0(VALU_DEP_2) | instskip(SKIP_1) | instid1(VALU_DEP_1)
	v_cmp_lt_u64_e32 vcc_lo, 0xffffff, v[2:3]
	v_add_nc_u32_e32 v0, 7, v5
	v_cndmask_b32_e32 v0, v4, v0, vcc_lo
	v_cndmask_b32_e64 v4, 0, 1, vcc_lo
	s_delay_alu instid0(VALU_DEP_1)
	v_lshrrev_b64 v[110:111], v4, v[2:3]
; %bb.4329:                             ;   in Loop: Header=BB6_4246 Depth=3
	s_and_not1_saveexec_b32 s13, s13
; %bb.4330:                             ;   in Loop: Header=BB6_4246 Depth=3
	v_mov_b64_e32 v[110:111], v[2:3]
	v_bfe_u32 v0, v2, 23, 1
; %bb.4331:                             ;   in Loop: Header=BB6_4246 Depth=3
	s_or_b32 exec_lo, exec_lo, s13
	s_delay_alu instid0(VALU_DEP_2) | instskip(NEXT) | instid1(VALU_DEP_2)
	v_lshrrev_b64 v[4:5], 20, v[110:111]
	v_cmp_gt_i32_e32 vcc_lo, 16, v0
	v_min_i32_e32 v2, 15, v0
	v_cmp_eq_u32_e64 s13, 0, v0
	s_delay_alu instid0(VALU_DEP_2) | instskip(SKIP_1) | instid1(VALU_DEP_2)
	v_dual_cndmask_b32 v5, 0, v5 :: v_dual_lshlrev_b32 v2, 3, v2
	v_cndmask_b32_e32 v4, 7, v4, vcc_lo
	v_and_b32_e32 v2, 0xf8, v2
	s_delay_alu instid0(VALU_DEP_2) | instskip(NEXT) | instid1(VALU_DEP_2)
	v_cmp_eq_u64_e32 vcc_lo, 0, v[4:5]
	v_and_or_b32 v0, v4, 7, v2
	s_and_b32 s13, s13, vcc_lo
	s_delay_alu instid0(VALU_DEP_1) | instid1(SALU_CYCLE_1)
	v_cndmask_b32_e64 v0, v0, 0, s13
	s_delay_alu instid0(VALU_DEP_1)
	v_or_b32_e32 v29, v0, v1
.LBB6_4332:                             ;   in Loop: Header=BB6_4246 Depth=3
	s_or_b32 exec_lo, exec_lo, s74
                                        ; implicit-def: $vgpr1
.LBB6_4333:                             ;   in Loop: Header=BB6_4246 Depth=3
	s_and_not1_saveexec_b32 s13, s45
; %bb.4334:                             ;   in Loop: Header=BB6_4246 Depth=3
	v_or_b32_e32 v29, 0x7e, v1
; %bb.4335:                             ;   in Loop: Header=BB6_4246 Depth=3
	s_or_b32 exec_lo, exec_lo, s13
                                        ; implicit-def: $vgpr1
.LBB6_4336:                             ;   in Loop: Header=BB6_4246 Depth=3
	s_and_not1_saveexec_b32 s13, s44
; %bb.4337:                             ;   in Loop: Header=BB6_4246 Depth=3
	v_or_b32_e32 v29, 0x7f, v1
; %bb.4338:                             ;   in Loop: Header=BB6_4246 Depth=3
	s_or_b32 exec_lo, exec_lo, s13
	v_dual_mov_b32 v1, 0 :: v_dual_mov_b32 v4, 0
	s_mov_b32 s13, exec_lo
	v_cmpx_lt_u32_e32 0xffffff, v48
	s_cbranch_execz .LBB6_4346
; %bb.4339:                             ;   in Loop: Header=BB6_4246 Depth=3
	v_lshrrev_b32_e32 v0, 24, v48
	v_bfrev_b32_e32 v4, 1
	s_mov_b32 s44, exec_lo
	s_delay_alu instid0(VALU_DEP_2)
	v_cmpx_ne_u32_e32 0x80, v0
	s_cbranch_execz .LBB6_4345
; %bb.4340:                             ;   in Loop: Header=BB6_4246 Depth=3
	v_bfe_u32 v5, v48, 24, 7
	v_mov_b32_e32 v4, 0x7f800001
	s_mov_b32 s45, exec_lo
	s_delay_alu instid0(VALU_DEP_2)
	v_cmpx_ne_u32_e32 0x7f, v5
	s_cbranch_execz .LBB6_4344
; %bb.4341:                             ;   in Loop: Header=BB6_4246 Depth=3
	v_dual_lshrrev_b32 v4, 3, v5 :: v_dual_bitop2_b32 v2, 7, v0 bitop3:0x40
	s_mov_b32 s74, exec_lo
	s_delay_alu instid0(VALU_DEP_1)
	v_mov_b64_e32 v[110:111], v[2:3]
	v_cmpx_gt_u32_e32 8, v5
; %bb.4342:                             ;   in Loop: Header=BB6_4246 Depth=3
	v_clz_i32_u32_e32 v4, v2
	s_delay_alu instid0(VALU_DEP_1) | instskip(NEXT) | instid1(VALU_DEP_1)
	v_min_u32_e32 v4, 32, v4
	v_subrev_nc_u32_e32 v5, 28, v4
	v_sub_nc_u32_e32 v4, 29, v4
	s_delay_alu instid0(VALU_DEP_2) | instskip(NEXT) | instid1(VALU_DEP_1)
	v_lshlrev_b64_e32 v[52:53], v5, v[2:3]
	v_and_b32_e32 v110, 7, v52
; %bb.4343:                             ;   in Loop: Header=BB6_4246 Depth=3
	s_or_b32 exec_lo, exec_lo, s74
	s_delay_alu instid0(VALU_DEP_1) | instskip(SKIP_1) | instid1(VALU_DEP_2)
	v_dual_lshlrev_b32 v0, 24, v0 :: v_dual_lshlrev_b32 v2, 20, v110
	v_lshl_add_u32 v4, v4, 23, 0x3c000000
	v_and_b32_e32 v0, 0x80000000, v0
	s_delay_alu instid0(VALU_DEP_1)
	v_or3_b32 v4, v2, v0, v4
.LBB6_4344:                             ;   in Loop: Header=BB6_4246 Depth=3
	s_or_b32 exec_lo, exec_lo, s45
.LBB6_4345:                             ;   in Loop: Header=BB6_4246 Depth=3
	s_delay_alu instid0(SALU_CYCLE_1)
	s_or_b32 exec_lo, exec_lo, s44
.LBB6_4346:                             ;   in Loop: Header=BB6_4246 Depth=3
	s_delay_alu instid0(SALU_CYCLE_1) | instskip(NEXT) | instid1(SALU_CYCLE_1)
	s_or_b32 exec_lo, exec_lo, s13
	s_mov_b32 s13, exec_lo
	v_cmpx_lt_u32_e32 0xffffff, v36
	s_cbranch_execz .LBB6_4354
; %bb.4347:                             ;   in Loop: Header=BB6_4246 Depth=3
	v_lshrrev_b32_e32 v0, 24, v36
	v_bfrev_b32_e32 v1, 1
	s_mov_b32 s44, exec_lo
	s_delay_alu instid0(VALU_DEP_2)
	v_cmpx_ne_u32_e32 0x80, v0
	s_cbranch_execz .LBB6_4353
; %bb.4348:                             ;   in Loop: Header=BB6_4246 Depth=3
	v_bfe_u32 v5, v36, 24, 7
	v_mov_b32_e32 v1, 0x7f800001
	s_mov_b32 s45, exec_lo
	s_delay_alu instid0(VALU_DEP_2)
	v_cmpx_ne_u32_e32 0x7f, v5
	s_cbranch_execz .LBB6_4352
; %bb.4349:                             ;   in Loop: Header=BB6_4246 Depth=3
	v_dual_lshrrev_b32 v1, 3, v5 :: v_dual_bitop2_b32 v2, 7, v0 bitop3:0x40
	s_mov_b32 s74, exec_lo
	s_delay_alu instid0(VALU_DEP_1)
	v_mov_b64_e32 v[110:111], v[2:3]
	v_cmpx_gt_u32_e32 8, v5
; %bb.4350:                             ;   in Loop: Header=BB6_4246 Depth=3
	v_clz_i32_u32_e32 v1, v2
	s_delay_alu instid0(VALU_DEP_1) | instskip(NEXT) | instid1(VALU_DEP_1)
	v_min_u32_e32 v1, 32, v1
	v_subrev_nc_u32_e32 v5, 28, v1
	s_delay_alu instid0(VALU_DEP_1) | instskip(NEXT) | instid1(VALU_DEP_1)
	v_lshlrev_b64_e32 v[52:53], v5, v[2:3]
	v_dual_sub_nc_u32 v1, 29, v1 :: v_dual_bitop2_b32 v110, 7, v52 bitop3:0x40
; %bb.4351:                             ;   in Loop: Header=BB6_4246 Depth=3
	s_or_b32 exec_lo, exec_lo, s74
	s_delay_alu instid0(VALU_DEP_1) | instskip(NEXT) | instid1(VALU_DEP_2)
	v_dual_lshlrev_b32 v0, 24, v0 :: v_dual_lshlrev_b32 v2, 20, v110
	v_lshl_add_u32 v1, v1, 23, 0x3c000000
	s_delay_alu instid0(VALU_DEP_2) | instskip(NEXT) | instid1(VALU_DEP_1)
	v_and_b32_e32 v0, 0x80000000, v0
	v_or3_b32 v1, v2, v0, v1
.LBB6_4352:                             ;   in Loop: Header=BB6_4246 Depth=3
	s_or_b32 exec_lo, exec_lo, s45
.LBB6_4353:                             ;   in Loop: Header=BB6_4246 Depth=3
	s_delay_alu instid0(SALU_CYCLE_1)
	s_or_b32 exec_lo, exec_lo, s44
.LBB6_4354:                             ;   in Loop: Header=BB6_4246 Depth=3
	s_delay_alu instid0(SALU_CYCLE_1) | instskip(NEXT) | instid1(VALU_DEP_1)
	s_or_b32 exec_lo, exec_lo, s13
	v_add_f32_e32 v0, v4, v1
                                        ; implicit-def: $vgpr100
	s_mov_b32 s13, exec_lo
	s_delay_alu instid0(VALU_DEP_1) | instskip(SKIP_1) | instid1(VALU_DEP_2)
	v_and_b32_e32 v2, 0x7f800000, v0
	v_lshrrev_b32_e32 v1, 24, v0
	v_cmpx_ne_u64_e32 0x7f800000, v[2:3]
	s_xor_b32 s44, exec_lo, s13
	s_cbranch_execz .LBB6_4368
; %bb.4355:                             ;   in Loop: Header=BB6_4246 Depth=3
	v_and_b32_e32 v2, 0x7fffffff, v0
	v_and_b32_e32 v1, 0x80, v1
                                        ; implicit-def: $vgpr100
	s_mov_b32 s13, exec_lo
	s_delay_alu instid0(VALU_DEP_2)
	v_cmpx_gt_u64_e32 0x43e00001, v[2:3]
	s_xor_b32 s45, exec_lo, s13
	s_cbranch_execz .LBB6_4365
; %bb.4356:                             ;   in Loop: Header=BB6_4246 Depth=3
	v_mov_b32_e32 v100, 0
	s_mov_b32 s74, exec_lo
	v_cmpx_ne_u32_e32 0, v0
	s_cbranch_execz .LBB6_4364
; %bb.4357:                             ;   in Loop: Header=BB6_4246 Depth=3
	v_bfe_u32 v4, v0, 23, 8
	v_and_b32_e32 v2, 0x7fffff, v0
	s_mov_b32 s75, exec_lo
	s_delay_alu instid0(VALU_DEP_2) | instskip(SKIP_3) | instid1(VALU_DEP_1)
	v_cmp_gt_u32_e64 s13, 0x7a, v4
	v_sub_nc_u32_e32 v0, 0x79, v4
	v_cmp_eq_u32_e32 vcc_lo, 0, v4
	v_or_b32_e32 v5, 0x800000, v2
	v_dual_cndmask_b32 v0, 0, v0, s13 :: v_dual_cndmask_b32 v2, v5, v2, vcc_lo
	s_delay_alu instid0(VALU_DEP_1) | instskip(NEXT) | instid1(VALU_DEP_1)
	v_cndmask_b32_e64 v0, v0, 0x78, vcc_lo
	v_add_nc_u32_e32 v5, 20, v0
	s_delay_alu instid0(VALU_DEP_3) | instskip(NEXT) | instid1(VALU_DEP_2)
	v_lshrrev_b64 v[110:111], v0, v[2:3]
	v_lshlrev_b64_e64 v[52:53], v5, -1
	v_add_nc_u32_e32 v5, 19, v0
	s_delay_alu instid0(VALU_DEP_3) | instskip(NEXT) | instid1(VALU_DEP_2)
	v_mov_b64_e32 v[120:121], v[110:111]
	v_lshlrev_b64_e64 v[66:67], v5, 1
	s_delay_alu instid0(VALU_DEP_4) | instskip(SKIP_1) | instid1(VALU_DEP_1)
	v_bfi_b32 v53, v53, 0, 0
	v_bfi_b32 v52, v52, 0, v2
	v_cmpx_eq_u64_e64 v[52:53], v[66:67]
; %bb.4358:                             ;   in Loop: Header=BB6_4246 Depth=3
	v_bfe_u32 v2, v110, 20, 1
	s_delay_alu instid0(VALU_DEP_1) | instskip(NEXT) | instid1(VALU_DEP_1)
	v_add_nc_u64_e32 v[52:53], v[110:111], v[2:3]
	v_add_nc_u64_e32 v[120:121], -1, v[52:53]
; %bb.4359:                             ;   in Loop: Header=BB6_4246 Depth=3
	s_or_b32 exec_lo, exec_lo, s75
	v_add_nc_u32_e32 v2, 0xffffff81, v4
	v_lshrrev_b32_e32 v4, 23, v110
	s_mov_b32 s13, exec_lo
	s_delay_alu instid0(VALU_DEP_2) | instskip(NEXT) | instid1(VALU_DEP_1)
	v_cndmask_b32_e64 v2, v2, 0xffffff82, vcc_lo
	v_add3_u32 v5, v0, v2, v4
	v_and_b32_e32 v0, 0xfffff, v120
	s_delay_alu instid0(VALU_DEP_1) | instskip(NEXT) | instid1(VALU_DEP_1)
	v_dual_add_nc_u32 v4, 6, v5 :: v_dual_add_nc_u32 v2, v0, v110
                                        ; implicit-def: $vgpr110_vgpr111
                                        ; implicit-def: $vgpr0
	v_cmpx_ne_u32_e32 0, v4
	s_xor_b32 s13, exec_lo, s13
; %bb.4360:                             ;   in Loop: Header=BB6_4246 Depth=3
	s_delay_alu instid0(VALU_DEP_2) | instskip(SKIP_1) | instid1(VALU_DEP_1)
	v_cmp_lt_u64_e32 vcc_lo, 0xffffff, v[2:3]
	v_add_nc_u32_e32 v0, 7, v5
	v_cndmask_b32_e32 v0, v4, v0, vcc_lo
	v_cndmask_b32_e64 v4, 0, 1, vcc_lo
	s_delay_alu instid0(VALU_DEP_1)
	v_lshrrev_b64 v[110:111], v4, v[2:3]
; %bb.4361:                             ;   in Loop: Header=BB6_4246 Depth=3
	s_and_not1_saveexec_b32 s13, s13
; %bb.4362:                             ;   in Loop: Header=BB6_4246 Depth=3
	v_mov_b64_e32 v[110:111], v[2:3]
	v_bfe_u32 v0, v2, 23, 1
; %bb.4363:                             ;   in Loop: Header=BB6_4246 Depth=3
	s_or_b32 exec_lo, exec_lo, s13
	s_delay_alu instid0(VALU_DEP_2) | instskip(NEXT) | instid1(VALU_DEP_2)
	v_lshrrev_b64 v[4:5], 20, v[110:111]
	v_cmp_gt_i32_e32 vcc_lo, 16, v0
	v_min_i32_e32 v2, 15, v0
	v_cmp_eq_u32_e64 s13, 0, v0
	s_delay_alu instid0(VALU_DEP_2) | instskip(SKIP_1) | instid1(VALU_DEP_2)
	v_dual_cndmask_b32 v5, 0, v5 :: v_dual_lshlrev_b32 v2, 3, v2
	v_cndmask_b32_e32 v4, 7, v4, vcc_lo
	v_and_b32_e32 v2, 0xf8, v2
	s_delay_alu instid0(VALU_DEP_2) | instskip(NEXT) | instid1(VALU_DEP_2)
	v_cmp_eq_u64_e32 vcc_lo, 0, v[4:5]
	v_and_or_b32 v0, v4, 7, v2
	s_and_b32 s13, s13, vcc_lo
	s_delay_alu instid0(VALU_DEP_1) | instid1(SALU_CYCLE_1)
	v_cndmask_b32_e64 v0, v0, 0, s13
	s_delay_alu instid0(VALU_DEP_1)
	v_or_b32_e32 v100, v0, v1
.LBB6_4364:                             ;   in Loop: Header=BB6_4246 Depth=3
	s_or_b32 exec_lo, exec_lo, s74
                                        ; implicit-def: $vgpr1
.LBB6_4365:                             ;   in Loop: Header=BB6_4246 Depth=3
	s_and_not1_saveexec_b32 s13, s45
; %bb.4366:                             ;   in Loop: Header=BB6_4246 Depth=3
	v_or_b32_e32 v100, 0x7e, v1
; %bb.4367:                             ;   in Loop: Header=BB6_4246 Depth=3
	s_or_b32 exec_lo, exec_lo, s13
                                        ; implicit-def: $vgpr1
.LBB6_4368:                             ;   in Loop: Header=BB6_4246 Depth=3
	s_and_not1_saveexec_b32 s13, s44
; %bb.4369:                             ;   in Loop: Header=BB6_4246 Depth=3
	v_or_b32_e32 v100, 0x7f, v1
; %bb.4370:                             ;   in Loop: Header=BB6_4246 Depth=3
	s_or_b32 exec_lo, exec_lo, s13
	v_and_b32_e32 v0, 0xff, v49
	v_dual_mov_b32 v2, v49 :: v_dual_mov_b32 v1, 0
	v_mov_b32_e32 v4, 0
	s_mov_b32 s13, exec_lo
	s_delay_alu instid0(VALU_DEP_3)
	v_cmpx_ne_u16_e32 0, v0
	s_cbranch_execz .LBB6_4376
; %bb.4371:                             ;   in Loop: Header=BB6_4246 Depth=3
	v_bfrev_b32_e32 v4, 1
	s_mov_b32 s44, exec_lo
	v_cmpx_ne_u16_e32 0x80, v0
	s_cbranch_execz .LBB6_4375
; %bb.4372:                             ;   in Loop: Header=BB6_4246 Depth=3
	v_and_b32_e32 v0, 0x7f, v49
	v_mov_b32_e32 v4, 0x7f800001
	s_mov_b32 s45, exec_lo
	s_delay_alu instid0(VALU_DEP_2)
	v_cmpx_ne_u32_e32 0x7f, v0
	s_cbranch_execz .LBB6_4374
; %bb.4373:                             ;   in Loop: Header=BB6_4246 Depth=3
	v_dual_lshrrev_b32 v5, 3, v0 :: v_dual_bitop2_b32 v4, 7, v49 bitop3:0x40
	v_cmp_gt_u32_e32 vcc_lo, 8, v0
	s_delay_alu instid0(VALU_DEP_2) | instskip(NEXT) | instid1(VALU_DEP_1)
	v_clz_i32_u32_e32 v0, v4
	v_min_u32_e32 v0, 32, v0
	s_delay_alu instid0(VALU_DEP_1) | instskip(SKIP_1) | instid1(VALU_DEP_2)
	v_subrev_nc_u32_e32 v4, 28, v0
	v_sub_nc_u32_e32 v0, 29, v0
	v_cndmask_b32_e32 v4, 0, v4, vcc_lo
	s_delay_alu instid0(VALU_DEP_2) | instskip(NEXT) | instid1(VALU_DEP_2)
	v_cndmask_b32_e32 v0, v5, v0, vcc_lo
	v_lshlrev_b64_e32 v[4:5], v4, v[2:3]
	v_lshlrev_b32_e32 v5, 24, v2
	s_delay_alu instid0(VALU_DEP_3) | instskip(NEXT) | instid1(VALU_DEP_2)
	v_lshl_add_u32 v0, v0, 23, 0x3c000000
	v_and_b32_e32 v5, 0x80000000, v5
	s_delay_alu instid0(VALU_DEP_4) | instskip(NEXT) | instid1(VALU_DEP_1)
	v_lshlrev_b32_e32 v4, 20, v4
	v_and_b32_e32 v4, 0x700000, v4
	s_delay_alu instid0(VALU_DEP_1)
	v_or3_b32 v4, v4, v5, v0
.LBB6_4374:                             ;   in Loop: Header=BB6_4246 Depth=3
	s_or_b32 exec_lo, exec_lo, s45
.LBB6_4375:                             ;   in Loop: Header=BB6_4246 Depth=3
	s_delay_alu instid0(SALU_CYCLE_1)
	s_or_b32 exec_lo, exec_lo, s44
.LBB6_4376:                             ;   in Loop: Header=BB6_4246 Depth=3
	s_delay_alu instid0(SALU_CYCLE_1) | instskip(SKIP_2) | instid1(VALU_DEP_1)
	s_or_b32 exec_lo, exec_lo, s13
	v_and_b32_e32 v0, 0xff, v37
	s_mov_b32 s13, exec_lo
	v_cmpx_ne_u16_e32 0, v0
	s_cbranch_execz .LBB6_4382
; %bb.4377:                             ;   in Loop: Header=BB6_4246 Depth=3
	v_bfrev_b32_e32 v1, 1
	s_mov_b32 s44, exec_lo
	v_cmpx_ne_u16_e32 0x80, v0
	s_cbranch_execz .LBB6_4381
; %bb.4378:                             ;   in Loop: Header=BB6_4246 Depth=3
	v_and_b32_e32 v0, 0x7f, v37
	v_mov_b32_e32 v1, 0x7f800001
	s_mov_b32 s45, exec_lo
	s_delay_alu instid0(VALU_DEP_2)
	v_cmpx_ne_u32_e32 0x7f, v0
	s_cbranch_execz .LBB6_4380
; %bb.4379:                             ;   in Loop: Header=BB6_4246 Depth=3
	v_dual_lshrrev_b32 v5, 3, v0 :: v_dual_bitop2_b32 v1, 7, v37 bitop3:0x40
	v_cmp_gt_u32_e32 vcc_lo, 8, v0
	v_mov_b32_e32 v0, v37
	s_delay_alu instid0(VALU_DEP_3) | instskip(NEXT) | instid1(VALU_DEP_1)
	v_clz_i32_u32_e32 v1, v1
	v_min_u32_e32 v1, 32, v1
	s_delay_alu instid0(VALU_DEP_1) | instskip(SKIP_1) | instid1(VALU_DEP_2)
	v_sub_nc_u32_e32 v31, 29, v1
	v_subrev_nc_u32_e32 v52, 28, v1
	v_dual_mov_b32 v1, v3 :: v_dual_cndmask_b32 v5, v5, v31, vcc_lo
	s_delay_alu instid0(VALU_DEP_2) | instskip(NEXT) | instid1(VALU_DEP_2)
	v_cndmask_b32_e32 v31, 0, v52, vcc_lo
	v_lshl_add_u32 v5, v5, 23, 0x3c000000
	s_delay_alu instid0(VALU_DEP_2) | instskip(SKIP_1) | instid1(VALU_DEP_1)
	v_lshlrev_b64_e32 v[52:53], v31, v[0:1]
	v_lshlrev_b32_e32 v0, 24, v0
	v_and_b32_e32 v0, 0x80000000, v0
	s_delay_alu instid0(VALU_DEP_3) | instskip(NEXT) | instid1(VALU_DEP_1)
	v_lshlrev_b32_e32 v1, 20, v52
	v_and_b32_e32 v1, 0x700000, v1
	s_delay_alu instid0(VALU_DEP_1)
	v_or3_b32 v1, v1, v0, v5
.LBB6_4380:                             ;   in Loop: Header=BB6_4246 Depth=3
	s_or_b32 exec_lo, exec_lo, s45
.LBB6_4381:                             ;   in Loop: Header=BB6_4246 Depth=3
	s_delay_alu instid0(SALU_CYCLE_1)
	s_or_b32 exec_lo, exec_lo, s44
.LBB6_4382:                             ;   in Loop: Header=BB6_4246 Depth=3
	s_delay_alu instid0(SALU_CYCLE_1) | instskip(NEXT) | instid1(VALU_DEP_1)
	s_or_b32 exec_lo, exec_lo, s13
	v_dual_add_f32 v0, v4, v1 :: v_dual_mov_b32 v5, v3
                                        ; implicit-def: $vgpr101
	s_mov_b32 s13, exec_lo
	s_delay_alu instid0(VALU_DEP_1) | instskip(SKIP_1) | instid1(VALU_DEP_2)
	v_and_b32_e32 v4, 0x7f800000, v0
	v_lshrrev_b32_e32 v1, 24, v0
	v_cmpx_ne_u64_e32 0x7f800000, v[4:5]
	s_xor_b32 s44, exec_lo, s13
	s_cbranch_execz .LBB6_4396
; %bb.4383:                             ;   in Loop: Header=BB6_4246 Depth=3
	v_and_b32_e32 v4, 0x7fffffff, v0
	v_mov_b32_e32 v5, v3
	v_and_b32_e32 v1, 0x80, v1
                                        ; implicit-def: $vgpr101
	s_mov_b32 s13, exec_lo
	s_delay_alu instid0(VALU_DEP_2)
	v_cmpx_gt_u64_e32 0x43e00001, v[4:5]
	s_xor_b32 s45, exec_lo, s13
	s_cbranch_execz .LBB6_4393
; %bb.4384:                             ;   in Loop: Header=BB6_4246 Depth=3
	v_mov_b32_e32 v101, 0
	s_mov_b32 s74, exec_lo
	v_cmpx_ne_u32_e32 0, v0
	s_cbranch_execz .LBB6_4392
; %bb.4385:                             ;   in Loop: Header=BB6_4246 Depth=3
	v_bfe_u32 v4, v0, 23, 8
	v_and_b32_e32 v5, 0x7fffff, v0
	s_mov_b32 s75, exec_lo
	s_delay_alu instid0(VALU_DEP_2) | instskip(SKIP_3) | instid1(VALU_DEP_1)
	v_dual_mov_b32 v53, v3 :: v_dual_sub_nc_u32 v0, 0x79, v4
	v_cmp_gt_u32_e64 s13, 0x7a, v4
	v_cmp_eq_u32_e32 vcc_lo, 0, v4
	v_or_b32_e32 v31, 0x800000, v5
	v_dual_cndmask_b32 v0, 0, v0, s13 :: v_dual_cndmask_b32 v52, v31, v5, vcc_lo
	s_delay_alu instid0(VALU_DEP_1) | instskip(NEXT) | instid1(VALU_DEP_1)
	v_cndmask_b32_e64 v0, v0, 0x78, vcc_lo
	v_add_nc_u32_e32 v5, 20, v0
	s_delay_alu instid0(VALU_DEP_3) | instskip(NEXT) | instid1(VALU_DEP_2)
	v_lshrrev_b64 v[110:111], v0, v[52:53]
	v_lshlrev_b64_e64 v[66:67], v5, -1
	v_add_nc_u32_e32 v5, 19, v0
	s_delay_alu instid0(VALU_DEP_3) | instskip(NEXT) | instid1(VALU_DEP_2)
	v_mov_b64_e32 v[120:121], v[110:111]
	v_lshlrev_b64_e64 v[96:97], v5, 1
	s_delay_alu instid0(VALU_DEP_4) | instskip(SKIP_1) | instid1(VALU_DEP_1)
	v_bfi_b32 v67, v67, 0, 0
	v_bfi_b32 v66, v66, 0, v52
	v_cmpx_eq_u64_e64 v[66:67], v[96:97]
; %bb.4386:                             ;   in Loop: Header=BB6_4246 Depth=3
	v_bfe_u32 v52, v110, 20, 1
	v_mov_b32_e32 v53, v3
	s_delay_alu instid0(VALU_DEP_1) | instskip(NEXT) | instid1(VALU_DEP_1)
	v_add_nc_u64_e32 v[52:53], v[110:111], v[52:53]
	v_add_nc_u64_e32 v[120:121], -1, v[52:53]
; %bb.4387:                             ;   in Loop: Header=BB6_4246 Depth=3
	s_or_b32 exec_lo, exec_lo, s75
	v_dual_mov_b32 v111, v3 :: v_dual_add_nc_u32 v4, 0xffffff81, v4
	v_lshrrev_b32_e32 v5, 23, v110
	s_mov_b32 s13, exec_lo
	s_delay_alu instid0(VALU_DEP_2) | instskip(NEXT) | instid1(VALU_DEP_1)
	v_cndmask_b32_e64 v4, v4, 0xffffff82, vcc_lo
	v_add3_u32 v5, v0, v4, v5
	v_and_b32_e32 v0, 0xfffff, v120
	s_delay_alu instid0(VALU_DEP_1) | instskip(NEXT) | instid1(VALU_DEP_1)
	v_dual_add_nc_u32 v4, 6, v5 :: v_dual_add_nc_u32 v110, v0, v110
                                        ; implicit-def: $vgpr0
	v_cmpx_ne_u32_e32 0, v4
	s_xor_b32 s13, exec_lo, s13
; %bb.4388:                             ;   in Loop: Header=BB6_4246 Depth=3
	s_delay_alu instid0(VALU_DEP_2) | instskip(SKIP_1) | instid1(VALU_DEP_1)
	v_cmp_lt_u64_e32 vcc_lo, 0xffffff, v[110:111]
	v_add_nc_u32_e32 v0, 7, v5
	v_cndmask_b32_e32 v0, v4, v0, vcc_lo
	v_cndmask_b32_e64 v4, 0, 1, vcc_lo
	s_delay_alu instid0(VALU_DEP_1)
	v_lshrrev_b64 v[110:111], v4, v[110:111]
; %bb.4389:                             ;   in Loop: Header=BB6_4246 Depth=3
	s_and_not1_saveexec_b32 s13, s13
; %bb.4390:                             ;   in Loop: Header=BB6_4246 Depth=3
	s_delay_alu instid0(VALU_DEP_1)
	v_bfe_u32 v0, v110, 23, 1
; %bb.4391:                             ;   in Loop: Header=BB6_4246 Depth=3
	s_or_b32 exec_lo, exec_lo, s13
	s_delay_alu instid0(VALU_DEP_2) | instskip(NEXT) | instid1(VALU_DEP_2)
	v_lshrrev_b64 v[4:5], 20, v[110:111]
	v_cmp_gt_i32_e32 vcc_lo, 16, v0
	v_min_i32_e32 v31, 15, v0
	v_cmp_eq_u32_e64 s13, 0, v0
	s_delay_alu instid0(VALU_DEP_2) | instskip(SKIP_1) | instid1(VALU_DEP_2)
	v_dual_cndmask_b32 v5, 0, v5, vcc_lo :: v_dual_lshlrev_b32 v31, 3, v31
	v_cndmask_b32_e32 v4, 7, v4, vcc_lo
	v_and_b32_e32 v31, 0xf8, v31
	s_delay_alu instid0(VALU_DEP_2) | instskip(NEXT) | instid1(VALU_DEP_2)
	v_cmp_eq_u64_e32 vcc_lo, 0, v[4:5]
	v_and_or_b32 v0, v4, 7, v31
	s_and_b32 s13, s13, vcc_lo
	s_delay_alu instid0(VALU_DEP_1) | instid1(SALU_CYCLE_1)
	v_cndmask_b32_e64 v0, v0, 0, s13
	s_delay_alu instid0(VALU_DEP_1)
	v_or_b32_e32 v101, v0, v1
.LBB6_4392:                             ;   in Loop: Header=BB6_4246 Depth=3
	s_or_b32 exec_lo, exec_lo, s74
                                        ; implicit-def: $vgpr1
.LBB6_4393:                             ;   in Loop: Header=BB6_4246 Depth=3
	s_and_not1_saveexec_b32 s13, s45
; %bb.4394:                             ;   in Loop: Header=BB6_4246 Depth=3
	v_or_b32_e32 v101, 0x7e, v1
; %bb.4395:                             ;   in Loop: Header=BB6_4246 Depth=3
	s_or_b32 exec_lo, exec_lo, s13
                                        ; implicit-def: $vgpr1
.LBB6_4396:                             ;   in Loop: Header=BB6_4246 Depth=3
	s_and_not1_saveexec_b32 s13, s44
; %bb.4397:                             ;   in Loop: Header=BB6_4246 Depth=3
	v_or_b32_e32 v101, 0x7f, v1
; %bb.4398:                             ;   in Loop: Header=BB6_4246 Depth=3
	s_or_b32 exec_lo, exec_lo, s13
	v_lshrrev_b16 v0, 8, v2
	v_dual_mov_b32 v1, 0 :: v_dual_mov_b32 v4, 0
	s_mov_b32 s13, exec_lo
	s_delay_alu instid0(VALU_DEP_2)
	v_cmpx_ne_u16_e32 0, v0
	s_cbranch_execz .LBB6_4406
; %bb.4399:                             ;   in Loop: Header=BB6_4246 Depth=3
	v_bfrev_b32_e32 v4, 1
	s_mov_b32 s44, exec_lo
	v_cmpx_ne_u16_e32 0x80, v0
	s_cbranch_execz .LBB6_4405
; %bb.4400:                             ;   in Loop: Header=BB6_4246 Depth=3
	v_and_b32_e32 v0, 0xffff, v0
	v_mov_b32_e32 v4, 0x7f800001
	s_mov_b32 s45, exec_lo
	s_delay_alu instid0(VALU_DEP_2) | instskip(NEXT) | instid1(VALU_DEP_1)
	v_and_b32_e32 v5, 0x7f, v0
	v_cmpx_ne_u32_e32 0x7f, v5
	s_cbranch_execz .LBB6_4404
; %bb.4401:                             ;   in Loop: Header=BB6_4246 Depth=3
	v_dual_mov_b32 v111, v3 :: v_dual_bitop2_b32 v110, 7, v0 bitop3:0x40
	v_lshrrev_b32_e32 v0, 3, v5
	s_mov_b32 s74, exec_lo
	v_cmpx_gt_u32_e32 8, v5
; %bb.4402:                             ;   in Loop: Header=BB6_4246 Depth=3
	s_delay_alu instid0(VALU_DEP_3) | instskip(NEXT) | instid1(VALU_DEP_1)
	v_clz_i32_u32_e32 v0, v110
	v_min_u32_e32 v0, 32, v0
	s_delay_alu instid0(VALU_DEP_1) | instskip(SKIP_1) | instid1(VALU_DEP_2)
	v_subrev_nc_u32_e32 v4, 28, v0
	v_sub_nc_u32_e32 v0, 29, v0
	v_lshlrev_b64_e32 v[4:5], v4, v[110:111]
	s_delay_alu instid0(VALU_DEP_1)
	v_and_b32_e32 v110, 7, v4
; %bb.4403:                             ;   in Loop: Header=BB6_4246 Depth=3
	s_or_b32 exec_lo, exec_lo, s74
	v_lshlrev_b32_e32 v2, 16, v2
	s_delay_alu instid0(VALU_DEP_2) | instskip(SKIP_1) | instid1(VALU_DEP_3)
	v_lshlrev_b32_e32 v4, 20, v110
	v_lshl_add_u32 v0, v0, 23, 0x3c000000
	v_and_b32_e32 v2, 0x80000000, v2
	s_delay_alu instid0(VALU_DEP_1)
	v_or3_b32 v4, v4, v2, v0
.LBB6_4404:                             ;   in Loop: Header=BB6_4246 Depth=3
	s_or_b32 exec_lo, exec_lo, s45
.LBB6_4405:                             ;   in Loop: Header=BB6_4246 Depth=3
	s_delay_alu instid0(SALU_CYCLE_1)
	s_or_b32 exec_lo, exec_lo, s44
.LBB6_4406:                             ;   in Loop: Header=BB6_4246 Depth=3
	s_delay_alu instid0(SALU_CYCLE_1) | instskip(SKIP_2) | instid1(VALU_DEP_1)
	s_or_b32 exec_lo, exec_lo, s13
	v_lshrrev_b16 v0, 8, v37
	s_mov_b32 s13, exec_lo
	v_cmpx_ne_u16_e32 0, v0
	s_cbranch_execz .LBB6_4414
; %bb.4407:                             ;   in Loop: Header=BB6_4246 Depth=3
	v_bfrev_b32_e32 v1, 1
	s_mov_b32 s44, exec_lo
	v_cmpx_ne_u16_e32 0x80, v0
	s_cbranch_execz .LBB6_4413
; %bb.4408:                             ;   in Loop: Header=BB6_4246 Depth=3
	v_and_b32_e32 v0, 0xffff, v0
	v_mov_b32_e32 v1, 0x7f800001
	s_mov_b32 s45, exec_lo
	s_delay_alu instid0(VALU_DEP_2) | instskip(NEXT) | instid1(VALU_DEP_1)
	v_and_b32_e32 v5, 0x7f, v0
	v_cmpx_ne_u32_e32 0x7f, v5
	s_cbranch_execz .LBB6_4412
; %bb.4409:                             ;   in Loop: Header=BB6_4246 Depth=3
	v_dual_lshrrev_b32 v0, 3, v5 :: v_dual_bitop2_b32 v2, 7, v0 bitop3:0x40
	s_mov_b32 s74, exec_lo
	s_delay_alu instid0(VALU_DEP_1)
	v_mov_b64_e32 v[110:111], v[2:3]
	v_cmpx_gt_u32_e32 8, v5
; %bb.4410:                             ;   in Loop: Header=BB6_4246 Depth=3
	v_clz_i32_u32_e32 v0, v2
	s_delay_alu instid0(VALU_DEP_1) | instskip(NEXT) | instid1(VALU_DEP_1)
	v_min_u32_e32 v0, 32, v0
	v_subrev_nc_u32_e32 v1, 28, v0
	v_sub_nc_u32_e32 v0, 29, v0
	s_delay_alu instid0(VALU_DEP_2) | instskip(NEXT) | instid1(VALU_DEP_1)
	v_lshlrev_b64_e32 v[52:53], v1, v[2:3]
	v_and_b32_e32 v110, 7, v52
; %bb.4411:                             ;   in Loop: Header=BB6_4246 Depth=3
	s_or_b32 exec_lo, exec_lo, s74
	s_delay_alu instid0(VALU_DEP_1) | instskip(SKIP_1) | instid1(VALU_DEP_2)
	v_dual_lshlrev_b32 v1, 16, v37 :: v_dual_lshlrev_b32 v2, 20, v110
	v_lshl_add_u32 v0, v0, 23, 0x3c000000
	v_and_b32_e32 v1, 0x80000000, v1
	s_delay_alu instid0(VALU_DEP_1)
	v_or3_b32 v1, v2, v1, v0
.LBB6_4412:                             ;   in Loop: Header=BB6_4246 Depth=3
	s_or_b32 exec_lo, exec_lo, s45
.LBB6_4413:                             ;   in Loop: Header=BB6_4246 Depth=3
	s_delay_alu instid0(SALU_CYCLE_1)
	s_or_b32 exec_lo, exec_lo, s44
.LBB6_4414:                             ;   in Loop: Header=BB6_4246 Depth=3
	s_delay_alu instid0(SALU_CYCLE_1) | instskip(NEXT) | instid1(VALU_DEP_1)
	s_or_b32 exec_lo, exec_lo, s13
	v_add_f32_e32 v0, v4, v1
                                        ; implicit-def: $vgpr4
	s_mov_b32 s13, exec_lo
	s_delay_alu instid0(VALU_DEP_1) | instskip(SKIP_1) | instid1(VALU_DEP_2)
	v_and_b32_e32 v2, 0x7f800000, v0
	v_lshrrev_b32_e32 v1, 24, v0
	v_cmpx_ne_u64_e32 0x7f800000, v[2:3]
	s_xor_b32 s44, exec_lo, s13
	s_cbranch_execz .LBB6_4428
; %bb.4415:                             ;   in Loop: Header=BB6_4246 Depth=3
	v_and_b32_e32 v2, 0x7fffffff, v0
	v_and_b32_e32 v1, 0x80, v1
                                        ; implicit-def: $vgpr4
	s_mov_b32 s13, exec_lo
	s_delay_alu instid0(VALU_DEP_2)
	v_cmpx_gt_u64_e32 0x43e00001, v[2:3]
	s_xor_b32 s45, exec_lo, s13
	s_cbranch_execz .LBB6_4425
; %bb.4416:                             ;   in Loop: Header=BB6_4246 Depth=3
	v_mov_b32_e32 v4, 0
	s_mov_b32 s74, exec_lo
	v_cmpx_ne_u32_e32 0, v0
	s_cbranch_execz .LBB6_4424
; %bb.4417:                             ;   in Loop: Header=BB6_4246 Depth=3
	v_bfe_u32 v4, v0, 23, 8
	v_and_b32_e32 v2, 0x7fffff, v0
	s_mov_b32 s75, exec_lo
	s_delay_alu instid0(VALU_DEP_2) | instskip(SKIP_3) | instid1(VALU_DEP_1)
	v_cmp_gt_u32_e64 s13, 0x7a, v4
	v_sub_nc_u32_e32 v0, 0x79, v4
	v_cmp_eq_u32_e32 vcc_lo, 0, v4
	v_or_b32_e32 v5, 0x800000, v2
	v_dual_cndmask_b32 v0, 0, v0, s13 :: v_dual_cndmask_b32 v2, v5, v2, vcc_lo
	s_delay_alu instid0(VALU_DEP_1) | instskip(NEXT) | instid1(VALU_DEP_1)
	v_cndmask_b32_e64 v0, v0, 0x78, vcc_lo
	v_add_nc_u32_e32 v5, 20, v0
	s_delay_alu instid0(VALU_DEP_3) | instskip(NEXT) | instid1(VALU_DEP_2)
	v_lshrrev_b64 v[110:111], v0, v[2:3]
	v_lshlrev_b64_e64 v[52:53], v5, -1
	v_add_nc_u32_e32 v5, 19, v0
	s_delay_alu instid0(VALU_DEP_3) | instskip(NEXT) | instid1(VALU_DEP_2)
	v_mov_b64_e32 v[120:121], v[110:111]
	v_lshlrev_b64_e64 v[66:67], v5, 1
	s_delay_alu instid0(VALU_DEP_4) | instskip(SKIP_1) | instid1(VALU_DEP_1)
	v_bfi_b32 v53, v53, 0, 0
	v_bfi_b32 v52, v52, 0, v2
	v_cmpx_eq_u64_e64 v[52:53], v[66:67]
; %bb.4418:                             ;   in Loop: Header=BB6_4246 Depth=3
	v_bfe_u32 v2, v110, 20, 1
	s_delay_alu instid0(VALU_DEP_1) | instskip(NEXT) | instid1(VALU_DEP_1)
	v_add_nc_u64_e32 v[52:53], v[110:111], v[2:3]
	v_add_nc_u64_e32 v[120:121], -1, v[52:53]
; %bb.4419:                             ;   in Loop: Header=BB6_4246 Depth=3
	s_or_b32 exec_lo, exec_lo, s75
	v_add_nc_u32_e32 v2, 0xffffff81, v4
	v_lshrrev_b32_e32 v4, 23, v110
	s_mov_b32 s13, exec_lo
	s_delay_alu instid0(VALU_DEP_2) | instskip(NEXT) | instid1(VALU_DEP_1)
	v_cndmask_b32_e64 v2, v2, 0xffffff82, vcc_lo
	v_add3_u32 v5, v0, v2, v4
	v_and_b32_e32 v0, 0xfffff, v120
	s_delay_alu instid0(VALU_DEP_1) | instskip(NEXT) | instid1(VALU_DEP_1)
	v_dual_add_nc_u32 v4, 6, v5 :: v_dual_add_nc_u32 v2, v0, v110
                                        ; implicit-def: $vgpr110_vgpr111
                                        ; implicit-def: $vgpr0
	v_cmpx_ne_u32_e32 0, v4
	s_xor_b32 s13, exec_lo, s13
; %bb.4420:                             ;   in Loop: Header=BB6_4246 Depth=3
	s_delay_alu instid0(VALU_DEP_2) | instskip(SKIP_1) | instid1(VALU_DEP_1)
	v_cmp_lt_u64_e32 vcc_lo, 0xffffff, v[2:3]
	v_add_nc_u32_e32 v0, 7, v5
	v_cndmask_b32_e32 v0, v4, v0, vcc_lo
	v_cndmask_b32_e64 v4, 0, 1, vcc_lo
	s_delay_alu instid0(VALU_DEP_1)
	v_lshrrev_b64 v[110:111], v4, v[2:3]
; %bb.4421:                             ;   in Loop: Header=BB6_4246 Depth=3
	s_and_not1_saveexec_b32 s13, s13
; %bb.4422:                             ;   in Loop: Header=BB6_4246 Depth=3
	v_mov_b64_e32 v[110:111], v[2:3]
	v_bfe_u32 v0, v2, 23, 1
; %bb.4423:                             ;   in Loop: Header=BB6_4246 Depth=3
	s_or_b32 exec_lo, exec_lo, s13
	s_delay_alu instid0(VALU_DEP_2) | instskip(NEXT) | instid1(VALU_DEP_2)
	v_lshrrev_b64 v[4:5], 20, v[110:111]
	v_cmp_gt_i32_e32 vcc_lo, 16, v0
	v_min_i32_e32 v2, 15, v0
	v_cmp_eq_u32_e64 s13, 0, v0
	s_delay_alu instid0(VALU_DEP_2) | instskip(SKIP_1) | instid1(VALU_DEP_2)
	v_dual_cndmask_b32 v5, 0, v5 :: v_dual_lshlrev_b32 v2, 3, v2
	v_cndmask_b32_e32 v4, 7, v4, vcc_lo
	v_and_b32_e32 v2, 0xf8, v2
	s_delay_alu instid0(VALU_DEP_2) | instskip(NEXT) | instid1(VALU_DEP_2)
	v_cmp_eq_u64_e32 vcc_lo, 0, v[4:5]
	v_and_or_b32 v0, v4, 7, v2
	s_and_b32 s13, s13, vcc_lo
	s_delay_alu instid0(VALU_DEP_1) | instid1(SALU_CYCLE_1)
	v_cndmask_b32_e64 v0, v0, 0, s13
	s_delay_alu instid0(VALU_DEP_1)
	v_or_b32_e32 v4, v0, v1
.LBB6_4424:                             ;   in Loop: Header=BB6_4246 Depth=3
	s_or_b32 exec_lo, exec_lo, s74
                                        ; implicit-def: $vgpr1
.LBB6_4425:                             ;   in Loop: Header=BB6_4246 Depth=3
	s_and_not1_saveexec_b32 s13, s45
; %bb.4426:                             ;   in Loop: Header=BB6_4246 Depth=3
	v_or_b32_e32 v4, 0x7e, v1
; %bb.4427:                             ;   in Loop: Header=BB6_4246 Depth=3
	s_or_b32 exec_lo, exec_lo, s13
                                        ; implicit-def: $vgpr1
.LBB6_4428:                             ;   in Loop: Header=BB6_4246 Depth=3
	s_and_not1_saveexec_b32 s13, s44
; %bb.4429:                             ;   in Loop: Header=BB6_4246 Depth=3
	v_or_b32_e32 v4, 0x7f, v1
; %bb.4430:                             ;   in Loop: Header=BB6_4246 Depth=3
	s_or_b32 exec_lo, exec_lo, s13
	v_dual_mov_b32 v1, 0 :: v_dual_lshrrev_b32 v0, 16, v49
	v_mov_b32_e32 v5, 0
	s_mov_b32 s13, exec_lo
	s_delay_alu instid0(VALU_DEP_2) | instskip(NEXT) | instid1(VALU_DEP_1)
	v_and_b32_e32 v2, 0xff, v0
	v_cmpx_ne_u16_e32 0, v2
	s_cbranch_execz .LBB6_4438
; %bb.4431:                             ;   in Loop: Header=BB6_4246 Depth=3
	v_bfrev_b32_e32 v5, 1
	s_mov_b32 s44, exec_lo
	v_cmpx_ne_u16_e32 0x80, v2
	s_cbranch_execz .LBB6_4437
; %bb.4432:                             ;   in Loop: Header=BB6_4246 Depth=3
	v_bfe_u32 v31, v49, 16, 7
	v_mov_b32_e32 v5, 0x7f800001
	s_mov_b32 s45, exec_lo
	s_delay_alu instid0(VALU_DEP_2)
	v_cmpx_ne_u32_e32 0x7f, v31
	s_cbranch_execz .LBB6_4436
; %bb.4433:                             ;   in Loop: Header=BB6_4246 Depth=3
	v_dual_lshrrev_b32 v5, 3, v31 :: v_dual_bitop2_b32 v2, 7, v0 bitop3:0x40
	s_mov_b32 s74, exec_lo
	s_delay_alu instid0(VALU_DEP_1)
	v_mov_b64_e32 v[110:111], v[2:3]
	v_cmpx_gt_u32_e32 8, v31
; %bb.4434:                             ;   in Loop: Header=BB6_4246 Depth=3
	v_clz_i32_u32_e32 v5, v2
	s_delay_alu instid0(VALU_DEP_1) | instskip(NEXT) | instid1(VALU_DEP_1)
	v_min_u32_e32 v5, 32, v5
	v_subrev_nc_u32_e32 v31, 28, v5
	s_delay_alu instid0(VALU_DEP_1) | instskip(NEXT) | instid1(VALU_DEP_1)
	v_lshlrev_b64_e32 v[52:53], v31, v[2:3]
	v_dual_sub_nc_u32 v5, 29, v5 :: v_dual_bitop2_b32 v110, 7, v52 bitop3:0x40
; %bb.4435:                             ;   in Loop: Header=BB6_4246 Depth=3
	s_or_b32 exec_lo, exec_lo, s74
	s_delay_alu instid0(VALU_DEP_1) | instskip(NEXT) | instid1(VALU_DEP_2)
	v_dual_lshlrev_b32 v0, 24, v0 :: v_dual_lshlrev_b32 v2, 20, v110
	v_lshl_add_u32 v5, v5, 23, 0x3c000000
	s_delay_alu instid0(VALU_DEP_2) | instskip(NEXT) | instid1(VALU_DEP_1)
	v_and_b32_e32 v0, 0x80000000, v0
	v_or3_b32 v5, v2, v0, v5
.LBB6_4436:                             ;   in Loop: Header=BB6_4246 Depth=3
	s_or_b32 exec_lo, exec_lo, s45
.LBB6_4437:                             ;   in Loop: Header=BB6_4246 Depth=3
	s_delay_alu instid0(SALU_CYCLE_1)
	s_or_b32 exec_lo, exec_lo, s44
.LBB6_4438:                             ;   in Loop: Header=BB6_4246 Depth=3
	s_delay_alu instid0(SALU_CYCLE_1) | instskip(SKIP_2) | instid1(VALU_DEP_1)
	s_or_b32 exec_lo, exec_lo, s13
	v_lshrrev_b32_e32 v0, 16, v37
	s_mov_b32 s13, exec_lo
	v_and_b32_e32 v2, 0xff, v0
	s_delay_alu instid0(VALU_DEP_1)
	v_cmpx_ne_u16_e32 0, v2
	s_cbranch_execz .LBB6_4446
; %bb.4439:                             ;   in Loop: Header=BB6_4246 Depth=3
	v_bfrev_b32_e32 v1, 1
	s_mov_b32 s44, exec_lo
	v_cmpx_ne_u16_e32 0x80, v2
	s_cbranch_execz .LBB6_4445
; %bb.4440:                             ;   in Loop: Header=BB6_4246 Depth=3
	v_bfe_u32 v31, v37, 16, 7
	v_mov_b32_e32 v1, 0x7f800001
	s_mov_b32 s45, exec_lo
	s_delay_alu instid0(VALU_DEP_2)
	v_cmpx_ne_u32_e32 0x7f, v31
	s_cbranch_execz .LBB6_4444
; %bb.4441:                             ;   in Loop: Header=BB6_4246 Depth=3
	v_dual_lshrrev_b32 v0, 3, v31 :: v_dual_bitop2_b32 v2, 7, v0 bitop3:0x40
	s_mov_b32 s74, exec_lo
	s_delay_alu instid0(VALU_DEP_1)
	v_mov_b64_e32 v[110:111], v[2:3]
	v_cmpx_gt_u32_e32 8, v31
; %bb.4442:                             ;   in Loop: Header=BB6_4246 Depth=3
	v_clz_i32_u32_e32 v0, v2
	s_delay_alu instid0(VALU_DEP_1) | instskip(NEXT) | instid1(VALU_DEP_1)
	v_min_u32_e32 v0, 32, v0
	v_subrev_nc_u32_e32 v1, 28, v0
	v_sub_nc_u32_e32 v0, 29, v0
	s_delay_alu instid0(VALU_DEP_2) | instskip(NEXT) | instid1(VALU_DEP_1)
	v_lshlrev_b64_e32 v[52:53], v1, v[2:3]
	v_and_b32_e32 v110, 7, v52
; %bb.4443:                             ;   in Loop: Header=BB6_4246 Depth=3
	s_or_b32 exec_lo, exec_lo, s74
	s_delay_alu instid0(VALU_DEP_1) | instskip(SKIP_1) | instid1(VALU_DEP_2)
	v_dual_lshlrev_b32 v1, 8, v37 :: v_dual_lshlrev_b32 v2, 20, v110
	v_lshl_add_u32 v0, v0, 23, 0x3c000000
	v_and_b32_e32 v1, 0x80000000, v1
	s_delay_alu instid0(VALU_DEP_1)
	v_or3_b32 v1, v2, v1, v0
.LBB6_4444:                             ;   in Loop: Header=BB6_4246 Depth=3
	s_or_b32 exec_lo, exec_lo, s45
.LBB6_4445:                             ;   in Loop: Header=BB6_4246 Depth=3
	s_delay_alu instid0(SALU_CYCLE_1)
	s_or_b32 exec_lo, exec_lo, s44
.LBB6_4446:                             ;   in Loop: Header=BB6_4246 Depth=3
	s_delay_alu instid0(SALU_CYCLE_1) | instskip(NEXT) | instid1(VALU_DEP_1)
	s_or_b32 exec_lo, exec_lo, s13
	v_add_f32_e32 v0, v5, v1
                                        ; implicit-def: $vgpr5
	s_mov_b32 s13, exec_lo
	s_delay_alu instid0(VALU_DEP_1) | instskip(SKIP_1) | instid1(VALU_DEP_2)
	v_and_b32_e32 v2, 0x7f800000, v0
	v_lshrrev_b32_e32 v1, 24, v0
	v_cmpx_ne_u64_e32 0x7f800000, v[2:3]
	s_xor_b32 s44, exec_lo, s13
	s_cbranch_execz .LBB6_4460
; %bb.4447:                             ;   in Loop: Header=BB6_4246 Depth=3
	v_and_b32_e32 v2, 0x7fffffff, v0
	v_and_b32_e32 v1, 0x80, v1
                                        ; implicit-def: $vgpr5
	s_mov_b32 s13, exec_lo
	s_delay_alu instid0(VALU_DEP_2)
	v_cmpx_gt_u64_e32 0x43e00001, v[2:3]
	s_xor_b32 s45, exec_lo, s13
	s_cbranch_execz .LBB6_4457
; %bb.4448:                             ;   in Loop: Header=BB6_4246 Depth=3
	v_mov_b32_e32 v5, 0
	s_mov_b32 s74, exec_lo
	v_cmpx_ne_u32_e32 0, v0
	s_cbranch_execz .LBB6_4456
; %bb.4449:                             ;   in Loop: Header=BB6_4246 Depth=3
	v_bfe_u32 v5, v0, 23, 8
	v_and_b32_e32 v2, 0x7fffff, v0
	s_mov_b32 s75, exec_lo
	s_delay_alu instid0(VALU_DEP_2) | instskip(SKIP_3) | instid1(VALU_DEP_1)
	v_cmp_gt_u32_e64 s13, 0x7a, v5
	v_sub_nc_u32_e32 v0, 0x79, v5
	v_cmp_eq_u32_e32 vcc_lo, 0, v5
	v_or_b32_e32 v31, 0x800000, v2
	v_dual_cndmask_b32 v0, 0, v0, s13 :: v_dual_cndmask_b32 v2, v31, v2, vcc_lo
	s_delay_alu instid0(VALU_DEP_1) | instskip(NEXT) | instid1(VALU_DEP_1)
	v_cndmask_b32_e64 v0, v0, 0x78, vcc_lo
	v_add_nc_u32_e32 v31, 20, v0
	s_delay_alu instid0(VALU_DEP_3) | instskip(NEXT) | instid1(VALU_DEP_2)
	v_lshrrev_b64 v[110:111], v0, v[2:3]
	v_lshlrev_b64_e64 v[52:53], v31, -1
	v_add_nc_u32_e32 v31, 19, v0
	s_delay_alu instid0(VALU_DEP_3) | instskip(NEXT) | instid1(VALU_DEP_2)
	v_mov_b64_e32 v[120:121], v[110:111]
	v_lshlrev_b64_e64 v[66:67], v31, 1
	s_delay_alu instid0(VALU_DEP_4) | instskip(SKIP_1) | instid1(VALU_DEP_1)
	v_bfi_b32 v53, v53, 0, 0
	v_bfi_b32 v52, v52, 0, v2
	v_cmpx_eq_u64_e64 v[52:53], v[66:67]
; %bb.4450:                             ;   in Loop: Header=BB6_4246 Depth=3
	v_bfe_u32 v2, v110, 20, 1
	s_delay_alu instid0(VALU_DEP_1) | instskip(NEXT) | instid1(VALU_DEP_1)
	v_add_nc_u64_e32 v[52:53], v[110:111], v[2:3]
	v_add_nc_u64_e32 v[120:121], -1, v[52:53]
; %bb.4451:                             ;   in Loop: Header=BB6_4246 Depth=3
	s_or_b32 exec_lo, exec_lo, s75
	v_add_nc_u32_e32 v2, 0xffffff81, v5
	v_lshrrev_b32_e32 v5, 23, v110
	s_mov_b32 s13, exec_lo
	s_delay_alu instid0(VALU_DEP_2) | instskip(NEXT) | instid1(VALU_DEP_1)
	v_cndmask_b32_e64 v2, v2, 0xffffff82, vcc_lo
	v_add3_u32 v31, v0, v2, v5
	v_and_b32_e32 v0, 0xfffff, v120
	s_delay_alu instid0(VALU_DEP_1) | instskip(NEXT) | instid1(VALU_DEP_1)
	v_dual_add_nc_u32 v5, 6, v31 :: v_dual_add_nc_u32 v2, v0, v110
                                        ; implicit-def: $vgpr110_vgpr111
                                        ; implicit-def: $vgpr0
	v_cmpx_ne_u32_e32 0, v5
	s_xor_b32 s13, exec_lo, s13
; %bb.4452:                             ;   in Loop: Header=BB6_4246 Depth=3
	s_delay_alu instid0(VALU_DEP_2) | instskip(SKIP_1) | instid1(VALU_DEP_1)
	v_cmp_lt_u64_e32 vcc_lo, 0xffffff, v[2:3]
	v_add_nc_u32_e32 v0, 7, v31
	v_cndmask_b32_e32 v0, v5, v0, vcc_lo
	v_cndmask_b32_e64 v5, 0, 1, vcc_lo
	s_delay_alu instid0(VALU_DEP_1)
	v_lshrrev_b64 v[110:111], v5, v[2:3]
; %bb.4453:                             ;   in Loop: Header=BB6_4246 Depth=3
	s_and_not1_saveexec_b32 s13, s13
; %bb.4454:                             ;   in Loop: Header=BB6_4246 Depth=3
	v_mov_b64_e32 v[110:111], v[2:3]
	v_bfe_u32 v0, v2, 23, 1
; %bb.4455:                             ;   in Loop: Header=BB6_4246 Depth=3
	s_or_b32 exec_lo, exec_lo, s13
	s_delay_alu instid0(VALU_DEP_2) | instskip(NEXT) | instid1(VALU_DEP_2)
	v_lshrrev_b64 v[52:53], 20, v[110:111]
	v_cmp_gt_i32_e32 vcc_lo, 16, v0
	v_min_i32_e32 v2, 15, v0
	v_cmp_eq_u32_e64 s13, 0, v0
	s_delay_alu instid0(VALU_DEP_2) | instskip(SKIP_1) | instid1(VALU_DEP_2)
	v_dual_cndmask_b32 v53, 0, v53 :: v_dual_lshlrev_b32 v2, 3, v2
	v_cndmask_b32_e32 v52, 7, v52, vcc_lo
	v_and_b32_e32 v2, 0xf8, v2
	s_delay_alu instid0(VALU_DEP_2) | instskip(NEXT) | instid1(VALU_DEP_2)
	v_cmp_eq_u64_e32 vcc_lo, 0, v[52:53]
	v_and_or_b32 v0, v52, 7, v2
	s_and_b32 s13, s13, vcc_lo
	s_delay_alu instid0(VALU_DEP_1) | instid1(SALU_CYCLE_1)
	v_cndmask_b32_e64 v0, v0, 0, s13
	s_delay_alu instid0(VALU_DEP_1)
	v_or_b32_e32 v5, v0, v1
.LBB6_4456:                             ;   in Loop: Header=BB6_4246 Depth=3
	s_or_b32 exec_lo, exec_lo, s74
                                        ; implicit-def: $vgpr1
.LBB6_4457:                             ;   in Loop: Header=BB6_4246 Depth=3
	s_and_not1_saveexec_b32 s13, s45
; %bb.4458:                             ;   in Loop: Header=BB6_4246 Depth=3
	v_or_b32_e32 v5, 0x7e, v1
; %bb.4459:                             ;   in Loop: Header=BB6_4246 Depth=3
	s_or_b32 exec_lo, exec_lo, s13
                                        ; implicit-def: $vgpr1
.LBB6_4460:                             ;   in Loop: Header=BB6_4246 Depth=3
	s_and_not1_saveexec_b32 s13, s44
; %bb.4461:                             ;   in Loop: Header=BB6_4246 Depth=3
	v_or_b32_e32 v5, 0x7f, v1
; %bb.4462:                             ;   in Loop: Header=BB6_4246 Depth=3
	s_or_b32 exec_lo, exec_lo, s13
	v_dual_mov_b32 v1, 0 :: v_dual_mov_b32 v31, 0
	s_mov_b32 s13, exec_lo
	v_cmpx_lt_u64_e64 s[22:23], v[48:49]
	s_cbranch_execz .LBB6_4470
; %bb.4463:                             ;   in Loop: Header=BB6_4246 Depth=3
	v_lshrrev_b32_e32 v0, 24, v49
	v_bfrev_b32_e32 v31, 1
	s_mov_b32 s44, exec_lo
	s_delay_alu instid0(VALU_DEP_2)
	v_cmpx_ne_u32_e32 0x80, v0
	s_cbranch_execz .LBB6_4469
; %bb.4464:                             ;   in Loop: Header=BB6_4246 Depth=3
	v_bfe_u32 v48, v49, 24, 7
	v_mov_b32_e32 v31, 0x7f800001
	s_mov_b32 s45, exec_lo
	s_delay_alu instid0(VALU_DEP_2)
	v_cmpx_ne_u32_e32 0x7f, v48
	s_cbranch_execz .LBB6_4468
; %bb.4465:                             ;   in Loop: Header=BB6_4246 Depth=3
	v_and_b32_e32 v2, 7, v0
	v_lshrrev_b32_e32 v31, 3, v48
	v_cmp_gt_u32_e32 vcc_lo, 8, v48
	s_delay_alu instid0(VALU_DEP_3)
	v_mov_b64_e32 v[48:49], v[2:3]
	s_and_saveexec_b32 s74, vcc_lo
; %bb.4466:                             ;   in Loop: Header=BB6_4246 Depth=3
	v_clz_i32_u32_e32 v31, v2
	s_delay_alu instid0(VALU_DEP_1) | instskip(NEXT) | instid1(VALU_DEP_1)
	v_min_u32_e32 v31, 32, v31
	v_subrev_nc_u32_e32 v48, 28, v31
	s_delay_alu instid0(VALU_DEP_1) | instskip(NEXT) | instid1(VALU_DEP_1)
	v_lshlrev_b64_e32 v[48:49], v48, v[2:3]
	v_dual_sub_nc_u32 v31, 29, v31 :: v_dual_bitop2_b32 v48, 7, v48 bitop3:0x40
; %bb.4467:                             ;   in Loop: Header=BB6_4246 Depth=3
	s_or_b32 exec_lo, exec_lo, s74
	v_lshlrev_b32_e32 v0, 24, v0
	s_delay_alu instid0(VALU_DEP_2) | instskip(NEXT) | instid1(VALU_DEP_3)
	v_lshlrev_b32_e32 v2, 20, v48
	v_lshl_add_u32 v31, v31, 23, 0x3c000000
	s_delay_alu instid0(VALU_DEP_3) | instskip(NEXT) | instid1(VALU_DEP_1)
	v_and_b32_e32 v0, 0x80000000, v0
	v_or3_b32 v31, v2, v0, v31
.LBB6_4468:                             ;   in Loop: Header=BB6_4246 Depth=3
	s_or_b32 exec_lo, exec_lo, s45
.LBB6_4469:                             ;   in Loop: Header=BB6_4246 Depth=3
	s_delay_alu instid0(SALU_CYCLE_1)
	s_or_b32 exec_lo, exec_lo, s44
.LBB6_4470:                             ;   in Loop: Header=BB6_4246 Depth=3
	s_delay_alu instid0(SALU_CYCLE_1) | instskip(NEXT) | instid1(SALU_CYCLE_1)
	s_or_b32 exec_lo, exec_lo, s13
	s_mov_b32 s13, exec_lo
	v_cmpx_lt_u64_e64 s[22:23], v[36:37]
	s_cbranch_execz .LBB6_4478
; %bb.4471:                             ;   in Loop: Header=BB6_4246 Depth=3
	v_lshrrev_b32_e32 v0, 24, v37
	v_bfrev_b32_e32 v1, 1
	s_mov_b32 s44, exec_lo
	s_delay_alu instid0(VALU_DEP_2)
	v_cmpx_ne_u32_e32 0x80, v0
	s_cbranch_execz .LBB6_4477
; %bb.4472:                             ;   in Loop: Header=BB6_4246 Depth=3
	v_bfe_u32 v36, v37, 24, 7
	v_mov_b32_e32 v1, 0x7f800001
	s_mov_b32 s45, exec_lo
	s_delay_alu instid0(VALU_DEP_2)
	v_cmpx_ne_u32_e32 0x7f, v36
	s_cbranch_execz .LBB6_4476
; %bb.4473:                             ;   in Loop: Header=BB6_4246 Depth=3
	v_and_b32_e32 v2, 7, v0
	v_lshrrev_b32_e32 v1, 3, v36
	v_cmp_gt_u32_e32 vcc_lo, 8, v36
	s_delay_alu instid0(VALU_DEP_3)
	v_mov_b64_e32 v[36:37], v[2:3]
	s_and_saveexec_b32 s74, vcc_lo
; %bb.4474:                             ;   in Loop: Header=BB6_4246 Depth=3
	v_clz_i32_u32_e32 v1, v2
	s_delay_alu instid0(VALU_DEP_1) | instskip(NEXT) | instid1(VALU_DEP_1)
	v_min_u32_e32 v1, 32, v1
	v_subrev_nc_u32_e32 v36, 28, v1
	s_delay_alu instid0(VALU_DEP_1) | instskip(NEXT) | instid1(VALU_DEP_1)
	v_lshlrev_b64_e32 v[36:37], v36, v[2:3]
	v_dual_sub_nc_u32 v1, 29, v1 :: v_dual_bitop2_b32 v36, 7, v36 bitop3:0x40
; %bb.4475:                             ;   in Loop: Header=BB6_4246 Depth=3
	s_or_b32 exec_lo, exec_lo, s74
	v_lshlrev_b32_e32 v0, 24, v0
	s_delay_alu instid0(VALU_DEP_2) | instskip(NEXT) | instid1(VALU_DEP_3)
	v_lshlrev_b32_e32 v2, 20, v36
	v_lshl_add_u32 v1, v1, 23, 0x3c000000
	s_delay_alu instid0(VALU_DEP_3) | instskip(NEXT) | instid1(VALU_DEP_1)
	v_and_b32_e32 v0, 0x80000000, v0
	v_or3_b32 v1, v2, v0, v1
.LBB6_4476:                             ;   in Loop: Header=BB6_4246 Depth=3
	s_or_b32 exec_lo, exec_lo, s45
.LBB6_4477:                             ;   in Loop: Header=BB6_4246 Depth=3
	s_delay_alu instid0(SALU_CYCLE_1)
	s_or_b32 exec_lo, exec_lo, s44
.LBB6_4478:                             ;   in Loop: Header=BB6_4246 Depth=3
	s_delay_alu instid0(SALU_CYCLE_1) | instskip(NEXT) | instid1(VALU_DEP_1)
	s_or_b32 exec_lo, exec_lo, s13
	v_add_f32_e32 v0, v31, v1
                                        ; implicit-def: $vgpr110
	s_mov_b32 s13, exec_lo
	s_delay_alu instid0(VALU_DEP_1) | instskip(SKIP_1) | instid1(VALU_DEP_2)
	v_and_b32_e32 v2, 0x7f800000, v0
	v_lshrrev_b32_e32 v1, 24, v0
	v_cmpx_ne_u64_e32 0x7f800000, v[2:3]
	s_xor_b32 s44, exec_lo, s13
	s_cbranch_execz .LBB6_4492
; %bb.4479:                             ;   in Loop: Header=BB6_4246 Depth=3
	v_and_b32_e32 v2, 0x7fffffff, v0
	v_and_b32_e32 v1, 0x80, v1
                                        ; implicit-def: $vgpr110
	s_mov_b32 s13, exec_lo
	s_delay_alu instid0(VALU_DEP_2)
	v_cmpx_gt_u64_e32 0x43e00001, v[2:3]
	s_xor_b32 s45, exec_lo, s13
	s_cbranch_execz .LBB6_4489
; %bb.4480:                             ;   in Loop: Header=BB6_4246 Depth=3
	v_mov_b32_e32 v110, 0
	s_mov_b32 s74, exec_lo
	v_cmpx_ne_u32_e32 0, v0
	s_cbranch_execz .LBB6_4488
; %bb.4481:                             ;   in Loop: Header=BB6_4246 Depth=3
	v_bfe_u32 v31, v0, 23, 8
	v_and_b32_e32 v2, 0x7fffff, v0
	s_delay_alu instid0(VALU_DEP_2) | instskip(SKIP_2) | instid1(VALU_DEP_4)
	v_cmp_gt_u32_e64 s13, 0x7a, v31
	v_sub_nc_u32_e32 v0, 0x79, v31
	v_cmp_eq_u32_e32 vcc_lo, 0, v31
	v_or_b32_e32 v36, 0x800000, v2
	s_delay_alu instid0(VALU_DEP_1) | instskip(NEXT) | instid1(VALU_DEP_1)
	v_dual_cndmask_b32 v0, 0, v0, s13 :: v_dual_cndmask_b32 v2, v36, v2, vcc_lo
	v_cndmask_b32_e64 v0, v0, 0x78, vcc_lo
	s_delay_alu instid0(VALU_DEP_1) | instskip(NEXT) | instid1(VALU_DEP_1)
	v_dual_add_nc_u32 v36, 20, v0 :: v_dual_add_nc_u32 v48, 19, v0
	v_lshlrev_b64_e64 v[36:37], v36, -1
	s_delay_alu instid0(VALU_DEP_2) | instskip(NEXT) | instid1(VALU_DEP_2)
	v_lshlrev_b64_e64 v[48:49], v48, 1
	v_bfi_b32 v37, v37, 0, 0
	s_delay_alu instid0(VALU_DEP_3) | instskip(NEXT) | instid1(VALU_DEP_1)
	v_bfi_b32 v36, v36, 0, v2
	v_cmp_eq_u64_e64 s13, v[36:37], v[48:49]
	v_lshrrev_b64 v[36:37], v0, v[2:3]
	s_delay_alu instid0(VALU_DEP_1)
	v_mov_b64_e32 v[48:49], v[36:37]
	s_and_saveexec_b32 s75, s13
; %bb.4482:                             ;   in Loop: Header=BB6_4246 Depth=3
	v_bfe_u32 v2, v36, 20, 1
	s_delay_alu instid0(VALU_DEP_1) | instskip(NEXT) | instid1(VALU_DEP_1)
	v_add_nc_u64_e32 v[48:49], v[36:37], v[2:3]
	v_add_nc_u64_e32 v[48:49], -1, v[48:49]
; %bb.4483:                             ;   in Loop: Header=BB6_4246 Depth=3
	s_or_b32 exec_lo, exec_lo, s75
	v_add_nc_u32_e32 v2, 0xffffff81, v31
	v_lshrrev_b32_e32 v31, 23, v36
	s_mov_b32 s13, exec_lo
	s_delay_alu instid0(VALU_DEP_2) | instskip(NEXT) | instid1(VALU_DEP_1)
	v_cndmask_b32_e64 v2, v2, 0xffffff82, vcc_lo
	v_add3_u32 v49, v0, v2, v31
	v_and_b32_e32 v0, 0xfffff, v48
	s_delay_alu instid0(VALU_DEP_1) | instskip(NEXT) | instid1(VALU_DEP_1)
	v_dual_add_nc_u32 v31, 6, v49 :: v_dual_add_nc_u32 v2, v0, v36
                                        ; implicit-def: $vgpr36_vgpr37
                                        ; implicit-def: $vgpr0
	v_cmpx_ne_u32_e32 0, v31
	s_xor_b32 s13, exec_lo, s13
; %bb.4484:                             ;   in Loop: Header=BB6_4246 Depth=3
	s_delay_alu instid0(VALU_DEP_2) | instskip(SKIP_1) | instid1(VALU_DEP_1)
	v_cmp_lt_u64_e32 vcc_lo, 0xffffff, v[2:3]
	v_add_nc_u32_e32 v0, 7, v49
	v_cndmask_b32_e32 v0, v31, v0, vcc_lo
	v_cndmask_b32_e64 v31, 0, 1, vcc_lo
	s_delay_alu instid0(VALU_DEP_1)
	v_lshrrev_b64 v[36:37], v31, v[2:3]
; %bb.4485:                             ;   in Loop: Header=BB6_4246 Depth=3
	s_and_not1_saveexec_b32 s13, s13
; %bb.4486:                             ;   in Loop: Header=BB6_4246 Depth=3
	v_mov_b64_e32 v[36:37], v[2:3]
	v_bfe_u32 v0, v2, 23, 1
; %bb.4487:                             ;   in Loop: Header=BB6_4246 Depth=3
	s_or_b32 exec_lo, exec_lo, s13
	s_delay_alu instid0(VALU_DEP_2) | instskip(NEXT) | instid1(VALU_DEP_2)
	v_lshrrev_b64 v[36:37], 20, v[36:37]
	v_cmp_gt_i32_e32 vcc_lo, 16, v0
	v_min_i32_e32 v2, 15, v0
	v_cmp_eq_u32_e64 s13, 0, v0
	s_delay_alu instid0(VALU_DEP_2) | instskip(SKIP_1) | instid1(VALU_DEP_2)
	v_dual_cndmask_b32 v37, 0, v37 :: v_dual_lshlrev_b32 v2, 3, v2
	v_cndmask_b32_e32 v36, 7, v36, vcc_lo
	v_and_b32_e32 v2, 0xf8, v2
	s_delay_alu instid0(VALU_DEP_2) | instskip(NEXT) | instid1(VALU_DEP_2)
	v_cmp_eq_u64_e32 vcc_lo, 0, v[36:37]
	v_and_or_b32 v0, v36, 7, v2
	s_and_b32 s13, s13, vcc_lo
	s_delay_alu instid0(VALU_DEP_1) | instid1(SALU_CYCLE_1)
	v_cndmask_b32_e64 v0, v0, 0, s13
	s_delay_alu instid0(VALU_DEP_1)
	v_or_b32_e32 v110, v0, v1
.LBB6_4488:                             ;   in Loop: Header=BB6_4246 Depth=3
	s_or_b32 exec_lo, exec_lo, s74
                                        ; implicit-def: $vgpr1
.LBB6_4489:                             ;   in Loop: Header=BB6_4246 Depth=3
	s_and_not1_saveexec_b32 s13, s45
; %bb.4490:                             ;   in Loop: Header=BB6_4246 Depth=3
	v_or_b32_e32 v110, 0x7e, v1
; %bb.4491:                             ;   in Loop: Header=BB6_4246 Depth=3
	s_or_b32 exec_lo, exec_lo, s13
                                        ; implicit-def: $vgpr1
.LBB6_4492:                             ;   in Loop: Header=BB6_4246 Depth=3
	s_and_not1_saveexec_b32 s13, s44
; %bb.4493:                             ;   in Loop: Header=BB6_4246 Depth=3
	v_or_b32_e32 v110, 0x7f, v1
; %bb.4494:                             ;   in Loop: Header=BB6_4246 Depth=3
	s_or_b32 exec_lo, exec_lo, s13
	v_and_b32_e32 v0, 0xff, v50
	v_dual_mov_b32 v1, 0 :: v_dual_mov_b32 v2, 0
	s_mov_b32 s13, exec_lo
	s_delay_alu instid0(VALU_DEP_2)
	v_cmpx_ne_u16_e32 0, v0
	s_cbranch_execz .LBB6_4500
; %bb.4495:                             ;   in Loop: Header=BB6_4246 Depth=3
	v_bfrev_b32_e32 v2, 1
	s_mov_b32 s44, exec_lo
	v_cmpx_ne_u16_e32 0x80, v0
	s_cbranch_execz .LBB6_4499
; %bb.4496:                             ;   in Loop: Header=BB6_4246 Depth=3
	v_and_b32_e32 v0, 0x7f, v50
	v_mov_b32_e32 v2, 0x7f800001
	s_mov_b32 s45, exec_lo
	s_delay_alu instid0(VALU_DEP_2)
	v_cmpx_ne_u32_e32 0x7f, v0
	s_cbranch_execz .LBB6_4498
; %bb.4497:                             ;   in Loop: Header=BB6_4246 Depth=3
	v_dual_lshrrev_b32 v31, 3, v0 :: v_dual_bitop2_b32 v2, 7, v50 bitop3:0x40
	v_cmp_gt_u32_e32 vcc_lo, 8, v0
	s_delay_alu instid0(VALU_DEP_2) | instskip(NEXT) | instid1(VALU_DEP_1)
	v_clz_i32_u32_e32 v0, v2
	v_min_u32_e32 v0, 32, v0
	s_delay_alu instid0(VALU_DEP_1) | instskip(NEXT) | instid1(VALU_DEP_1)
	v_subrev_nc_u32_e32 v2, 28, v0
	v_dual_sub_nc_u32 v0, 29, v0 :: v_dual_cndmask_b32 v2, 0, v2, vcc_lo
	s_delay_alu instid0(VALU_DEP_1) | instskip(NEXT) | instid1(VALU_DEP_2)
	v_dual_cndmask_b32 v0, v31, v0 :: v_dual_lshlrev_b32 v31, 24, v50
	v_lshlrev_b64_e32 v[36:37], v2, v[50:51]
	s_delay_alu instid0(VALU_DEP_2) | instskip(NEXT) | instid1(VALU_DEP_3)
	v_lshl_add_u32 v0, v0, 23, 0x3c000000
	v_and_b32_e32 v31, 0x80000000, v31
	s_delay_alu instid0(VALU_DEP_3) | instskip(NEXT) | instid1(VALU_DEP_1)
	v_lshlrev_b32_e32 v2, 20, v36
	v_and_b32_e32 v2, 0x700000, v2
	s_delay_alu instid0(VALU_DEP_1)
	v_or3_b32 v2, v2, v31, v0
.LBB6_4498:                             ;   in Loop: Header=BB6_4246 Depth=3
	s_or_b32 exec_lo, exec_lo, s45
.LBB6_4499:                             ;   in Loop: Header=BB6_4246 Depth=3
	s_delay_alu instid0(SALU_CYCLE_1)
	s_or_b32 exec_lo, exec_lo, s44
.LBB6_4500:                             ;   in Loop: Header=BB6_4246 Depth=3
	s_delay_alu instid0(SALU_CYCLE_1) | instskip(SKIP_2) | instid1(VALU_DEP_1)
	s_or_b32 exec_lo, exec_lo, s13
	v_and_b32_e32 v0, 0xff, v38
	s_mov_b32 s13, exec_lo
	v_cmpx_ne_u16_e32 0, v0
	s_cbranch_execz .LBB6_4506
; %bb.4501:                             ;   in Loop: Header=BB6_4246 Depth=3
	v_bfrev_b32_e32 v1, 1
	s_mov_b32 s44, exec_lo
	v_cmpx_ne_u16_e32 0x80, v0
	s_cbranch_execz .LBB6_4505
; %bb.4502:                             ;   in Loop: Header=BB6_4246 Depth=3
	v_and_b32_e32 v0, 0x7f, v38
	v_mov_b32_e32 v1, 0x7f800001
	s_mov_b32 s45, exec_lo
	s_delay_alu instid0(VALU_DEP_2)
	v_cmpx_ne_u32_e32 0x7f, v0
	s_cbranch_execz .LBB6_4504
; %bb.4503:                             ;   in Loop: Header=BB6_4246 Depth=3
	v_dual_lshrrev_b32 v31, 3, v0 :: v_dual_bitop2_b32 v1, 7, v38 bitop3:0x40
	v_cmp_gt_u32_e32 vcc_lo, 8, v0
	s_delay_alu instid0(VALU_DEP_2) | instskip(NEXT) | instid1(VALU_DEP_1)
	v_clz_i32_u32_e32 v0, v1
	v_min_u32_e32 v0, 32, v0
	s_delay_alu instid0(VALU_DEP_1) | instskip(SKIP_1) | instid1(VALU_DEP_1)
	v_subrev_nc_u32_e32 v1, 28, v0
	v_sub_nc_u32_e32 v0, 29, v0
	v_dual_cndmask_b32 v31, v31, v0 :: v_dual_cndmask_b32 v0, 0, v1
	s_delay_alu instid0(VALU_DEP_1) | instskip(NEXT) | instid1(VALU_DEP_2)
	v_lshl_add_u32 v31, v31, 23, 0x3c000000
	v_lshlrev_b64_e32 v[0:1], v0, v[38:39]
	v_lshlrev_b32_e32 v1, 24, v38
	s_delay_alu instid0(VALU_DEP_1) | instskip(NEXT) | instid1(VALU_DEP_3)
	v_and_b32_e32 v1, 0x80000000, v1
	v_lshlrev_b32_e32 v0, 20, v0
	s_delay_alu instid0(VALU_DEP_1) | instskip(NEXT) | instid1(VALU_DEP_1)
	v_and_b32_e32 v0, 0x700000, v0
	v_or3_b32 v1, v0, v1, v31
.LBB6_4504:                             ;   in Loop: Header=BB6_4246 Depth=3
	s_or_b32 exec_lo, exec_lo, s45
.LBB6_4505:                             ;   in Loop: Header=BB6_4246 Depth=3
	s_delay_alu instid0(SALU_CYCLE_1)
	s_or_b32 exec_lo, exec_lo, s44
.LBB6_4506:                             ;   in Loop: Header=BB6_4246 Depth=3
	s_delay_alu instid0(SALU_CYCLE_1) | instskip(NEXT) | instid1(VALU_DEP_1)
	s_or_b32 exec_lo, exec_lo, s13
	v_add_f32_e32 v0, v2, v1
                                        ; implicit-def: $vgpr111
	s_mov_b32 s13, exec_lo
	s_delay_alu instid0(VALU_DEP_1) | instskip(SKIP_1) | instid1(VALU_DEP_2)
	v_and_b32_e32 v2, 0x7f800000, v0
	v_lshrrev_b32_e32 v1, 24, v0
	v_cmpx_ne_u64_e32 0x7f800000, v[2:3]
	s_xor_b32 s44, exec_lo, s13
	s_cbranch_execz .LBB6_4520
; %bb.4507:                             ;   in Loop: Header=BB6_4246 Depth=3
	v_and_b32_e32 v2, 0x7fffffff, v0
	v_and_b32_e32 v1, 0x80, v1
                                        ; implicit-def: $vgpr111
	s_mov_b32 s13, exec_lo
	s_delay_alu instid0(VALU_DEP_2)
	v_cmpx_gt_u64_e32 0x43e00001, v[2:3]
	s_xor_b32 s45, exec_lo, s13
	s_cbranch_execz .LBB6_4517
; %bb.4508:                             ;   in Loop: Header=BB6_4246 Depth=3
	v_mov_b32_e32 v111, 0
	s_mov_b32 s74, exec_lo
	v_cmpx_ne_u32_e32 0, v0
	s_cbranch_execz .LBB6_4516
; %bb.4509:                             ;   in Loop: Header=BB6_4246 Depth=3
	v_bfe_u32 v31, v0, 23, 8
	v_and_b32_e32 v2, 0x7fffff, v0
	s_delay_alu instid0(VALU_DEP_2) | instskip(SKIP_2) | instid1(VALU_DEP_4)
	v_cmp_gt_u32_e64 s13, 0x7a, v31
	v_sub_nc_u32_e32 v0, 0x79, v31
	v_cmp_eq_u32_e32 vcc_lo, 0, v31
	v_or_b32_e32 v36, 0x800000, v2
	s_delay_alu instid0(VALU_DEP_1) | instskip(NEXT) | instid1(VALU_DEP_1)
	v_dual_cndmask_b32 v0, 0, v0, s13 :: v_dual_cndmask_b32 v2, v36, v2, vcc_lo
	v_cndmask_b32_e64 v0, v0, 0x78, vcc_lo
	s_delay_alu instid0(VALU_DEP_1) | instskip(NEXT) | instid1(VALU_DEP_1)
	v_dual_add_nc_u32 v36, 20, v0 :: v_dual_add_nc_u32 v48, 19, v0
	v_lshlrev_b64_e64 v[36:37], v36, -1
	s_delay_alu instid0(VALU_DEP_2) | instskip(NEXT) | instid1(VALU_DEP_2)
	v_lshlrev_b64_e64 v[48:49], v48, 1
	v_bfi_b32 v37, v37, 0, 0
	s_delay_alu instid0(VALU_DEP_3) | instskip(NEXT) | instid1(VALU_DEP_1)
	v_bfi_b32 v36, v36, 0, v2
	v_cmp_eq_u64_e64 s13, v[36:37], v[48:49]
	v_lshrrev_b64 v[36:37], v0, v[2:3]
	s_delay_alu instid0(VALU_DEP_1)
	v_mov_b64_e32 v[48:49], v[36:37]
	s_and_saveexec_b32 s75, s13
; %bb.4510:                             ;   in Loop: Header=BB6_4246 Depth=3
	v_bfe_u32 v2, v36, 20, 1
	s_delay_alu instid0(VALU_DEP_1) | instskip(NEXT) | instid1(VALU_DEP_1)
	v_add_nc_u64_e32 v[48:49], v[36:37], v[2:3]
	v_add_nc_u64_e32 v[48:49], -1, v[48:49]
; %bb.4511:                             ;   in Loop: Header=BB6_4246 Depth=3
	s_or_b32 exec_lo, exec_lo, s75
	v_add_nc_u32_e32 v2, 0xffffff81, v31
	v_lshrrev_b32_e32 v31, 23, v36
	s_mov_b32 s13, exec_lo
	s_delay_alu instid0(VALU_DEP_2) | instskip(NEXT) | instid1(VALU_DEP_1)
	v_cndmask_b32_e64 v2, v2, 0xffffff82, vcc_lo
	v_add3_u32 v49, v0, v2, v31
	v_and_b32_e32 v0, 0xfffff, v48
	s_delay_alu instid0(VALU_DEP_1) | instskip(NEXT) | instid1(VALU_DEP_1)
	v_dual_add_nc_u32 v31, 6, v49 :: v_dual_add_nc_u32 v2, v0, v36
                                        ; implicit-def: $vgpr36_vgpr37
                                        ; implicit-def: $vgpr0
	v_cmpx_ne_u32_e32 0, v31
	s_xor_b32 s13, exec_lo, s13
; %bb.4512:                             ;   in Loop: Header=BB6_4246 Depth=3
	s_delay_alu instid0(VALU_DEP_2) | instskip(SKIP_1) | instid1(VALU_DEP_1)
	v_cmp_lt_u64_e32 vcc_lo, 0xffffff, v[2:3]
	v_add_nc_u32_e32 v0, 7, v49
	v_cndmask_b32_e32 v0, v31, v0, vcc_lo
	v_cndmask_b32_e64 v31, 0, 1, vcc_lo
	s_delay_alu instid0(VALU_DEP_1)
	v_lshrrev_b64 v[36:37], v31, v[2:3]
; %bb.4513:                             ;   in Loop: Header=BB6_4246 Depth=3
	s_and_not1_saveexec_b32 s13, s13
; %bb.4514:                             ;   in Loop: Header=BB6_4246 Depth=3
	v_mov_b64_e32 v[36:37], v[2:3]
	v_bfe_u32 v0, v2, 23, 1
; %bb.4515:                             ;   in Loop: Header=BB6_4246 Depth=3
	s_or_b32 exec_lo, exec_lo, s13
	s_delay_alu instid0(VALU_DEP_2) | instskip(NEXT) | instid1(VALU_DEP_2)
	v_lshrrev_b64 v[36:37], 20, v[36:37]
	v_cmp_gt_i32_e32 vcc_lo, 16, v0
	v_min_i32_e32 v2, 15, v0
	v_cmp_eq_u32_e64 s13, 0, v0
	s_delay_alu instid0(VALU_DEP_2) | instskip(SKIP_1) | instid1(VALU_DEP_2)
	v_dual_cndmask_b32 v37, 0, v37 :: v_dual_lshlrev_b32 v2, 3, v2
	v_cndmask_b32_e32 v36, 7, v36, vcc_lo
	v_and_b32_e32 v2, 0xf8, v2
	s_delay_alu instid0(VALU_DEP_2) | instskip(NEXT) | instid1(VALU_DEP_2)
	v_cmp_eq_u64_e32 vcc_lo, 0, v[36:37]
	v_and_or_b32 v0, v36, 7, v2
	s_and_b32 s13, s13, vcc_lo
	s_delay_alu instid0(VALU_DEP_1) | instid1(SALU_CYCLE_1)
	v_cndmask_b32_e64 v0, v0, 0, s13
	s_delay_alu instid0(VALU_DEP_1)
	v_or_b32_e32 v111, v0, v1
.LBB6_4516:                             ;   in Loop: Header=BB6_4246 Depth=3
	s_or_b32 exec_lo, exec_lo, s74
                                        ; implicit-def: $vgpr1
.LBB6_4517:                             ;   in Loop: Header=BB6_4246 Depth=3
	s_and_not1_saveexec_b32 s13, s45
; %bb.4518:                             ;   in Loop: Header=BB6_4246 Depth=3
	v_or_b32_e32 v111, 0x7e, v1
; %bb.4519:                             ;   in Loop: Header=BB6_4246 Depth=3
	s_or_b32 exec_lo, exec_lo, s13
                                        ; implicit-def: $vgpr1
.LBB6_4520:                             ;   in Loop: Header=BB6_4246 Depth=3
	s_and_not1_saveexec_b32 s13, s44
; %bb.4521:                             ;   in Loop: Header=BB6_4246 Depth=3
	v_or_b32_e32 v111, 0x7f, v1
; %bb.4522:                             ;   in Loop: Header=BB6_4246 Depth=3
	s_or_b32 exec_lo, exec_lo, s13
	v_lshrrev_b16 v0, 8, v50
	v_dual_mov_b32 v1, 0 :: v_dual_mov_b32 v31, 0
	s_mov_b32 s13, exec_lo
	s_delay_alu instid0(VALU_DEP_2)
	v_cmpx_ne_u16_e32 0, v0
	s_cbranch_execz .LBB6_4530
; %bb.4523:                             ;   in Loop: Header=BB6_4246 Depth=3
	v_bfrev_b32_e32 v31, 1
	s_mov_b32 s44, exec_lo
	v_cmpx_ne_u16_e32 0x80, v0
	s_cbranch_execz .LBB6_4529
; %bb.4524:                             ;   in Loop: Header=BB6_4246 Depth=3
	v_and_b32_e32 v0, 0xffff, v0
	v_mov_b32_e32 v31, 0x7f800001
	s_mov_b32 s45, exec_lo
	s_delay_alu instid0(VALU_DEP_2) | instskip(NEXT) | instid1(VALU_DEP_1)
	v_and_b32_e32 v36, 0x7f, v0
	v_cmpx_ne_u32_e32 0x7f, v36
	s_cbranch_execz .LBB6_4528
; %bb.4525:                             ;   in Loop: Header=BB6_4246 Depth=3
	v_and_b32_e32 v2, 7, v0
	v_lshrrev_b32_e32 v0, 3, v36
	v_cmp_gt_u32_e32 vcc_lo, 8, v36
	s_delay_alu instid0(VALU_DEP_3)
	v_mov_b64_e32 v[36:37], v[2:3]
	s_and_saveexec_b32 s74, vcc_lo
; %bb.4526:                             ;   in Loop: Header=BB6_4246 Depth=3
	v_clz_i32_u32_e32 v0, v2
	s_delay_alu instid0(VALU_DEP_1) | instskip(NEXT) | instid1(VALU_DEP_1)
	v_min_u32_e32 v0, 32, v0
	v_subrev_nc_u32_e32 v31, 28, v0
	v_sub_nc_u32_e32 v0, 29, v0
	s_delay_alu instid0(VALU_DEP_2) | instskip(NEXT) | instid1(VALU_DEP_1)
	v_lshlrev_b64_e32 v[36:37], v31, v[2:3]
	v_and_b32_e32 v36, 7, v36
; %bb.4527:                             ;   in Loop: Header=BB6_4246 Depth=3
	s_or_b32 exec_lo, exec_lo, s74
	s_delay_alu instid0(VALU_DEP_1) | instskip(SKIP_1) | instid1(VALU_DEP_2)
	v_dual_lshlrev_b32 v2, 16, v50 :: v_dual_lshlrev_b32 v31, 20, v36
	v_lshl_add_u32 v0, v0, 23, 0x3c000000
	v_and_b32_e32 v2, 0x80000000, v2
	s_delay_alu instid0(VALU_DEP_1)
	v_or3_b32 v31, v31, v2, v0
.LBB6_4528:                             ;   in Loop: Header=BB6_4246 Depth=3
	s_or_b32 exec_lo, exec_lo, s45
.LBB6_4529:                             ;   in Loop: Header=BB6_4246 Depth=3
	s_delay_alu instid0(SALU_CYCLE_1)
	s_or_b32 exec_lo, exec_lo, s44
.LBB6_4530:                             ;   in Loop: Header=BB6_4246 Depth=3
	s_delay_alu instid0(SALU_CYCLE_1) | instskip(SKIP_2) | instid1(VALU_DEP_1)
	s_or_b32 exec_lo, exec_lo, s13
	v_lshrrev_b16 v0, 8, v38
	s_mov_b32 s13, exec_lo
	v_cmpx_ne_u16_e32 0, v0
	s_cbranch_execz .LBB6_4538
; %bb.4531:                             ;   in Loop: Header=BB6_4246 Depth=3
	v_bfrev_b32_e32 v1, 1
	s_mov_b32 s44, exec_lo
	v_cmpx_ne_u16_e32 0x80, v0
	s_cbranch_execz .LBB6_4537
; %bb.4532:                             ;   in Loop: Header=BB6_4246 Depth=3
	v_and_b32_e32 v0, 0xffff, v0
	v_mov_b32_e32 v1, 0x7f800001
	s_mov_b32 s45, exec_lo
	s_delay_alu instid0(VALU_DEP_2) | instskip(NEXT) | instid1(VALU_DEP_1)
	v_and_b32_e32 v36, 0x7f, v0
	v_cmpx_ne_u32_e32 0x7f, v36
	s_cbranch_execz .LBB6_4536
; %bb.4533:                             ;   in Loop: Header=BB6_4246 Depth=3
	v_and_b32_e32 v2, 7, v0
	v_lshrrev_b32_e32 v0, 3, v36
	v_cmp_gt_u32_e32 vcc_lo, 8, v36
	s_delay_alu instid0(VALU_DEP_3)
	v_mov_b64_e32 v[36:37], v[2:3]
	s_and_saveexec_b32 s74, vcc_lo
; %bb.4534:                             ;   in Loop: Header=BB6_4246 Depth=3
	v_clz_i32_u32_e32 v0, v2
	s_delay_alu instid0(VALU_DEP_1) | instskip(NEXT) | instid1(VALU_DEP_1)
	v_min_u32_e32 v0, 32, v0
	v_subrev_nc_u32_e32 v1, 28, v0
	v_sub_nc_u32_e32 v0, 29, v0
	s_delay_alu instid0(VALU_DEP_2) | instskip(NEXT) | instid1(VALU_DEP_1)
	v_lshlrev_b64_e32 v[36:37], v1, v[2:3]
	v_and_b32_e32 v36, 7, v36
; %bb.4535:                             ;   in Loop: Header=BB6_4246 Depth=3
	s_or_b32 exec_lo, exec_lo, s74
	s_delay_alu instid0(VALU_DEP_1) | instskip(SKIP_1) | instid1(VALU_DEP_2)
	v_dual_lshlrev_b32 v1, 16, v38 :: v_dual_lshlrev_b32 v2, 20, v36
	v_lshl_add_u32 v0, v0, 23, 0x3c000000
	v_and_b32_e32 v1, 0x80000000, v1
	s_delay_alu instid0(VALU_DEP_1)
	v_or3_b32 v1, v2, v1, v0
.LBB6_4536:                             ;   in Loop: Header=BB6_4246 Depth=3
	s_or_b32 exec_lo, exec_lo, s45
.LBB6_4537:                             ;   in Loop: Header=BB6_4246 Depth=3
	s_delay_alu instid0(SALU_CYCLE_1)
	s_or_b32 exec_lo, exec_lo, s44
.LBB6_4538:                             ;   in Loop: Header=BB6_4246 Depth=3
	s_delay_alu instid0(SALU_CYCLE_1) | instskip(NEXT) | instid1(VALU_DEP_1)
	s_or_b32 exec_lo, exec_lo, s13
	v_add_f32_e32 v0, v31, v1
                                        ; implicit-def: $vgpr120
	s_mov_b32 s13, exec_lo
	s_delay_alu instid0(VALU_DEP_1) | instskip(SKIP_1) | instid1(VALU_DEP_2)
	v_and_b32_e32 v2, 0x7f800000, v0
	v_lshrrev_b32_e32 v1, 24, v0
	v_cmpx_ne_u64_e32 0x7f800000, v[2:3]
	s_xor_b32 s44, exec_lo, s13
	s_cbranch_execz .LBB6_4552
; %bb.4539:                             ;   in Loop: Header=BB6_4246 Depth=3
	v_and_b32_e32 v2, 0x7fffffff, v0
	v_and_b32_e32 v1, 0x80, v1
                                        ; implicit-def: $vgpr120
	s_mov_b32 s13, exec_lo
	s_delay_alu instid0(VALU_DEP_2)
	v_cmpx_gt_u64_e32 0x43e00001, v[2:3]
	s_xor_b32 s45, exec_lo, s13
	s_cbranch_execz .LBB6_4549
; %bb.4540:                             ;   in Loop: Header=BB6_4246 Depth=3
	v_mov_b32_e32 v120, 0
	s_mov_b32 s74, exec_lo
	v_cmpx_ne_u32_e32 0, v0
	s_cbranch_execz .LBB6_4548
; %bb.4541:                             ;   in Loop: Header=BB6_4246 Depth=3
	v_bfe_u32 v31, v0, 23, 8
	v_and_b32_e32 v2, 0x7fffff, v0
	s_delay_alu instid0(VALU_DEP_2) | instskip(SKIP_2) | instid1(VALU_DEP_4)
	v_cmp_gt_u32_e64 s13, 0x7a, v31
	v_sub_nc_u32_e32 v0, 0x79, v31
	v_cmp_eq_u32_e32 vcc_lo, 0, v31
	v_or_b32_e32 v36, 0x800000, v2
	s_delay_alu instid0(VALU_DEP_1) | instskip(NEXT) | instid1(VALU_DEP_1)
	v_dual_cndmask_b32 v0, 0, v0, s13 :: v_dual_cndmask_b32 v2, v36, v2, vcc_lo
	v_cndmask_b32_e64 v0, v0, 0x78, vcc_lo
	s_delay_alu instid0(VALU_DEP_1) | instskip(NEXT) | instid1(VALU_DEP_1)
	v_dual_add_nc_u32 v36, 20, v0 :: v_dual_add_nc_u32 v48, 19, v0
	v_lshlrev_b64_e64 v[36:37], v36, -1
	s_delay_alu instid0(VALU_DEP_2) | instskip(NEXT) | instid1(VALU_DEP_2)
	v_lshlrev_b64_e64 v[48:49], v48, 1
	v_bfi_b32 v37, v37, 0, 0
	s_delay_alu instid0(VALU_DEP_3) | instskip(NEXT) | instid1(VALU_DEP_1)
	v_bfi_b32 v36, v36, 0, v2
	v_cmp_eq_u64_e64 s13, v[36:37], v[48:49]
	v_lshrrev_b64 v[36:37], v0, v[2:3]
	s_delay_alu instid0(VALU_DEP_1)
	v_mov_b64_e32 v[48:49], v[36:37]
	s_and_saveexec_b32 s75, s13
; %bb.4542:                             ;   in Loop: Header=BB6_4246 Depth=3
	v_bfe_u32 v2, v36, 20, 1
	s_delay_alu instid0(VALU_DEP_1) | instskip(NEXT) | instid1(VALU_DEP_1)
	v_add_nc_u64_e32 v[48:49], v[36:37], v[2:3]
	v_add_nc_u64_e32 v[48:49], -1, v[48:49]
; %bb.4543:                             ;   in Loop: Header=BB6_4246 Depth=3
	s_or_b32 exec_lo, exec_lo, s75
	v_add_nc_u32_e32 v2, 0xffffff81, v31
	v_lshrrev_b32_e32 v31, 23, v36
	s_mov_b32 s13, exec_lo
	s_delay_alu instid0(VALU_DEP_2) | instskip(NEXT) | instid1(VALU_DEP_1)
	v_cndmask_b32_e64 v2, v2, 0xffffff82, vcc_lo
	v_add3_u32 v49, v0, v2, v31
	v_and_b32_e32 v0, 0xfffff, v48
	s_delay_alu instid0(VALU_DEP_1) | instskip(NEXT) | instid1(VALU_DEP_1)
	v_dual_add_nc_u32 v31, 6, v49 :: v_dual_add_nc_u32 v2, v0, v36
                                        ; implicit-def: $vgpr36_vgpr37
                                        ; implicit-def: $vgpr0
	v_cmpx_ne_u32_e32 0, v31
	s_xor_b32 s13, exec_lo, s13
; %bb.4544:                             ;   in Loop: Header=BB6_4246 Depth=3
	s_delay_alu instid0(VALU_DEP_2) | instskip(SKIP_1) | instid1(VALU_DEP_1)
	v_cmp_lt_u64_e32 vcc_lo, 0xffffff, v[2:3]
	v_add_nc_u32_e32 v0, 7, v49
	v_cndmask_b32_e32 v0, v31, v0, vcc_lo
	v_cndmask_b32_e64 v31, 0, 1, vcc_lo
	s_delay_alu instid0(VALU_DEP_1)
	v_lshrrev_b64 v[36:37], v31, v[2:3]
; %bb.4545:                             ;   in Loop: Header=BB6_4246 Depth=3
	s_and_not1_saveexec_b32 s13, s13
; %bb.4546:                             ;   in Loop: Header=BB6_4246 Depth=3
	v_mov_b64_e32 v[36:37], v[2:3]
	v_bfe_u32 v0, v2, 23, 1
; %bb.4547:                             ;   in Loop: Header=BB6_4246 Depth=3
	s_or_b32 exec_lo, exec_lo, s13
	s_delay_alu instid0(VALU_DEP_2) | instskip(NEXT) | instid1(VALU_DEP_2)
	v_lshrrev_b64 v[36:37], 20, v[36:37]
	v_cmp_gt_i32_e32 vcc_lo, 16, v0
	v_min_i32_e32 v2, 15, v0
	v_cmp_eq_u32_e64 s13, 0, v0
	s_delay_alu instid0(VALU_DEP_2) | instskip(SKIP_1) | instid1(VALU_DEP_2)
	v_dual_cndmask_b32 v37, 0, v37 :: v_dual_lshlrev_b32 v2, 3, v2
	v_cndmask_b32_e32 v36, 7, v36, vcc_lo
	v_and_b32_e32 v2, 0xf8, v2
	s_delay_alu instid0(VALU_DEP_2) | instskip(NEXT) | instid1(VALU_DEP_2)
	v_cmp_eq_u64_e32 vcc_lo, 0, v[36:37]
	v_and_or_b32 v0, v36, 7, v2
	s_and_b32 s13, s13, vcc_lo
	s_delay_alu instid0(VALU_DEP_1) | instid1(SALU_CYCLE_1)
	v_cndmask_b32_e64 v0, v0, 0, s13
	s_delay_alu instid0(VALU_DEP_1)
	v_or_b32_e32 v120, v0, v1
.LBB6_4548:                             ;   in Loop: Header=BB6_4246 Depth=3
	s_or_b32 exec_lo, exec_lo, s74
                                        ; implicit-def: $vgpr1
.LBB6_4549:                             ;   in Loop: Header=BB6_4246 Depth=3
	s_and_not1_saveexec_b32 s13, s45
; %bb.4550:                             ;   in Loop: Header=BB6_4246 Depth=3
	v_or_b32_e32 v120, 0x7e, v1
; %bb.4551:                             ;   in Loop: Header=BB6_4246 Depth=3
	s_or_b32 exec_lo, exec_lo, s13
                                        ; implicit-def: $vgpr1
.LBB6_4552:                             ;   in Loop: Header=BB6_4246 Depth=3
	s_and_not1_saveexec_b32 s13, s44
; %bb.4553:                             ;   in Loop: Header=BB6_4246 Depth=3
	v_or_b32_e32 v120, 0x7f, v1
; %bb.4554:                             ;   in Loop: Header=BB6_4246 Depth=3
	s_or_b32 exec_lo, exec_lo, s13
	v_dual_mov_b32 v1, 0 :: v_dual_lshrrev_b32 v0, 16, v50
	v_mov_b32_e32 v31, 0
	s_mov_b32 s13, exec_lo
	s_delay_alu instid0(VALU_DEP_2) | instskip(NEXT) | instid1(VALU_DEP_1)
	v_and_b32_e32 v2, 0xff, v0
	v_cmpx_ne_u16_e32 0, v2
	s_cbranch_execz .LBB6_4562
; %bb.4555:                             ;   in Loop: Header=BB6_4246 Depth=3
	v_bfrev_b32_e32 v31, 1
	s_mov_b32 s44, exec_lo
	v_cmpx_ne_u16_e32 0x80, v2
	s_cbranch_execz .LBB6_4561
; %bb.4556:                             ;   in Loop: Header=BB6_4246 Depth=3
	v_bfe_u32 v36, v50, 16, 7
	v_mov_b32_e32 v31, 0x7f800001
	s_mov_b32 s45, exec_lo
	s_delay_alu instid0(VALU_DEP_2)
	v_cmpx_ne_u32_e32 0x7f, v36
	s_cbranch_execz .LBB6_4560
; %bb.4557:                             ;   in Loop: Header=BB6_4246 Depth=3
	v_and_b32_e32 v2, 7, v0
	v_lshrrev_b32_e32 v31, 3, v36
	v_cmp_gt_u32_e32 vcc_lo, 8, v36
	s_delay_alu instid0(VALU_DEP_3)
	v_mov_b64_e32 v[36:37], v[2:3]
	s_and_saveexec_b32 s74, vcc_lo
; %bb.4558:                             ;   in Loop: Header=BB6_4246 Depth=3
	v_clz_i32_u32_e32 v31, v2
	s_delay_alu instid0(VALU_DEP_1) | instskip(NEXT) | instid1(VALU_DEP_1)
	v_min_u32_e32 v31, 32, v31
	v_subrev_nc_u32_e32 v36, 28, v31
	s_delay_alu instid0(VALU_DEP_1) | instskip(NEXT) | instid1(VALU_DEP_1)
	v_lshlrev_b64_e32 v[36:37], v36, v[2:3]
	v_dual_sub_nc_u32 v31, 29, v31 :: v_dual_bitop2_b32 v36, 7, v36 bitop3:0x40
; %bb.4559:                             ;   in Loop: Header=BB6_4246 Depth=3
	s_or_b32 exec_lo, exec_lo, s74
	v_lshlrev_b32_e32 v0, 24, v0
	s_delay_alu instid0(VALU_DEP_2) | instskip(NEXT) | instid1(VALU_DEP_3)
	v_lshlrev_b32_e32 v2, 20, v36
	v_lshl_add_u32 v31, v31, 23, 0x3c000000
	s_delay_alu instid0(VALU_DEP_3) | instskip(NEXT) | instid1(VALU_DEP_1)
	v_and_b32_e32 v0, 0x80000000, v0
	v_or3_b32 v31, v2, v0, v31
.LBB6_4560:                             ;   in Loop: Header=BB6_4246 Depth=3
	s_or_b32 exec_lo, exec_lo, s45
.LBB6_4561:                             ;   in Loop: Header=BB6_4246 Depth=3
	s_delay_alu instid0(SALU_CYCLE_1)
	s_or_b32 exec_lo, exec_lo, s44
.LBB6_4562:                             ;   in Loop: Header=BB6_4246 Depth=3
	s_delay_alu instid0(SALU_CYCLE_1) | instskip(SKIP_2) | instid1(VALU_DEP_1)
	s_or_b32 exec_lo, exec_lo, s13
	v_lshrrev_b32_e32 v0, 16, v38
	s_mov_b32 s13, exec_lo
	v_and_b32_e32 v2, 0xff, v0
	s_delay_alu instid0(VALU_DEP_1)
	v_cmpx_ne_u16_e32 0, v2
	s_cbranch_execz .LBB6_4570
; %bb.4563:                             ;   in Loop: Header=BB6_4246 Depth=3
	v_bfrev_b32_e32 v1, 1
	s_mov_b32 s44, exec_lo
	v_cmpx_ne_u16_e32 0x80, v2
	s_cbranch_execz .LBB6_4569
; %bb.4564:                             ;   in Loop: Header=BB6_4246 Depth=3
	v_bfe_u32 v36, v38, 16, 7
	v_mov_b32_e32 v1, 0x7f800001
	s_mov_b32 s45, exec_lo
	s_delay_alu instid0(VALU_DEP_2)
	v_cmpx_ne_u32_e32 0x7f, v36
	s_cbranch_execz .LBB6_4568
; %bb.4565:                             ;   in Loop: Header=BB6_4246 Depth=3
	v_and_b32_e32 v2, 7, v0
	v_lshrrev_b32_e32 v0, 3, v36
	v_cmp_gt_u32_e32 vcc_lo, 8, v36
	s_delay_alu instid0(VALU_DEP_3)
	v_mov_b64_e32 v[36:37], v[2:3]
	s_and_saveexec_b32 s74, vcc_lo
; %bb.4566:                             ;   in Loop: Header=BB6_4246 Depth=3
	v_clz_i32_u32_e32 v0, v2
	s_delay_alu instid0(VALU_DEP_1) | instskip(NEXT) | instid1(VALU_DEP_1)
	v_min_u32_e32 v0, 32, v0
	v_subrev_nc_u32_e32 v1, 28, v0
	v_sub_nc_u32_e32 v0, 29, v0
	s_delay_alu instid0(VALU_DEP_2) | instskip(NEXT) | instid1(VALU_DEP_1)
	v_lshlrev_b64_e32 v[36:37], v1, v[2:3]
	v_and_b32_e32 v36, 7, v36
; %bb.4567:                             ;   in Loop: Header=BB6_4246 Depth=3
	s_or_b32 exec_lo, exec_lo, s74
	s_delay_alu instid0(VALU_DEP_1) | instskip(SKIP_1) | instid1(VALU_DEP_2)
	v_dual_lshlrev_b32 v1, 8, v38 :: v_dual_lshlrev_b32 v2, 20, v36
	v_lshl_add_u32 v0, v0, 23, 0x3c000000
	v_and_b32_e32 v1, 0x80000000, v1
	s_delay_alu instid0(VALU_DEP_1)
	v_or3_b32 v1, v2, v1, v0
.LBB6_4568:                             ;   in Loop: Header=BB6_4246 Depth=3
	s_or_b32 exec_lo, exec_lo, s45
.LBB6_4569:                             ;   in Loop: Header=BB6_4246 Depth=3
	s_delay_alu instid0(SALU_CYCLE_1)
	s_or_b32 exec_lo, exec_lo, s44
.LBB6_4570:                             ;   in Loop: Header=BB6_4246 Depth=3
	s_delay_alu instid0(SALU_CYCLE_1) | instskip(NEXT) | instid1(VALU_DEP_1)
	s_or_b32 exec_lo, exec_lo, s13
	v_add_f32_e32 v0, v31, v1
                                        ; implicit-def: $vgpr121
	s_mov_b32 s13, exec_lo
	s_delay_alu instid0(VALU_DEP_1) | instskip(SKIP_1) | instid1(VALU_DEP_2)
	v_and_b32_e32 v2, 0x7f800000, v0
	v_lshrrev_b32_e32 v1, 24, v0
	v_cmpx_ne_u64_e32 0x7f800000, v[2:3]
	s_xor_b32 s44, exec_lo, s13
	s_cbranch_execz .LBB6_4584
; %bb.4571:                             ;   in Loop: Header=BB6_4246 Depth=3
	v_and_b32_e32 v2, 0x7fffffff, v0
	v_and_b32_e32 v1, 0x80, v1
                                        ; implicit-def: $vgpr121
	s_mov_b32 s13, exec_lo
	s_delay_alu instid0(VALU_DEP_2)
	v_cmpx_gt_u64_e32 0x43e00001, v[2:3]
	s_xor_b32 s45, exec_lo, s13
	s_cbranch_execz .LBB6_4581
; %bb.4572:                             ;   in Loop: Header=BB6_4246 Depth=3
	v_mov_b32_e32 v121, 0
	s_mov_b32 s74, exec_lo
	v_cmpx_ne_u32_e32 0, v0
	s_cbranch_execz .LBB6_4580
; %bb.4573:                             ;   in Loop: Header=BB6_4246 Depth=3
	v_bfe_u32 v31, v0, 23, 8
	v_and_b32_e32 v2, 0x7fffff, v0
	s_delay_alu instid0(VALU_DEP_2) | instskip(SKIP_2) | instid1(VALU_DEP_4)
	v_cmp_gt_u32_e64 s13, 0x7a, v31
	v_sub_nc_u32_e32 v0, 0x79, v31
	v_cmp_eq_u32_e32 vcc_lo, 0, v31
	v_or_b32_e32 v36, 0x800000, v2
	s_delay_alu instid0(VALU_DEP_1) | instskip(NEXT) | instid1(VALU_DEP_1)
	v_dual_cndmask_b32 v0, 0, v0, s13 :: v_dual_cndmask_b32 v2, v36, v2, vcc_lo
	v_cndmask_b32_e64 v0, v0, 0x78, vcc_lo
	s_delay_alu instid0(VALU_DEP_1) | instskip(NEXT) | instid1(VALU_DEP_1)
	v_dual_add_nc_u32 v36, 20, v0 :: v_dual_add_nc_u32 v48, 19, v0
	v_lshlrev_b64_e64 v[36:37], v36, -1
	s_delay_alu instid0(VALU_DEP_2) | instskip(NEXT) | instid1(VALU_DEP_2)
	v_lshlrev_b64_e64 v[48:49], v48, 1
	v_bfi_b32 v37, v37, 0, 0
	s_delay_alu instid0(VALU_DEP_3) | instskip(NEXT) | instid1(VALU_DEP_1)
	v_bfi_b32 v36, v36, 0, v2
	v_cmp_eq_u64_e64 s13, v[36:37], v[48:49]
	v_lshrrev_b64 v[36:37], v0, v[2:3]
	s_delay_alu instid0(VALU_DEP_1)
	v_mov_b64_e32 v[48:49], v[36:37]
	s_and_saveexec_b32 s75, s13
; %bb.4574:                             ;   in Loop: Header=BB6_4246 Depth=3
	v_bfe_u32 v2, v36, 20, 1
	s_delay_alu instid0(VALU_DEP_1) | instskip(NEXT) | instid1(VALU_DEP_1)
	v_add_nc_u64_e32 v[48:49], v[36:37], v[2:3]
	v_add_nc_u64_e32 v[48:49], -1, v[48:49]
; %bb.4575:                             ;   in Loop: Header=BB6_4246 Depth=3
	s_or_b32 exec_lo, exec_lo, s75
	v_add_nc_u32_e32 v2, 0xffffff81, v31
	v_lshrrev_b32_e32 v31, 23, v36
	s_mov_b32 s13, exec_lo
	s_delay_alu instid0(VALU_DEP_2) | instskip(NEXT) | instid1(VALU_DEP_1)
	v_cndmask_b32_e64 v2, v2, 0xffffff82, vcc_lo
	v_add3_u32 v49, v0, v2, v31
	v_and_b32_e32 v0, 0xfffff, v48
	s_delay_alu instid0(VALU_DEP_1) | instskip(NEXT) | instid1(VALU_DEP_1)
	v_dual_add_nc_u32 v31, 6, v49 :: v_dual_add_nc_u32 v2, v0, v36
                                        ; implicit-def: $vgpr36_vgpr37
                                        ; implicit-def: $vgpr0
	v_cmpx_ne_u32_e32 0, v31
	s_xor_b32 s13, exec_lo, s13
; %bb.4576:                             ;   in Loop: Header=BB6_4246 Depth=3
	s_delay_alu instid0(VALU_DEP_2) | instskip(SKIP_1) | instid1(VALU_DEP_1)
	v_cmp_lt_u64_e32 vcc_lo, 0xffffff, v[2:3]
	v_add_nc_u32_e32 v0, 7, v49
	v_cndmask_b32_e32 v0, v31, v0, vcc_lo
	v_cndmask_b32_e64 v31, 0, 1, vcc_lo
	s_delay_alu instid0(VALU_DEP_1)
	v_lshrrev_b64 v[36:37], v31, v[2:3]
; %bb.4577:                             ;   in Loop: Header=BB6_4246 Depth=3
	s_and_not1_saveexec_b32 s13, s13
; %bb.4578:                             ;   in Loop: Header=BB6_4246 Depth=3
	v_mov_b64_e32 v[36:37], v[2:3]
	v_bfe_u32 v0, v2, 23, 1
; %bb.4579:                             ;   in Loop: Header=BB6_4246 Depth=3
	s_or_b32 exec_lo, exec_lo, s13
	s_delay_alu instid0(VALU_DEP_2) | instskip(NEXT) | instid1(VALU_DEP_2)
	v_lshrrev_b64 v[36:37], 20, v[36:37]
	v_cmp_gt_i32_e32 vcc_lo, 16, v0
	v_min_i32_e32 v2, 15, v0
	v_cmp_eq_u32_e64 s13, 0, v0
	s_delay_alu instid0(VALU_DEP_2) | instskip(SKIP_1) | instid1(VALU_DEP_2)
	v_dual_cndmask_b32 v37, 0, v37 :: v_dual_lshlrev_b32 v2, 3, v2
	v_cndmask_b32_e32 v36, 7, v36, vcc_lo
	v_and_b32_e32 v2, 0xf8, v2
	s_delay_alu instid0(VALU_DEP_2) | instskip(NEXT) | instid1(VALU_DEP_2)
	v_cmp_eq_u64_e32 vcc_lo, 0, v[36:37]
	v_and_or_b32 v0, v36, 7, v2
	s_and_b32 s13, s13, vcc_lo
	s_delay_alu instid0(VALU_DEP_1) | instid1(SALU_CYCLE_1)
	v_cndmask_b32_e64 v0, v0, 0, s13
	s_delay_alu instid0(VALU_DEP_1)
	v_or_b32_e32 v121, v0, v1
.LBB6_4580:                             ;   in Loop: Header=BB6_4246 Depth=3
	s_or_b32 exec_lo, exec_lo, s74
                                        ; implicit-def: $vgpr1
.LBB6_4581:                             ;   in Loop: Header=BB6_4246 Depth=3
	s_and_not1_saveexec_b32 s13, s45
; %bb.4582:                             ;   in Loop: Header=BB6_4246 Depth=3
	v_or_b32_e32 v121, 0x7e, v1
; %bb.4583:                             ;   in Loop: Header=BB6_4246 Depth=3
	s_or_b32 exec_lo, exec_lo, s13
                                        ; implicit-def: $vgpr1
.LBB6_4584:                             ;   in Loop: Header=BB6_4246 Depth=3
	s_and_not1_saveexec_b32 s13, s44
; %bb.4585:                             ;   in Loop: Header=BB6_4246 Depth=3
	v_or_b32_e32 v121, 0x7f, v1
; %bb.4586:                             ;   in Loop: Header=BB6_4246 Depth=3
	s_or_b32 exec_lo, exec_lo, s13
	v_dual_mov_b32 v1, 0 :: v_dual_mov_b32 v31, 0
	s_mov_b32 s13, exec_lo
	v_cmpx_lt_u32_e32 0xffffff, v50
	s_cbranch_execz .LBB6_4594
; %bb.4587:                             ;   in Loop: Header=BB6_4246 Depth=3
	v_lshrrev_b32_e32 v0, 24, v50
	v_bfrev_b32_e32 v31, 1
	s_mov_b32 s44, exec_lo
	s_delay_alu instid0(VALU_DEP_2)
	v_cmpx_ne_u32_e32 0x80, v0
	s_cbranch_execz .LBB6_4593
; %bb.4588:                             ;   in Loop: Header=BB6_4246 Depth=3
	v_bfe_u32 v36, v50, 24, 7
	v_mov_b32_e32 v31, 0x7f800001
	s_mov_b32 s45, exec_lo
	s_delay_alu instid0(VALU_DEP_2)
	v_cmpx_ne_u32_e32 0x7f, v36
	s_cbranch_execz .LBB6_4592
; %bb.4589:                             ;   in Loop: Header=BB6_4246 Depth=3
	v_and_b32_e32 v2, 7, v0
	v_lshrrev_b32_e32 v31, 3, v36
	v_cmp_gt_u32_e32 vcc_lo, 8, v36
	s_delay_alu instid0(VALU_DEP_3)
	v_mov_b64_e32 v[36:37], v[2:3]
	s_and_saveexec_b32 s74, vcc_lo
; %bb.4590:                             ;   in Loop: Header=BB6_4246 Depth=3
	v_clz_i32_u32_e32 v31, v2
	s_delay_alu instid0(VALU_DEP_1) | instskip(NEXT) | instid1(VALU_DEP_1)
	v_min_u32_e32 v31, 32, v31
	v_subrev_nc_u32_e32 v36, 28, v31
	s_delay_alu instid0(VALU_DEP_1) | instskip(NEXT) | instid1(VALU_DEP_1)
	v_lshlrev_b64_e32 v[36:37], v36, v[2:3]
	v_dual_sub_nc_u32 v31, 29, v31 :: v_dual_bitop2_b32 v36, 7, v36 bitop3:0x40
; %bb.4591:                             ;   in Loop: Header=BB6_4246 Depth=3
	s_or_b32 exec_lo, exec_lo, s74
	v_lshlrev_b32_e32 v0, 24, v0
	s_delay_alu instid0(VALU_DEP_2) | instskip(NEXT) | instid1(VALU_DEP_3)
	v_lshlrev_b32_e32 v2, 20, v36
	v_lshl_add_u32 v31, v31, 23, 0x3c000000
	s_delay_alu instid0(VALU_DEP_3) | instskip(NEXT) | instid1(VALU_DEP_1)
	v_and_b32_e32 v0, 0x80000000, v0
	v_or3_b32 v31, v2, v0, v31
.LBB6_4592:                             ;   in Loop: Header=BB6_4246 Depth=3
	s_or_b32 exec_lo, exec_lo, s45
.LBB6_4593:                             ;   in Loop: Header=BB6_4246 Depth=3
	s_delay_alu instid0(SALU_CYCLE_1)
	s_or_b32 exec_lo, exec_lo, s44
.LBB6_4594:                             ;   in Loop: Header=BB6_4246 Depth=3
	s_delay_alu instid0(SALU_CYCLE_1) | instskip(NEXT) | instid1(SALU_CYCLE_1)
	s_or_b32 exec_lo, exec_lo, s13
	s_mov_b32 s13, exec_lo
	v_cmpx_lt_u32_e32 0xffffff, v38
	s_cbranch_execz .LBB6_4602
; %bb.4595:                             ;   in Loop: Header=BB6_4246 Depth=3
	v_lshrrev_b32_e32 v0, 24, v38
	v_bfrev_b32_e32 v1, 1
	s_mov_b32 s44, exec_lo
	s_delay_alu instid0(VALU_DEP_2)
	v_cmpx_ne_u32_e32 0x80, v0
	s_cbranch_execz .LBB6_4601
; %bb.4596:                             ;   in Loop: Header=BB6_4246 Depth=3
	v_bfe_u32 v36, v38, 24, 7
	v_mov_b32_e32 v1, 0x7f800001
	s_mov_b32 s45, exec_lo
	s_delay_alu instid0(VALU_DEP_2)
	v_cmpx_ne_u32_e32 0x7f, v36
	s_cbranch_execz .LBB6_4600
; %bb.4597:                             ;   in Loop: Header=BB6_4246 Depth=3
	v_and_b32_e32 v2, 7, v0
	v_lshrrev_b32_e32 v1, 3, v36
	v_cmp_gt_u32_e32 vcc_lo, 8, v36
	s_delay_alu instid0(VALU_DEP_3)
	v_mov_b64_e32 v[36:37], v[2:3]
	s_and_saveexec_b32 s74, vcc_lo
; %bb.4598:                             ;   in Loop: Header=BB6_4246 Depth=3
	v_clz_i32_u32_e32 v1, v2
	s_delay_alu instid0(VALU_DEP_1) | instskip(NEXT) | instid1(VALU_DEP_1)
	v_min_u32_e32 v1, 32, v1
	v_subrev_nc_u32_e32 v36, 28, v1
	s_delay_alu instid0(VALU_DEP_1) | instskip(NEXT) | instid1(VALU_DEP_1)
	v_lshlrev_b64_e32 v[36:37], v36, v[2:3]
	v_dual_sub_nc_u32 v1, 29, v1 :: v_dual_bitop2_b32 v36, 7, v36 bitop3:0x40
; %bb.4599:                             ;   in Loop: Header=BB6_4246 Depth=3
	s_or_b32 exec_lo, exec_lo, s74
	v_lshlrev_b32_e32 v0, 24, v0
	s_delay_alu instid0(VALU_DEP_2) | instskip(NEXT) | instid1(VALU_DEP_3)
	v_lshlrev_b32_e32 v2, 20, v36
	v_lshl_add_u32 v1, v1, 23, 0x3c000000
	s_delay_alu instid0(VALU_DEP_3) | instskip(NEXT) | instid1(VALU_DEP_1)
	v_and_b32_e32 v0, 0x80000000, v0
	v_or3_b32 v1, v2, v0, v1
.LBB6_4600:                             ;   in Loop: Header=BB6_4246 Depth=3
	s_or_b32 exec_lo, exec_lo, s45
.LBB6_4601:                             ;   in Loop: Header=BB6_4246 Depth=3
	s_delay_alu instid0(SALU_CYCLE_1)
	s_or_b32 exec_lo, exec_lo, s44
.LBB6_4602:                             ;   in Loop: Header=BB6_4246 Depth=3
	s_delay_alu instid0(SALU_CYCLE_1) | instskip(NEXT) | instid1(VALU_DEP_1)
	s_or_b32 exec_lo, exec_lo, s13
	v_add_f32_e32 v0, v31, v1
                                        ; implicit-def: $vgpr98
	s_mov_b32 s13, exec_lo
	s_delay_alu instid0(VALU_DEP_1) | instskip(SKIP_1) | instid1(VALU_DEP_2)
	v_and_b32_e32 v2, 0x7f800000, v0
	v_lshrrev_b32_e32 v1, 24, v0
	v_cmpx_ne_u64_e32 0x7f800000, v[2:3]
	s_xor_b32 s44, exec_lo, s13
	s_cbranch_execz .LBB6_4616
; %bb.4603:                             ;   in Loop: Header=BB6_4246 Depth=3
	v_and_b32_e32 v2, 0x7fffffff, v0
	v_and_b32_e32 v1, 0x80, v1
                                        ; implicit-def: $vgpr98
	s_mov_b32 s13, exec_lo
	s_delay_alu instid0(VALU_DEP_2)
	v_cmpx_gt_u64_e32 0x43e00001, v[2:3]
	s_xor_b32 s45, exec_lo, s13
	s_cbranch_execz .LBB6_4613
; %bb.4604:                             ;   in Loop: Header=BB6_4246 Depth=3
	v_mov_b32_e32 v98, 0
	s_mov_b32 s74, exec_lo
	v_cmpx_ne_u32_e32 0, v0
	s_cbranch_execz .LBB6_4612
; %bb.4605:                             ;   in Loop: Header=BB6_4246 Depth=3
	v_bfe_u32 v31, v0, 23, 8
	v_and_b32_e32 v2, 0x7fffff, v0
	s_delay_alu instid0(VALU_DEP_2) | instskip(SKIP_2) | instid1(VALU_DEP_4)
	v_cmp_gt_u32_e64 s13, 0x7a, v31
	v_sub_nc_u32_e32 v0, 0x79, v31
	v_cmp_eq_u32_e32 vcc_lo, 0, v31
	v_or_b32_e32 v36, 0x800000, v2
	s_delay_alu instid0(VALU_DEP_1) | instskip(NEXT) | instid1(VALU_DEP_1)
	v_dual_cndmask_b32 v0, 0, v0, s13 :: v_dual_cndmask_b32 v2, v36, v2, vcc_lo
	v_cndmask_b32_e64 v0, v0, 0x78, vcc_lo
	s_delay_alu instid0(VALU_DEP_1) | instskip(NEXT) | instid1(VALU_DEP_1)
	v_dual_add_nc_u32 v36, 20, v0 :: v_dual_add_nc_u32 v48, 19, v0
	v_lshlrev_b64_e64 v[36:37], v36, -1
	s_delay_alu instid0(VALU_DEP_2) | instskip(NEXT) | instid1(VALU_DEP_2)
	v_lshlrev_b64_e64 v[48:49], v48, 1
	v_bfi_b32 v37, v37, 0, 0
	s_delay_alu instid0(VALU_DEP_3) | instskip(NEXT) | instid1(VALU_DEP_1)
	v_bfi_b32 v36, v36, 0, v2
	v_cmp_eq_u64_e64 s13, v[36:37], v[48:49]
	v_lshrrev_b64 v[36:37], v0, v[2:3]
	s_delay_alu instid0(VALU_DEP_1)
	v_mov_b64_e32 v[48:49], v[36:37]
	s_and_saveexec_b32 s75, s13
; %bb.4606:                             ;   in Loop: Header=BB6_4246 Depth=3
	v_bfe_u32 v2, v36, 20, 1
	s_delay_alu instid0(VALU_DEP_1) | instskip(NEXT) | instid1(VALU_DEP_1)
	v_add_nc_u64_e32 v[48:49], v[36:37], v[2:3]
	v_add_nc_u64_e32 v[48:49], -1, v[48:49]
; %bb.4607:                             ;   in Loop: Header=BB6_4246 Depth=3
	s_or_b32 exec_lo, exec_lo, s75
	v_add_nc_u32_e32 v2, 0xffffff81, v31
	v_lshrrev_b32_e32 v31, 23, v36
	s_mov_b32 s13, exec_lo
	s_delay_alu instid0(VALU_DEP_2) | instskip(NEXT) | instid1(VALU_DEP_1)
	v_cndmask_b32_e64 v2, v2, 0xffffff82, vcc_lo
	v_add3_u32 v49, v0, v2, v31
	v_and_b32_e32 v0, 0xfffff, v48
	s_delay_alu instid0(VALU_DEP_1) | instskip(NEXT) | instid1(VALU_DEP_1)
	v_dual_add_nc_u32 v31, 6, v49 :: v_dual_add_nc_u32 v2, v0, v36
                                        ; implicit-def: $vgpr36_vgpr37
                                        ; implicit-def: $vgpr0
	v_cmpx_ne_u32_e32 0, v31
	s_xor_b32 s13, exec_lo, s13
; %bb.4608:                             ;   in Loop: Header=BB6_4246 Depth=3
	s_delay_alu instid0(VALU_DEP_2) | instskip(SKIP_1) | instid1(VALU_DEP_1)
	v_cmp_lt_u64_e32 vcc_lo, 0xffffff, v[2:3]
	v_add_nc_u32_e32 v0, 7, v49
	v_cndmask_b32_e32 v0, v31, v0, vcc_lo
	v_cndmask_b32_e64 v31, 0, 1, vcc_lo
	s_delay_alu instid0(VALU_DEP_1)
	v_lshrrev_b64 v[36:37], v31, v[2:3]
; %bb.4609:                             ;   in Loop: Header=BB6_4246 Depth=3
	s_and_not1_saveexec_b32 s13, s13
; %bb.4610:                             ;   in Loop: Header=BB6_4246 Depth=3
	v_mov_b64_e32 v[36:37], v[2:3]
	v_bfe_u32 v0, v2, 23, 1
; %bb.4611:                             ;   in Loop: Header=BB6_4246 Depth=3
	s_or_b32 exec_lo, exec_lo, s13
	s_delay_alu instid0(VALU_DEP_2) | instskip(NEXT) | instid1(VALU_DEP_2)
	v_lshrrev_b64 v[36:37], 20, v[36:37]
	v_cmp_gt_i32_e32 vcc_lo, 16, v0
	v_min_i32_e32 v2, 15, v0
	v_cmp_eq_u32_e64 s13, 0, v0
	s_delay_alu instid0(VALU_DEP_2) | instskip(SKIP_1) | instid1(VALU_DEP_2)
	v_dual_cndmask_b32 v37, 0, v37 :: v_dual_lshlrev_b32 v2, 3, v2
	v_cndmask_b32_e32 v36, 7, v36, vcc_lo
	v_and_b32_e32 v2, 0xf8, v2
	s_delay_alu instid0(VALU_DEP_2) | instskip(NEXT) | instid1(VALU_DEP_2)
	v_cmp_eq_u64_e32 vcc_lo, 0, v[36:37]
	v_and_or_b32 v0, v36, 7, v2
	s_and_b32 s13, s13, vcc_lo
	s_delay_alu instid0(VALU_DEP_1) | instid1(SALU_CYCLE_1)
	v_cndmask_b32_e64 v0, v0, 0, s13
	s_delay_alu instid0(VALU_DEP_1)
	v_or_b32_e32 v98, v0, v1
.LBB6_4612:                             ;   in Loop: Header=BB6_4246 Depth=3
	s_or_b32 exec_lo, exec_lo, s74
                                        ; implicit-def: $vgpr1
.LBB6_4613:                             ;   in Loop: Header=BB6_4246 Depth=3
	s_and_not1_saveexec_b32 s13, s45
; %bb.4614:                             ;   in Loop: Header=BB6_4246 Depth=3
	v_or_b32_e32 v98, 0x7e, v1
; %bb.4615:                             ;   in Loop: Header=BB6_4246 Depth=3
	s_or_b32 exec_lo, exec_lo, s13
                                        ; implicit-def: $vgpr1
.LBB6_4616:                             ;   in Loop: Header=BB6_4246 Depth=3
	s_and_not1_saveexec_b32 s13, s44
; %bb.4617:                             ;   in Loop: Header=BB6_4246 Depth=3
	v_or_b32_e32 v98, 0x7f, v1
; %bb.4618:                             ;   in Loop: Header=BB6_4246 Depth=3
	s_or_b32 exec_lo, exec_lo, s13
	v_and_b32_e32 v0, 0xff, v51
	v_dual_mov_b32 v2, v51 :: v_dual_mov_b32 v1, 0
	v_mov_b32_e32 v31, 0
	s_mov_b32 s13, exec_lo
	s_delay_alu instid0(VALU_DEP_3)
	v_cmpx_ne_u16_e32 0, v0
	s_cbranch_execz .LBB6_4624
; %bb.4619:                             ;   in Loop: Header=BB6_4246 Depth=3
	v_bfrev_b32_e32 v31, 1
	s_mov_b32 s44, exec_lo
	v_cmpx_ne_u16_e32 0x80, v0
	s_cbranch_execz .LBB6_4623
; %bb.4620:                             ;   in Loop: Header=BB6_4246 Depth=3
	v_and_b32_e32 v0, 0x7f, v51
	v_mov_b32_e32 v31, 0x7f800001
	s_mov_b32 s45, exec_lo
	s_delay_alu instid0(VALU_DEP_2)
	v_cmpx_ne_u32_e32 0x7f, v0
	s_cbranch_execz .LBB6_4622
; %bb.4621:                             ;   in Loop: Header=BB6_4246 Depth=3
	v_dual_lshrrev_b32 v36, 3, v0 :: v_dual_bitop2_b32 v31, 7, v51 bitop3:0x40
	v_cmp_gt_u32_e32 vcc_lo, 8, v0
	s_delay_alu instid0(VALU_DEP_2) | instskip(NEXT) | instid1(VALU_DEP_1)
	v_clz_i32_u32_e32 v0, v31
	v_min_u32_e32 v0, 32, v0
	s_delay_alu instid0(VALU_DEP_1) | instskip(NEXT) | instid1(VALU_DEP_1)
	v_subrev_nc_u32_e32 v31, 28, v0
	v_dual_cndmask_b32 v31, 0, v31 :: v_dual_sub_nc_u32 v0, 29, v0
	s_delay_alu instid0(VALU_DEP_1) | instskip(NEXT) | instid1(VALU_DEP_2)
	v_cndmask_b32_e32 v0, v36, v0, vcc_lo
	v_lshlrev_b64_e32 v[36:37], v31, v[2:3]
	s_delay_alu instid0(VALU_DEP_1) | instskip(NEXT) | instid1(VALU_DEP_3)
	v_dual_lshlrev_b32 v31, 20, v36 :: v_dual_lshlrev_b32 v36, 24, v2
	v_lshl_add_u32 v0, v0, 23, 0x3c000000
	s_delay_alu instid0(VALU_DEP_2) | instskip(NEXT) | instid1(VALU_DEP_3)
	v_and_b32_e32 v31, 0x700000, v31
	v_and_b32_e32 v36, 0x80000000, v36
	s_delay_alu instid0(VALU_DEP_1)
	v_or3_b32 v31, v31, v36, v0
.LBB6_4622:                             ;   in Loop: Header=BB6_4246 Depth=3
	s_or_b32 exec_lo, exec_lo, s45
.LBB6_4623:                             ;   in Loop: Header=BB6_4246 Depth=3
	s_delay_alu instid0(SALU_CYCLE_1)
	s_or_b32 exec_lo, exec_lo, s44
.LBB6_4624:                             ;   in Loop: Header=BB6_4246 Depth=3
	s_delay_alu instid0(SALU_CYCLE_1) | instskip(SKIP_2) | instid1(VALU_DEP_1)
	s_or_b32 exec_lo, exec_lo, s13
	v_and_b32_e32 v0, 0xff, v39
	s_mov_b32 s13, exec_lo
	v_cmpx_ne_u16_e32 0, v0
	s_cbranch_execz .LBB6_4630
; %bb.4625:                             ;   in Loop: Header=BB6_4246 Depth=3
	v_bfrev_b32_e32 v1, 1
	s_mov_b32 s44, exec_lo
	v_cmpx_ne_u16_e32 0x80, v0
	s_cbranch_execz .LBB6_4629
; %bb.4626:                             ;   in Loop: Header=BB6_4246 Depth=3
	v_and_b32_e32 v0, 0x7f, v39
	v_mov_b32_e32 v1, 0x7f800001
	s_mov_b32 s45, exec_lo
	s_delay_alu instid0(VALU_DEP_2)
	v_cmpx_ne_u32_e32 0x7f, v0
	s_cbranch_execz .LBB6_4628
; %bb.4627:                             ;   in Loop: Header=BB6_4246 Depth=3
	v_dual_lshrrev_b32 v36, 3, v0 :: v_dual_bitop2_b32 v1, 7, v39 bitop3:0x40
	v_cmp_gt_u32_e32 vcc_lo, 8, v0
	v_mov_b32_e32 v0, v39
	s_delay_alu instid0(VALU_DEP_3) | instskip(NEXT) | instid1(VALU_DEP_1)
	v_clz_i32_u32_e32 v1, v1
	v_min_u32_e32 v1, 32, v1
	s_delay_alu instid0(VALU_DEP_1) | instskip(SKIP_1) | instid1(VALU_DEP_2)
	v_sub_nc_u32_e32 v37, 29, v1
	v_subrev_nc_u32_e32 v48, 28, v1
	v_dual_mov_b32 v1, v3 :: v_dual_cndmask_b32 v49, v36, v37, vcc_lo
	s_delay_alu instid0(VALU_DEP_2) | instskip(NEXT) | instid1(VALU_DEP_1)
	v_cndmask_b32_e32 v36, 0, v48, vcc_lo
	v_lshlrev_b64_e32 v[36:37], v36, v[0:1]
	v_lshlrev_b32_e32 v0, 24, v0
	s_delay_alu instid0(VALU_DEP_1) | instskip(NEXT) | instid1(VALU_DEP_3)
	v_and_b32_e32 v0, 0x80000000, v0
	v_lshlrev_b32_e32 v1, 20, v36
	v_lshl_add_u32 v36, v49, 23, 0x3c000000
	s_delay_alu instid0(VALU_DEP_2) | instskip(NEXT) | instid1(VALU_DEP_1)
	v_and_b32_e32 v1, 0x700000, v1
	v_or3_b32 v1, v1, v0, v36
.LBB6_4628:                             ;   in Loop: Header=BB6_4246 Depth=3
	s_or_b32 exec_lo, exec_lo, s45
.LBB6_4629:                             ;   in Loop: Header=BB6_4246 Depth=3
	s_delay_alu instid0(SALU_CYCLE_1)
	s_or_b32 exec_lo, exec_lo, s44
.LBB6_4630:                             ;   in Loop: Header=BB6_4246 Depth=3
	s_delay_alu instid0(SALU_CYCLE_1) | instskip(NEXT) | instid1(VALU_DEP_1)
	s_or_b32 exec_lo, exec_lo, s13
	v_add_f32_e32 v0, v31, v1
	v_mov_b32_e32 v37, v3
                                        ; implicit-def: $vgpr99
	s_mov_b32 s13, exec_lo
	s_delay_alu instid0(VALU_DEP_2) | instskip(SKIP_1) | instid1(VALU_DEP_2)
	v_and_b32_e32 v36, 0x7f800000, v0
	v_lshrrev_b32_e32 v1, 24, v0
	v_cmpx_ne_u64_e32 0x7f800000, v[36:37]
	s_xor_b32 s44, exec_lo, s13
	s_cbranch_execz .LBB6_4644
; %bb.4631:                             ;   in Loop: Header=BB6_4246 Depth=3
	v_and_b32_e32 v36, 0x7fffffff, v0
	v_mov_b32_e32 v37, v3
	v_and_b32_e32 v1, 0x80, v1
                                        ; implicit-def: $vgpr99
	s_mov_b32 s13, exec_lo
	s_delay_alu instid0(VALU_DEP_2)
	v_cmpx_gt_u64_e32 0x43e00001, v[36:37]
	s_xor_b32 s45, exec_lo, s13
	s_cbranch_execz .LBB6_4641
; %bb.4632:                             ;   in Loop: Header=BB6_4246 Depth=3
	v_mov_b32_e32 v99, 0
	s_mov_b32 s74, exec_lo
	v_cmpx_ne_u32_e32 0, v0
	s_cbranch_execz .LBB6_4640
; %bb.4633:                             ;   in Loop: Header=BB6_4246 Depth=3
	v_and_b32_e32 v36, 0x7fffff, v0
	v_bfe_u32 v31, v0, 23, 8
	s_delay_alu instid0(VALU_DEP_2) | instskip(NEXT) | instid1(VALU_DEP_2)
	v_or_b32_e32 v37, 0x800000, v36
	v_cmp_eq_u32_e32 vcc_lo, 0, v31
	v_cmp_gt_u32_e64 s13, 0x7a, v31
	v_sub_nc_u32_e32 v0, 0x79, v31
	s_delay_alu instid0(VALU_DEP_4) | instskip(NEXT) | instid1(VALU_DEP_2)
	v_dual_cndmask_b32 v36, v37, v36 :: v_dual_mov_b32 v37, v3
	v_cndmask_b32_e64 v0, 0, v0, s13
	s_delay_alu instid0(VALU_DEP_1) | instskip(NEXT) | instid1(VALU_DEP_1)
	v_cndmask_b32_e64 v0, v0, 0x78, vcc_lo
	v_dual_add_nc_u32 v48, 20, v0 :: v_dual_add_nc_u32 v52, 19, v0
	s_delay_alu instid0(VALU_DEP_1) | instskip(NEXT) | instid1(VALU_DEP_2)
	v_lshlrev_b64_e64 v[48:49], v48, -1
	v_lshlrev_b64_e64 v[52:53], v52, 1
	s_delay_alu instid0(VALU_DEP_2) | instskip(SKIP_1) | instid1(VALU_DEP_4)
	v_bfi_b32 v48, v48, 0, v36
	v_lshrrev_b64 v[36:37], v0, v[36:37]
	v_bfi_b32 v49, v49, 0, 0
	s_delay_alu instid0(VALU_DEP_1) | instskip(NEXT) | instid1(VALU_DEP_3)
	v_cmp_eq_u64_e64 s13, v[48:49], v[52:53]
	v_mov_b64_e32 v[48:49], v[36:37]
	s_and_saveexec_b32 s75, s13
; %bb.4634:                             ;   in Loop: Header=BB6_4246 Depth=3
	v_bfe_u32 v48, v36, 20, 1
	v_mov_b32_e32 v49, v3
	s_delay_alu instid0(VALU_DEP_1) | instskip(NEXT) | instid1(VALU_DEP_1)
	v_add_nc_u64_e32 v[48:49], v[36:37], v[48:49]
	v_add_nc_u64_e32 v[48:49], -1, v[48:49]
; %bb.4635:                             ;   in Loop: Header=BB6_4246 Depth=3
	s_or_b32 exec_lo, exec_lo, s75
	v_add_nc_u32_e32 v31, 0xffffff81, v31
	v_lshrrev_b32_e32 v37, 23, v36
	s_mov_b32 s13, exec_lo
	s_delay_alu instid0(VALU_DEP_2) | instskip(NEXT) | instid1(VALU_DEP_1)
	v_cndmask_b32_e64 v31, v31, 0xffffff82, vcc_lo
	v_add3_u32 v49, v0, v31, v37
	v_and_b32_e32 v0, 0xfffff, v48
	s_delay_alu instid0(VALU_DEP_2) | instskip(NEXT) | instid1(VALU_DEP_2)
	v_dual_mov_b32 v37, v3 :: v_dual_add_nc_u32 v31, 6, v49
	v_add_nc_u32_e32 v36, v0, v36
                                        ; implicit-def: $vgpr0
	s_delay_alu instid0(VALU_DEP_2)
	v_cmpx_ne_u32_e32 0, v31
	s_xor_b32 s13, exec_lo, s13
; %bb.4636:                             ;   in Loop: Header=BB6_4246 Depth=3
	s_delay_alu instid0(VALU_DEP_2) | instskip(SKIP_1) | instid1(VALU_DEP_1)
	v_cmp_lt_u64_e32 vcc_lo, 0xffffff, v[36:37]
	v_add_nc_u32_e32 v0, 7, v49
	v_cndmask_b32_e32 v0, v31, v0, vcc_lo
	v_cndmask_b32_e64 v31, 0, 1, vcc_lo
	s_delay_alu instid0(VALU_DEP_1)
	v_lshrrev_b64 v[36:37], v31, v[36:37]
; %bb.4637:                             ;   in Loop: Header=BB6_4246 Depth=3
	s_and_not1_saveexec_b32 s13, s13
; %bb.4638:                             ;   in Loop: Header=BB6_4246 Depth=3
	s_delay_alu instid0(VALU_DEP_1)
	v_bfe_u32 v0, v36, 23, 1
; %bb.4639:                             ;   in Loop: Header=BB6_4246 Depth=3
	s_or_b32 exec_lo, exec_lo, s13
	s_delay_alu instid0(VALU_DEP_2) | instskip(NEXT) | instid1(VALU_DEP_2)
	v_lshrrev_b64 v[36:37], 20, v[36:37]
	v_cmp_gt_i32_e32 vcc_lo, 16, v0
	v_min_i32_e32 v31, 15, v0
	v_cmp_eq_u32_e64 s13, 0, v0
	s_delay_alu instid0(VALU_DEP_2) | instskip(SKIP_1) | instid1(VALU_DEP_2)
	v_dual_cndmask_b32 v37, 0, v37, vcc_lo :: v_dual_lshlrev_b32 v31, 3, v31
	v_cndmask_b32_e32 v36, 7, v36, vcc_lo
	v_and_b32_e32 v31, 0xf8, v31
	s_delay_alu instid0(VALU_DEP_2) | instskip(NEXT) | instid1(VALU_DEP_2)
	v_cmp_eq_u64_e32 vcc_lo, 0, v[36:37]
	v_and_or_b32 v0, v36, 7, v31
	s_and_b32 s13, s13, vcc_lo
	s_delay_alu instid0(VALU_DEP_1) | instid1(SALU_CYCLE_1)
	v_cndmask_b32_e64 v0, v0, 0, s13
	s_delay_alu instid0(VALU_DEP_1)
	v_or_b32_e32 v99, v0, v1
.LBB6_4640:                             ;   in Loop: Header=BB6_4246 Depth=3
	s_or_b32 exec_lo, exec_lo, s74
                                        ; implicit-def: $vgpr1
.LBB6_4641:                             ;   in Loop: Header=BB6_4246 Depth=3
	s_and_not1_saveexec_b32 s13, s45
; %bb.4642:                             ;   in Loop: Header=BB6_4246 Depth=3
	v_or_b32_e32 v99, 0x7e, v1
; %bb.4643:                             ;   in Loop: Header=BB6_4246 Depth=3
	s_or_b32 exec_lo, exec_lo, s13
                                        ; implicit-def: $vgpr1
.LBB6_4644:                             ;   in Loop: Header=BB6_4246 Depth=3
	s_and_not1_saveexec_b32 s13, s44
; %bb.4645:                             ;   in Loop: Header=BB6_4246 Depth=3
	v_or_b32_e32 v99, 0x7f, v1
; %bb.4646:                             ;   in Loop: Header=BB6_4246 Depth=3
	s_or_b32 exec_lo, exec_lo, s13
	v_lshrrev_b16 v0, 8, v2
	v_dual_mov_b32 v1, 0 :: v_dual_mov_b32 v31, 0
	s_mov_b32 s13, exec_lo
	s_delay_alu instid0(VALU_DEP_2)
	v_cmpx_ne_u16_e32 0, v0
	s_cbranch_execz .LBB6_4654
; %bb.4647:                             ;   in Loop: Header=BB6_4246 Depth=3
	v_bfrev_b32_e32 v31, 1
	s_mov_b32 s44, exec_lo
	v_cmpx_ne_u16_e32 0x80, v0
	s_cbranch_execz .LBB6_4653
; %bb.4648:                             ;   in Loop: Header=BB6_4246 Depth=3
	v_and_b32_e32 v0, 0xffff, v0
	v_mov_b32_e32 v31, 0x7f800001
	s_mov_b32 s45, exec_lo
	s_delay_alu instid0(VALU_DEP_2) | instskip(NEXT) | instid1(VALU_DEP_1)
	v_and_b32_e32 v48, 0x7f, v0
	v_cmpx_ne_u32_e32 0x7f, v48
	s_cbranch_execz .LBB6_4652
; %bb.4649:                             ;   in Loop: Header=BB6_4246 Depth=3
	v_dual_mov_b32 v37, v3 :: v_dual_bitop2_b32 v36, 7, v0 bitop3:0x40
	v_lshrrev_b32_e32 v0, 3, v48
	s_mov_b32 s74, exec_lo
	v_cmpx_gt_u32_e32 8, v48
; %bb.4650:                             ;   in Loop: Header=BB6_4246 Depth=3
	s_delay_alu instid0(VALU_DEP_3) | instskip(NEXT) | instid1(VALU_DEP_1)
	v_clz_i32_u32_e32 v0, v36
	v_min_u32_e32 v0, 32, v0
	s_delay_alu instid0(VALU_DEP_1) | instskip(SKIP_1) | instid1(VALU_DEP_2)
	v_subrev_nc_u32_e32 v31, 28, v0
	v_sub_nc_u32_e32 v0, 29, v0
	v_lshlrev_b64_e32 v[36:37], v31, v[36:37]
	s_delay_alu instid0(VALU_DEP_1)
	v_and_b32_e32 v36, 7, v36
; %bb.4651:                             ;   in Loop: Header=BB6_4246 Depth=3
	s_or_b32 exec_lo, exec_lo, s74
	s_delay_alu instid0(VALU_DEP_1) | instskip(SKIP_1) | instid1(VALU_DEP_2)
	v_dual_lshlrev_b32 v2, 16, v2 :: v_dual_lshlrev_b32 v31, 20, v36
	v_lshl_add_u32 v0, v0, 23, 0x3c000000
	v_and_b32_e32 v2, 0x80000000, v2
	s_delay_alu instid0(VALU_DEP_1)
	v_or3_b32 v31, v31, v2, v0
.LBB6_4652:                             ;   in Loop: Header=BB6_4246 Depth=3
	s_or_b32 exec_lo, exec_lo, s45
.LBB6_4653:                             ;   in Loop: Header=BB6_4246 Depth=3
	s_delay_alu instid0(SALU_CYCLE_1)
	s_or_b32 exec_lo, exec_lo, s44
.LBB6_4654:                             ;   in Loop: Header=BB6_4246 Depth=3
	s_delay_alu instid0(SALU_CYCLE_1) | instskip(SKIP_2) | instid1(VALU_DEP_1)
	s_or_b32 exec_lo, exec_lo, s13
	v_lshrrev_b16 v0, 8, v39
	s_mov_b32 s13, exec_lo
	v_cmpx_ne_u16_e32 0, v0
	s_cbranch_execz .LBB6_4662
; %bb.4655:                             ;   in Loop: Header=BB6_4246 Depth=3
	v_bfrev_b32_e32 v1, 1
	s_mov_b32 s44, exec_lo
	v_cmpx_ne_u16_e32 0x80, v0
	s_cbranch_execz .LBB6_4661
; %bb.4656:                             ;   in Loop: Header=BB6_4246 Depth=3
	v_and_b32_e32 v0, 0xffff, v0
	v_mov_b32_e32 v1, 0x7f800001
	s_mov_b32 s45, exec_lo
	s_delay_alu instid0(VALU_DEP_2) | instskip(NEXT) | instid1(VALU_DEP_1)
	v_and_b32_e32 v36, 0x7f, v0
	v_cmpx_ne_u32_e32 0x7f, v36
	s_cbranch_execz .LBB6_4660
; %bb.4657:                             ;   in Loop: Header=BB6_4246 Depth=3
	v_and_b32_e32 v2, 7, v0
	v_lshrrev_b32_e32 v0, 3, v36
	v_cmp_gt_u32_e32 vcc_lo, 8, v36
	s_delay_alu instid0(VALU_DEP_3)
	v_mov_b64_e32 v[36:37], v[2:3]
	s_and_saveexec_b32 s74, vcc_lo
; %bb.4658:                             ;   in Loop: Header=BB6_4246 Depth=3
	v_clz_i32_u32_e32 v0, v2
	s_delay_alu instid0(VALU_DEP_1) | instskip(NEXT) | instid1(VALU_DEP_1)
	v_min_u32_e32 v0, 32, v0
	v_subrev_nc_u32_e32 v1, 28, v0
	v_sub_nc_u32_e32 v0, 29, v0
	s_delay_alu instid0(VALU_DEP_2) | instskip(NEXT) | instid1(VALU_DEP_1)
	v_lshlrev_b64_e32 v[36:37], v1, v[2:3]
	v_and_b32_e32 v36, 7, v36
; %bb.4659:                             ;   in Loop: Header=BB6_4246 Depth=3
	s_or_b32 exec_lo, exec_lo, s74
	s_delay_alu instid0(VALU_DEP_1) | instskip(SKIP_1) | instid1(VALU_DEP_2)
	v_dual_lshlrev_b32 v1, 16, v39 :: v_dual_lshlrev_b32 v2, 20, v36
	v_lshl_add_u32 v0, v0, 23, 0x3c000000
	v_and_b32_e32 v1, 0x80000000, v1
	s_delay_alu instid0(VALU_DEP_1)
	v_or3_b32 v1, v2, v1, v0
.LBB6_4660:                             ;   in Loop: Header=BB6_4246 Depth=3
	s_or_b32 exec_lo, exec_lo, s45
.LBB6_4661:                             ;   in Loop: Header=BB6_4246 Depth=3
	s_delay_alu instid0(SALU_CYCLE_1)
	s_or_b32 exec_lo, exec_lo, s44
.LBB6_4662:                             ;   in Loop: Header=BB6_4246 Depth=3
	s_delay_alu instid0(SALU_CYCLE_1) | instskip(NEXT) | instid1(VALU_DEP_1)
	s_or_b32 exec_lo, exec_lo, s13
	v_add_f32_e32 v0, v31, v1
                                        ; implicit-def: $vgpr62
	s_mov_b32 s13, exec_lo
	s_delay_alu instid0(VALU_DEP_1) | instskip(SKIP_1) | instid1(VALU_DEP_2)
	v_and_b32_e32 v2, 0x7f800000, v0
	v_lshrrev_b32_e32 v1, 24, v0
	v_cmpx_ne_u64_e32 0x7f800000, v[2:3]
	s_xor_b32 s44, exec_lo, s13
	s_cbranch_execz .LBB6_4676
; %bb.4663:                             ;   in Loop: Header=BB6_4246 Depth=3
	v_and_b32_e32 v2, 0x7fffffff, v0
	v_and_b32_e32 v1, 0x80, v1
                                        ; implicit-def: $vgpr62
	s_mov_b32 s13, exec_lo
	s_delay_alu instid0(VALU_DEP_2)
	v_cmpx_gt_u64_e32 0x43e00001, v[2:3]
	s_xor_b32 s45, exec_lo, s13
	s_cbranch_execz .LBB6_4673
; %bb.4664:                             ;   in Loop: Header=BB6_4246 Depth=3
	v_mov_b32_e32 v62, 0
	s_mov_b32 s74, exec_lo
	v_cmpx_ne_u32_e32 0, v0
	s_cbranch_execz .LBB6_4672
; %bb.4665:                             ;   in Loop: Header=BB6_4246 Depth=3
	v_bfe_u32 v31, v0, 23, 8
	v_and_b32_e32 v2, 0x7fffff, v0
	s_delay_alu instid0(VALU_DEP_2) | instskip(SKIP_2) | instid1(VALU_DEP_4)
	v_cmp_gt_u32_e64 s13, 0x7a, v31
	v_sub_nc_u32_e32 v0, 0x79, v31
	v_cmp_eq_u32_e32 vcc_lo, 0, v31
	v_or_b32_e32 v36, 0x800000, v2
	s_delay_alu instid0(VALU_DEP_1) | instskip(NEXT) | instid1(VALU_DEP_1)
	v_dual_cndmask_b32 v0, 0, v0, s13 :: v_dual_cndmask_b32 v2, v36, v2, vcc_lo
	v_cndmask_b32_e64 v0, v0, 0x78, vcc_lo
	s_delay_alu instid0(VALU_DEP_1) | instskip(NEXT) | instid1(VALU_DEP_1)
	v_dual_add_nc_u32 v36, 20, v0 :: v_dual_add_nc_u32 v48, 19, v0
	v_lshlrev_b64_e64 v[36:37], v36, -1
	s_delay_alu instid0(VALU_DEP_2) | instskip(NEXT) | instid1(VALU_DEP_2)
	v_lshlrev_b64_e64 v[48:49], v48, 1
	v_bfi_b32 v37, v37, 0, 0
	s_delay_alu instid0(VALU_DEP_3) | instskip(NEXT) | instid1(VALU_DEP_1)
	v_bfi_b32 v36, v36, 0, v2
	v_cmp_eq_u64_e64 s13, v[36:37], v[48:49]
	v_lshrrev_b64 v[36:37], v0, v[2:3]
	s_delay_alu instid0(VALU_DEP_1)
	v_mov_b64_e32 v[48:49], v[36:37]
	s_and_saveexec_b32 s75, s13
; %bb.4666:                             ;   in Loop: Header=BB6_4246 Depth=3
	v_bfe_u32 v2, v36, 20, 1
	s_delay_alu instid0(VALU_DEP_1) | instskip(NEXT) | instid1(VALU_DEP_1)
	v_add_nc_u64_e32 v[48:49], v[36:37], v[2:3]
	v_add_nc_u64_e32 v[48:49], -1, v[48:49]
; %bb.4667:                             ;   in Loop: Header=BB6_4246 Depth=3
	s_or_b32 exec_lo, exec_lo, s75
	v_add_nc_u32_e32 v2, 0xffffff81, v31
	v_lshrrev_b32_e32 v31, 23, v36
	s_mov_b32 s13, exec_lo
	s_delay_alu instid0(VALU_DEP_2) | instskip(NEXT) | instid1(VALU_DEP_1)
	v_cndmask_b32_e64 v2, v2, 0xffffff82, vcc_lo
	v_add3_u32 v49, v0, v2, v31
	v_and_b32_e32 v0, 0xfffff, v48
	s_delay_alu instid0(VALU_DEP_1) | instskip(NEXT) | instid1(VALU_DEP_1)
	v_dual_add_nc_u32 v31, 6, v49 :: v_dual_add_nc_u32 v2, v0, v36
                                        ; implicit-def: $vgpr36_vgpr37
                                        ; implicit-def: $vgpr0
	v_cmpx_ne_u32_e32 0, v31
	s_xor_b32 s13, exec_lo, s13
; %bb.4668:                             ;   in Loop: Header=BB6_4246 Depth=3
	s_delay_alu instid0(VALU_DEP_2) | instskip(SKIP_1) | instid1(VALU_DEP_1)
	v_cmp_lt_u64_e32 vcc_lo, 0xffffff, v[2:3]
	v_add_nc_u32_e32 v0, 7, v49
	v_cndmask_b32_e32 v0, v31, v0, vcc_lo
	v_cndmask_b32_e64 v31, 0, 1, vcc_lo
	s_delay_alu instid0(VALU_DEP_1)
	v_lshrrev_b64 v[36:37], v31, v[2:3]
; %bb.4669:                             ;   in Loop: Header=BB6_4246 Depth=3
	s_and_not1_saveexec_b32 s13, s13
; %bb.4670:                             ;   in Loop: Header=BB6_4246 Depth=3
	v_mov_b64_e32 v[36:37], v[2:3]
	v_bfe_u32 v0, v2, 23, 1
; %bb.4671:                             ;   in Loop: Header=BB6_4246 Depth=3
	s_or_b32 exec_lo, exec_lo, s13
	s_delay_alu instid0(VALU_DEP_2) | instskip(NEXT) | instid1(VALU_DEP_2)
	v_lshrrev_b64 v[36:37], 20, v[36:37]
	v_cmp_gt_i32_e32 vcc_lo, 16, v0
	v_min_i32_e32 v2, 15, v0
	v_cmp_eq_u32_e64 s13, 0, v0
	s_delay_alu instid0(VALU_DEP_2) | instskip(SKIP_1) | instid1(VALU_DEP_2)
	v_dual_cndmask_b32 v37, 0, v37 :: v_dual_lshlrev_b32 v2, 3, v2
	v_cndmask_b32_e32 v36, 7, v36, vcc_lo
	v_and_b32_e32 v2, 0xf8, v2
	s_delay_alu instid0(VALU_DEP_2) | instskip(NEXT) | instid1(VALU_DEP_2)
	v_cmp_eq_u64_e32 vcc_lo, 0, v[36:37]
	v_and_or_b32 v0, v36, 7, v2
	s_and_b32 s13, s13, vcc_lo
	s_delay_alu instid0(VALU_DEP_1) | instid1(SALU_CYCLE_1)
	v_cndmask_b32_e64 v0, v0, 0, s13
	s_delay_alu instid0(VALU_DEP_1)
	v_or_b32_e32 v62, v0, v1
.LBB6_4672:                             ;   in Loop: Header=BB6_4246 Depth=3
	s_or_b32 exec_lo, exec_lo, s74
                                        ; implicit-def: $vgpr1
.LBB6_4673:                             ;   in Loop: Header=BB6_4246 Depth=3
	s_and_not1_saveexec_b32 s13, s45
; %bb.4674:                             ;   in Loop: Header=BB6_4246 Depth=3
	v_or_b32_e32 v62, 0x7e, v1
; %bb.4675:                             ;   in Loop: Header=BB6_4246 Depth=3
	s_or_b32 exec_lo, exec_lo, s13
                                        ; implicit-def: $vgpr1
.LBB6_4676:                             ;   in Loop: Header=BB6_4246 Depth=3
	s_and_not1_saveexec_b32 s13, s44
; %bb.4677:                             ;   in Loop: Header=BB6_4246 Depth=3
	v_or_b32_e32 v62, 0x7f, v1
; %bb.4678:                             ;   in Loop: Header=BB6_4246 Depth=3
	s_or_b32 exec_lo, exec_lo, s13
	v_dual_mov_b32 v1, 0 :: v_dual_lshrrev_b32 v0, 16, v51
	v_mov_b32_e32 v31, 0
	s_mov_b32 s13, exec_lo
	s_delay_alu instid0(VALU_DEP_2) | instskip(NEXT) | instid1(VALU_DEP_1)
	v_and_b32_e32 v2, 0xff, v0
	v_cmpx_ne_u16_e32 0, v2
	s_cbranch_execz .LBB6_4686
; %bb.4679:                             ;   in Loop: Header=BB6_4246 Depth=3
	v_bfrev_b32_e32 v31, 1
	s_mov_b32 s44, exec_lo
	v_cmpx_ne_u16_e32 0x80, v2
	s_cbranch_execz .LBB6_4685
; %bb.4680:                             ;   in Loop: Header=BB6_4246 Depth=3
	v_bfe_u32 v36, v51, 16, 7
	v_mov_b32_e32 v31, 0x7f800001
	s_mov_b32 s45, exec_lo
	s_delay_alu instid0(VALU_DEP_2)
	v_cmpx_ne_u32_e32 0x7f, v36
	s_cbranch_execz .LBB6_4684
; %bb.4681:                             ;   in Loop: Header=BB6_4246 Depth=3
	v_and_b32_e32 v2, 7, v0
	v_lshrrev_b32_e32 v31, 3, v36
	v_cmp_gt_u32_e32 vcc_lo, 8, v36
	s_delay_alu instid0(VALU_DEP_3)
	v_mov_b64_e32 v[36:37], v[2:3]
	s_and_saveexec_b32 s74, vcc_lo
; %bb.4682:                             ;   in Loop: Header=BB6_4246 Depth=3
	v_clz_i32_u32_e32 v31, v2
	s_delay_alu instid0(VALU_DEP_1) | instskip(NEXT) | instid1(VALU_DEP_1)
	v_min_u32_e32 v31, 32, v31
	v_subrev_nc_u32_e32 v36, 28, v31
	s_delay_alu instid0(VALU_DEP_1) | instskip(NEXT) | instid1(VALU_DEP_1)
	v_lshlrev_b64_e32 v[36:37], v36, v[2:3]
	v_dual_sub_nc_u32 v31, 29, v31 :: v_dual_bitop2_b32 v36, 7, v36 bitop3:0x40
; %bb.4683:                             ;   in Loop: Header=BB6_4246 Depth=3
	s_or_b32 exec_lo, exec_lo, s74
	v_lshlrev_b32_e32 v0, 24, v0
	s_delay_alu instid0(VALU_DEP_2) | instskip(NEXT) | instid1(VALU_DEP_3)
	v_lshlrev_b32_e32 v2, 20, v36
	v_lshl_add_u32 v31, v31, 23, 0x3c000000
	s_delay_alu instid0(VALU_DEP_3) | instskip(NEXT) | instid1(VALU_DEP_1)
	v_and_b32_e32 v0, 0x80000000, v0
	v_or3_b32 v31, v2, v0, v31
.LBB6_4684:                             ;   in Loop: Header=BB6_4246 Depth=3
	s_or_b32 exec_lo, exec_lo, s45
.LBB6_4685:                             ;   in Loop: Header=BB6_4246 Depth=3
	s_delay_alu instid0(SALU_CYCLE_1)
	s_or_b32 exec_lo, exec_lo, s44
.LBB6_4686:                             ;   in Loop: Header=BB6_4246 Depth=3
	s_delay_alu instid0(SALU_CYCLE_1) | instskip(SKIP_2) | instid1(VALU_DEP_1)
	s_or_b32 exec_lo, exec_lo, s13
	v_lshrrev_b32_e32 v0, 16, v39
	s_mov_b32 s13, exec_lo
	v_and_b32_e32 v2, 0xff, v0
	s_delay_alu instid0(VALU_DEP_1)
	v_cmpx_ne_u16_e32 0, v2
	s_cbranch_execz .LBB6_4694
; %bb.4687:                             ;   in Loop: Header=BB6_4246 Depth=3
	v_bfrev_b32_e32 v1, 1
	s_mov_b32 s44, exec_lo
	v_cmpx_ne_u16_e32 0x80, v2
	s_cbranch_execz .LBB6_4693
; %bb.4688:                             ;   in Loop: Header=BB6_4246 Depth=3
	v_bfe_u32 v36, v39, 16, 7
	v_mov_b32_e32 v1, 0x7f800001
	s_mov_b32 s45, exec_lo
	s_delay_alu instid0(VALU_DEP_2)
	v_cmpx_ne_u32_e32 0x7f, v36
	s_cbranch_execz .LBB6_4692
; %bb.4689:                             ;   in Loop: Header=BB6_4246 Depth=3
	v_and_b32_e32 v2, 7, v0
	v_lshrrev_b32_e32 v0, 3, v36
	v_cmp_gt_u32_e32 vcc_lo, 8, v36
	s_delay_alu instid0(VALU_DEP_3)
	v_mov_b64_e32 v[36:37], v[2:3]
	s_and_saveexec_b32 s74, vcc_lo
; %bb.4690:                             ;   in Loop: Header=BB6_4246 Depth=3
	v_clz_i32_u32_e32 v0, v2
	s_delay_alu instid0(VALU_DEP_1) | instskip(NEXT) | instid1(VALU_DEP_1)
	v_min_u32_e32 v0, 32, v0
	v_subrev_nc_u32_e32 v1, 28, v0
	v_sub_nc_u32_e32 v0, 29, v0
	s_delay_alu instid0(VALU_DEP_2) | instskip(NEXT) | instid1(VALU_DEP_1)
	v_lshlrev_b64_e32 v[36:37], v1, v[2:3]
	v_and_b32_e32 v36, 7, v36
; %bb.4691:                             ;   in Loop: Header=BB6_4246 Depth=3
	s_or_b32 exec_lo, exec_lo, s74
	s_delay_alu instid0(VALU_DEP_1) | instskip(SKIP_1) | instid1(VALU_DEP_2)
	v_dual_lshlrev_b32 v1, 8, v39 :: v_dual_lshlrev_b32 v2, 20, v36
	v_lshl_add_u32 v0, v0, 23, 0x3c000000
	v_and_b32_e32 v1, 0x80000000, v1
	s_delay_alu instid0(VALU_DEP_1)
	v_or3_b32 v1, v2, v1, v0
.LBB6_4692:                             ;   in Loop: Header=BB6_4246 Depth=3
	s_or_b32 exec_lo, exec_lo, s45
.LBB6_4693:                             ;   in Loop: Header=BB6_4246 Depth=3
	s_delay_alu instid0(SALU_CYCLE_1)
	s_or_b32 exec_lo, exec_lo, s44
.LBB6_4694:                             ;   in Loop: Header=BB6_4246 Depth=3
	s_delay_alu instid0(SALU_CYCLE_1) | instskip(NEXT) | instid1(VALU_DEP_1)
	s_or_b32 exec_lo, exec_lo, s13
	v_add_f32_e32 v0, v31, v1
                                        ; implicit-def: $vgpr48
	s_mov_b32 s13, exec_lo
	s_delay_alu instid0(VALU_DEP_1) | instskip(SKIP_1) | instid1(VALU_DEP_2)
	v_and_b32_e32 v2, 0x7f800000, v0
	v_lshrrev_b32_e32 v1, 24, v0
	v_cmpx_ne_u64_e32 0x7f800000, v[2:3]
	s_xor_b32 s44, exec_lo, s13
	s_cbranch_execz .LBB6_4708
; %bb.4695:                             ;   in Loop: Header=BB6_4246 Depth=3
	v_and_b32_e32 v2, 0x7fffffff, v0
	v_and_b32_e32 v1, 0x80, v1
                                        ; implicit-def: $vgpr48
	s_mov_b32 s13, exec_lo
	s_delay_alu instid0(VALU_DEP_2)
	v_cmpx_gt_u64_e32 0x43e00001, v[2:3]
	s_xor_b32 s45, exec_lo, s13
	s_cbranch_execz .LBB6_4705
; %bb.4696:                             ;   in Loop: Header=BB6_4246 Depth=3
	v_mov_b32_e32 v48, 0
	s_mov_b32 s74, exec_lo
	v_cmpx_ne_u32_e32 0, v0
	s_cbranch_execz .LBB6_4704
; %bb.4697:                             ;   in Loop: Header=BB6_4246 Depth=3
	v_bfe_u32 v31, v0, 23, 8
	v_and_b32_e32 v2, 0x7fffff, v0
	s_delay_alu instid0(VALU_DEP_2) | instskip(SKIP_2) | instid1(VALU_DEP_4)
	v_cmp_gt_u32_e64 s13, 0x7a, v31
	v_sub_nc_u32_e32 v0, 0x79, v31
	v_cmp_eq_u32_e32 vcc_lo, 0, v31
	v_or_b32_e32 v36, 0x800000, v2
	s_delay_alu instid0(VALU_DEP_1) | instskip(NEXT) | instid1(VALU_DEP_1)
	v_dual_cndmask_b32 v0, 0, v0, s13 :: v_dual_cndmask_b32 v2, v36, v2, vcc_lo
	v_cndmask_b32_e64 v0, v0, 0x78, vcc_lo
	s_delay_alu instid0(VALU_DEP_1) | instskip(NEXT) | instid1(VALU_DEP_1)
	v_dual_add_nc_u32 v36, 20, v0 :: v_dual_add_nc_u32 v48, 19, v0
	v_lshlrev_b64_e64 v[36:37], v36, -1
	s_delay_alu instid0(VALU_DEP_2) | instskip(NEXT) | instid1(VALU_DEP_2)
	v_lshlrev_b64_e64 v[48:49], v48, 1
	v_bfi_b32 v37, v37, 0, 0
	s_delay_alu instid0(VALU_DEP_3) | instskip(NEXT) | instid1(VALU_DEP_1)
	v_bfi_b32 v36, v36, 0, v2
	v_cmp_eq_u64_e64 s13, v[36:37], v[48:49]
	v_lshrrev_b64 v[36:37], v0, v[2:3]
	s_delay_alu instid0(VALU_DEP_1)
	v_mov_b64_e32 v[48:49], v[36:37]
	s_and_saveexec_b32 s75, s13
; %bb.4698:                             ;   in Loop: Header=BB6_4246 Depth=3
	v_bfe_u32 v2, v36, 20, 1
	s_delay_alu instid0(VALU_DEP_1) | instskip(NEXT) | instid1(VALU_DEP_1)
	v_add_nc_u64_e32 v[48:49], v[36:37], v[2:3]
	v_add_nc_u64_e32 v[48:49], -1, v[48:49]
; %bb.4699:                             ;   in Loop: Header=BB6_4246 Depth=3
	s_or_b32 exec_lo, exec_lo, s75
	v_add_nc_u32_e32 v2, 0xffffff81, v31
	v_lshrrev_b32_e32 v31, 23, v36
	s_mov_b32 s13, exec_lo
	s_delay_alu instid0(VALU_DEP_2) | instskip(NEXT) | instid1(VALU_DEP_1)
	v_cndmask_b32_e64 v2, v2, 0xffffff82, vcc_lo
	v_add3_u32 v49, v0, v2, v31
	v_and_b32_e32 v0, 0xfffff, v48
	s_delay_alu instid0(VALU_DEP_1) | instskip(NEXT) | instid1(VALU_DEP_1)
	v_dual_add_nc_u32 v31, 6, v49 :: v_dual_add_nc_u32 v2, v0, v36
                                        ; implicit-def: $vgpr36_vgpr37
                                        ; implicit-def: $vgpr0
	v_cmpx_ne_u32_e32 0, v31
	s_xor_b32 s13, exec_lo, s13
; %bb.4700:                             ;   in Loop: Header=BB6_4246 Depth=3
	s_delay_alu instid0(VALU_DEP_2) | instskip(SKIP_1) | instid1(VALU_DEP_1)
	v_cmp_lt_u64_e32 vcc_lo, 0xffffff, v[2:3]
	v_add_nc_u32_e32 v0, 7, v49
	v_cndmask_b32_e32 v0, v31, v0, vcc_lo
	v_cndmask_b32_e64 v31, 0, 1, vcc_lo
	s_delay_alu instid0(VALU_DEP_1)
	v_lshrrev_b64 v[36:37], v31, v[2:3]
; %bb.4701:                             ;   in Loop: Header=BB6_4246 Depth=3
	s_and_not1_saveexec_b32 s13, s13
; %bb.4702:                             ;   in Loop: Header=BB6_4246 Depth=3
	v_mov_b64_e32 v[36:37], v[2:3]
	v_bfe_u32 v0, v2, 23, 1
; %bb.4703:                             ;   in Loop: Header=BB6_4246 Depth=3
	s_or_b32 exec_lo, exec_lo, s13
	s_delay_alu instid0(VALU_DEP_2) | instskip(NEXT) | instid1(VALU_DEP_2)
	v_lshrrev_b64 v[36:37], 20, v[36:37]
	v_cmp_gt_i32_e32 vcc_lo, 16, v0
	v_min_i32_e32 v2, 15, v0
	v_cmp_eq_u32_e64 s13, 0, v0
	s_delay_alu instid0(VALU_DEP_2) | instskip(SKIP_1) | instid1(VALU_DEP_2)
	v_dual_cndmask_b32 v37, 0, v37 :: v_dual_lshlrev_b32 v2, 3, v2
	v_cndmask_b32_e32 v36, 7, v36, vcc_lo
	v_and_b32_e32 v2, 0xf8, v2
	s_delay_alu instid0(VALU_DEP_2) | instskip(NEXT) | instid1(VALU_DEP_2)
	v_cmp_eq_u64_e32 vcc_lo, 0, v[36:37]
	v_and_or_b32 v0, v36, 7, v2
	s_and_b32 s13, s13, vcc_lo
	s_delay_alu instid0(VALU_DEP_1) | instid1(SALU_CYCLE_1)
	v_cndmask_b32_e64 v0, v0, 0, s13
	s_delay_alu instid0(VALU_DEP_1)
	v_or_b32_e32 v48, v0, v1
.LBB6_4704:                             ;   in Loop: Header=BB6_4246 Depth=3
	s_or_b32 exec_lo, exec_lo, s74
                                        ; implicit-def: $vgpr1
.LBB6_4705:                             ;   in Loop: Header=BB6_4246 Depth=3
	s_and_not1_saveexec_b32 s13, s45
; %bb.4706:                             ;   in Loop: Header=BB6_4246 Depth=3
	v_or_b32_e32 v48, 0x7e, v1
; %bb.4707:                             ;   in Loop: Header=BB6_4246 Depth=3
	s_or_b32 exec_lo, exec_lo, s13
                                        ; implicit-def: $vgpr1
.LBB6_4708:                             ;   in Loop: Header=BB6_4246 Depth=3
	s_and_not1_saveexec_b32 s13, s44
; %bb.4709:                             ;   in Loop: Header=BB6_4246 Depth=3
	v_or_b32_e32 v48, 0x7f, v1
; %bb.4710:                             ;   in Loop: Header=BB6_4246 Depth=3
	s_or_b32 exec_lo, exec_lo, s13
	v_dual_mov_b32 v1, 0 :: v_dual_mov_b32 v31, 0
	s_mov_b32 s13, exec_lo
	v_cmpx_lt_u64_e64 s[22:23], v[50:51]
	s_cbranch_execz .LBB6_4718
; %bb.4711:                             ;   in Loop: Header=BB6_4246 Depth=3
	v_lshrrev_b32_e32 v0, 24, v51
	v_bfrev_b32_e32 v31, 1
	s_mov_b32 s44, exec_lo
	s_delay_alu instid0(VALU_DEP_2)
	v_cmpx_ne_u32_e32 0x80, v0
	s_cbranch_execz .LBB6_4717
; %bb.4712:                             ;   in Loop: Header=BB6_4246 Depth=3
	v_bfe_u32 v36, v51, 24, 7
	v_mov_b32_e32 v31, 0x7f800001
	s_mov_b32 s45, exec_lo
	s_delay_alu instid0(VALU_DEP_2)
	v_cmpx_ne_u32_e32 0x7f, v36
	s_cbranch_execz .LBB6_4716
; %bb.4713:                             ;   in Loop: Header=BB6_4246 Depth=3
	v_and_b32_e32 v2, 7, v0
	v_lshrrev_b32_e32 v31, 3, v36
	v_cmp_gt_u32_e32 vcc_lo, 8, v36
	s_delay_alu instid0(VALU_DEP_3)
	v_mov_b64_e32 v[36:37], v[2:3]
	s_and_saveexec_b32 s74, vcc_lo
; %bb.4714:                             ;   in Loop: Header=BB6_4246 Depth=3
	v_clz_i32_u32_e32 v31, v2
	s_delay_alu instid0(VALU_DEP_1) | instskip(NEXT) | instid1(VALU_DEP_1)
	v_min_u32_e32 v31, 32, v31
	v_subrev_nc_u32_e32 v36, 28, v31
	s_delay_alu instid0(VALU_DEP_1) | instskip(NEXT) | instid1(VALU_DEP_1)
	v_lshlrev_b64_e32 v[36:37], v36, v[2:3]
	v_dual_sub_nc_u32 v31, 29, v31 :: v_dual_bitop2_b32 v36, 7, v36 bitop3:0x40
; %bb.4715:                             ;   in Loop: Header=BB6_4246 Depth=3
	s_or_b32 exec_lo, exec_lo, s74
	v_lshlrev_b32_e32 v0, 24, v0
	s_delay_alu instid0(VALU_DEP_2) | instskip(NEXT) | instid1(VALU_DEP_3)
	v_lshlrev_b32_e32 v2, 20, v36
	v_lshl_add_u32 v31, v31, 23, 0x3c000000
	s_delay_alu instid0(VALU_DEP_3) | instskip(NEXT) | instid1(VALU_DEP_1)
	v_and_b32_e32 v0, 0x80000000, v0
	v_or3_b32 v31, v2, v0, v31
.LBB6_4716:                             ;   in Loop: Header=BB6_4246 Depth=3
	s_or_b32 exec_lo, exec_lo, s45
.LBB6_4717:                             ;   in Loop: Header=BB6_4246 Depth=3
	s_delay_alu instid0(SALU_CYCLE_1)
	s_or_b32 exec_lo, exec_lo, s44
.LBB6_4718:                             ;   in Loop: Header=BB6_4246 Depth=3
	s_delay_alu instid0(SALU_CYCLE_1) | instskip(NEXT) | instid1(SALU_CYCLE_1)
	s_or_b32 exec_lo, exec_lo, s13
	s_mov_b32 s13, exec_lo
	v_cmpx_lt_u64_e64 s[22:23], v[38:39]
	s_cbranch_execz .LBB6_4726
; %bb.4719:                             ;   in Loop: Header=BB6_4246 Depth=3
	v_lshrrev_b32_e32 v0, 24, v39
	v_bfrev_b32_e32 v1, 1
	s_mov_b32 s44, exec_lo
	s_delay_alu instid0(VALU_DEP_2)
	v_cmpx_ne_u32_e32 0x80, v0
	s_cbranch_execz .LBB6_4725
; %bb.4720:                             ;   in Loop: Header=BB6_4246 Depth=3
	v_bfe_u32 v36, v39, 24, 7
	v_mov_b32_e32 v1, 0x7f800001
	s_mov_b32 s45, exec_lo
	s_delay_alu instid0(VALU_DEP_2)
	v_cmpx_ne_u32_e32 0x7f, v36
	s_cbranch_execz .LBB6_4724
; %bb.4721:                             ;   in Loop: Header=BB6_4246 Depth=3
	v_and_b32_e32 v2, 7, v0
	v_lshrrev_b32_e32 v1, 3, v36
	v_cmp_gt_u32_e32 vcc_lo, 8, v36
	s_delay_alu instid0(VALU_DEP_3)
	v_mov_b64_e32 v[36:37], v[2:3]
	s_and_saveexec_b32 s74, vcc_lo
; %bb.4722:                             ;   in Loop: Header=BB6_4246 Depth=3
	v_clz_i32_u32_e32 v1, v2
	s_delay_alu instid0(VALU_DEP_1) | instskip(NEXT) | instid1(VALU_DEP_1)
	v_min_u32_e32 v1, 32, v1
	v_subrev_nc_u32_e32 v36, 28, v1
	s_delay_alu instid0(VALU_DEP_1) | instskip(NEXT) | instid1(VALU_DEP_1)
	v_lshlrev_b64_e32 v[36:37], v36, v[2:3]
	v_dual_sub_nc_u32 v1, 29, v1 :: v_dual_bitop2_b32 v36, 7, v36 bitop3:0x40
; %bb.4723:                             ;   in Loop: Header=BB6_4246 Depth=3
	s_or_b32 exec_lo, exec_lo, s74
	v_lshlrev_b32_e32 v0, 24, v0
	s_delay_alu instid0(VALU_DEP_2) | instskip(NEXT) | instid1(VALU_DEP_3)
	v_lshlrev_b32_e32 v2, 20, v36
	v_lshl_add_u32 v1, v1, 23, 0x3c000000
	s_delay_alu instid0(VALU_DEP_3) | instskip(NEXT) | instid1(VALU_DEP_1)
	v_and_b32_e32 v0, 0x80000000, v0
	v_or3_b32 v1, v2, v0, v1
.LBB6_4724:                             ;   in Loop: Header=BB6_4246 Depth=3
	s_or_b32 exec_lo, exec_lo, s45
.LBB6_4725:                             ;   in Loop: Header=BB6_4246 Depth=3
	s_delay_alu instid0(SALU_CYCLE_1)
	s_or_b32 exec_lo, exec_lo, s44
.LBB6_4726:                             ;   in Loop: Header=BB6_4246 Depth=3
	s_delay_alu instid0(SALU_CYCLE_1) | instskip(NEXT) | instid1(VALU_DEP_1)
	s_or_b32 exec_lo, exec_lo, s13
	v_add_f32_e32 v0, v31, v1
                                        ; implicit-def: $vgpr49
	s_mov_b32 s13, exec_lo
	s_delay_alu instid0(VALU_DEP_1) | instskip(SKIP_1) | instid1(VALU_DEP_2)
	v_and_b32_e32 v2, 0x7f800000, v0
	v_lshrrev_b32_e32 v1, 24, v0
	v_cmpx_ne_u64_e32 0x7f800000, v[2:3]
	s_xor_b32 s44, exec_lo, s13
	s_cbranch_execz .LBB6_4740
; %bb.4727:                             ;   in Loop: Header=BB6_4246 Depth=3
	v_and_b32_e32 v2, 0x7fffffff, v0
	v_and_b32_e32 v1, 0x80, v1
                                        ; implicit-def: $vgpr49
	s_mov_b32 s13, exec_lo
	s_delay_alu instid0(VALU_DEP_2)
	v_cmpx_gt_u64_e32 0x43e00001, v[2:3]
	s_xor_b32 s45, exec_lo, s13
	s_cbranch_execz .LBB6_4737
; %bb.4728:                             ;   in Loop: Header=BB6_4246 Depth=3
	v_mov_b32_e32 v49, 0
	s_mov_b32 s74, exec_lo
	v_cmpx_ne_u32_e32 0, v0
	s_cbranch_execz .LBB6_4736
; %bb.4729:                             ;   in Loop: Header=BB6_4246 Depth=3
	v_bfe_u32 v31, v0, 23, 8
	v_and_b32_e32 v2, 0x7fffff, v0
	s_delay_alu instid0(VALU_DEP_2) | instskip(SKIP_2) | instid1(VALU_DEP_4)
	v_cmp_gt_u32_e64 s13, 0x7a, v31
	v_sub_nc_u32_e32 v0, 0x79, v31
	v_cmp_eq_u32_e32 vcc_lo, 0, v31
	v_or_b32_e32 v36, 0x800000, v2
	s_delay_alu instid0(VALU_DEP_1) | instskip(NEXT) | instid1(VALU_DEP_1)
	v_dual_cndmask_b32 v0, 0, v0, s13 :: v_dual_cndmask_b32 v2, v36, v2, vcc_lo
	v_cndmask_b32_e64 v0, v0, 0x78, vcc_lo
	s_delay_alu instid0(VALU_DEP_1) | instskip(NEXT) | instid1(VALU_DEP_1)
	v_dual_add_nc_u32 v36, 20, v0 :: v_dual_add_nc_u32 v38, 19, v0
	v_lshlrev_b64_e64 v[36:37], v36, -1
	s_delay_alu instid0(VALU_DEP_2) | instskip(NEXT) | instid1(VALU_DEP_2)
	v_lshlrev_b64_e64 v[38:39], v38, 1
	v_bfi_b32 v37, v37, 0, 0
	s_delay_alu instid0(VALU_DEP_3) | instskip(NEXT) | instid1(VALU_DEP_1)
	v_bfi_b32 v36, v36, 0, v2
	v_cmp_eq_u64_e64 s13, v[36:37], v[38:39]
	v_lshrrev_b64 v[36:37], v0, v[2:3]
	s_delay_alu instid0(VALU_DEP_1)
	v_mov_b64_e32 v[38:39], v[36:37]
	s_and_saveexec_b32 s75, s13
; %bb.4730:                             ;   in Loop: Header=BB6_4246 Depth=3
	v_bfe_u32 v2, v36, 20, 1
	s_delay_alu instid0(VALU_DEP_1) | instskip(NEXT) | instid1(VALU_DEP_1)
	v_add_nc_u64_e32 v[38:39], v[36:37], v[2:3]
	v_add_nc_u64_e32 v[38:39], -1, v[38:39]
; %bb.4731:                             ;   in Loop: Header=BB6_4246 Depth=3
	s_or_b32 exec_lo, exec_lo, s75
	v_add_nc_u32_e32 v2, 0xffffff81, v31
	v_lshrrev_b32_e32 v31, 23, v36
	s_mov_b32 s13, exec_lo
	s_delay_alu instid0(VALU_DEP_2) | instskip(NEXT) | instid1(VALU_DEP_1)
	v_cndmask_b32_e64 v2, v2, 0xffffff82, vcc_lo
	v_add3_u32 v39, v0, v2, v31
	v_and_b32_e32 v0, 0xfffff, v38
	s_delay_alu instid0(VALU_DEP_1) | instskip(NEXT) | instid1(VALU_DEP_1)
	v_dual_add_nc_u32 v31, 6, v39 :: v_dual_add_nc_u32 v2, v0, v36
                                        ; implicit-def: $vgpr36_vgpr37
                                        ; implicit-def: $vgpr0
	v_cmpx_ne_u32_e32 0, v31
	s_xor_b32 s13, exec_lo, s13
; %bb.4732:                             ;   in Loop: Header=BB6_4246 Depth=3
	s_delay_alu instid0(VALU_DEP_2) | instskip(SKIP_1) | instid1(VALU_DEP_1)
	v_cmp_lt_u64_e32 vcc_lo, 0xffffff, v[2:3]
	v_add_nc_u32_e32 v0, 7, v39
	v_cndmask_b32_e32 v0, v31, v0, vcc_lo
	v_cndmask_b32_e64 v31, 0, 1, vcc_lo
	s_delay_alu instid0(VALU_DEP_1)
	v_lshrrev_b64 v[36:37], v31, v[2:3]
; %bb.4733:                             ;   in Loop: Header=BB6_4246 Depth=3
	s_and_not1_saveexec_b32 s13, s13
; %bb.4734:                             ;   in Loop: Header=BB6_4246 Depth=3
	v_mov_b64_e32 v[36:37], v[2:3]
	v_bfe_u32 v0, v2, 23, 1
; %bb.4735:                             ;   in Loop: Header=BB6_4246 Depth=3
	s_or_b32 exec_lo, exec_lo, s13
	s_delay_alu instid0(VALU_DEP_2) | instskip(NEXT) | instid1(VALU_DEP_2)
	v_lshrrev_b64 v[36:37], 20, v[36:37]
	v_cmp_gt_i32_e32 vcc_lo, 16, v0
	v_min_i32_e32 v2, 15, v0
	v_cmp_eq_u32_e64 s13, 0, v0
	s_delay_alu instid0(VALU_DEP_2) | instskip(SKIP_1) | instid1(VALU_DEP_2)
	v_dual_cndmask_b32 v37, 0, v37 :: v_dual_lshlrev_b32 v2, 3, v2
	v_cndmask_b32_e32 v36, 7, v36, vcc_lo
	v_and_b32_e32 v2, 0xf8, v2
	s_delay_alu instid0(VALU_DEP_2) | instskip(NEXT) | instid1(VALU_DEP_2)
	v_cmp_eq_u64_e32 vcc_lo, 0, v[36:37]
	v_and_or_b32 v0, v36, 7, v2
	s_and_b32 s13, s13, vcc_lo
	s_delay_alu instid0(VALU_DEP_1) | instid1(SALU_CYCLE_1)
	v_cndmask_b32_e64 v0, v0, 0, s13
	s_delay_alu instid0(VALU_DEP_1)
	v_or_b32_e32 v49, v0, v1
.LBB6_4736:                             ;   in Loop: Header=BB6_4246 Depth=3
	s_or_b32 exec_lo, exec_lo, s74
                                        ; implicit-def: $vgpr1
.LBB6_4737:                             ;   in Loop: Header=BB6_4246 Depth=3
	s_and_not1_saveexec_b32 s13, s45
; %bb.4738:                             ;   in Loop: Header=BB6_4246 Depth=3
	v_or_b32_e32 v49, 0x7e, v1
; %bb.4739:                             ;   in Loop: Header=BB6_4246 Depth=3
	s_or_b32 exec_lo, exec_lo, s13
                                        ; implicit-def: $vgpr1
.LBB6_4740:                             ;   in Loop: Header=BB6_4246 Depth=3
	s_and_not1_saveexec_b32 s13, s44
; %bb.4741:                             ;   in Loop: Header=BB6_4246 Depth=3
	v_or_b32_e32 v49, 0x7f, v1
; %bb.4742:                             ;   in Loop: Header=BB6_4246 Depth=3
	s_or_b32 exec_lo, exec_lo, s13
	v_and_b32_e32 v0, 0xff, v32
	v_dual_mov_b32 v1, 0 :: v_dual_mov_b32 v2, 0
	s_mov_b32 s13, exec_lo
	s_delay_alu instid0(VALU_DEP_2)
	v_cmpx_ne_u16_e32 0, v0
	s_cbranch_execz .LBB6_4748
; %bb.4743:                             ;   in Loop: Header=BB6_4246 Depth=3
	v_bfrev_b32_e32 v2, 1
	s_mov_b32 s44, exec_lo
	v_cmpx_ne_u16_e32 0x80, v0
	s_cbranch_execz .LBB6_4747
; %bb.4744:                             ;   in Loop: Header=BB6_4246 Depth=3
	v_and_b32_e32 v0, 0x7f, v32
	v_mov_b32_e32 v2, 0x7f800001
	s_mov_b32 s45, exec_lo
	s_delay_alu instid0(VALU_DEP_2)
	v_cmpx_ne_u32_e32 0x7f, v0
	s_cbranch_execz .LBB6_4746
; %bb.4745:                             ;   in Loop: Header=BB6_4246 Depth=3
	v_and_b32_e32 v2, 7, v32
	v_lshrrev_b32_e32 v31, 3, v0
	v_cmp_gt_u32_e32 vcc_lo, 8, v0
	s_delay_alu instid0(VALU_DEP_3) | instskip(NEXT) | instid1(VALU_DEP_1)
	v_clz_i32_u32_e32 v0, v2
	v_min_u32_e32 v0, 32, v0
	s_delay_alu instid0(VALU_DEP_1) | instskip(NEXT) | instid1(VALU_DEP_1)
	v_subrev_nc_u32_e32 v2, 28, v0
	v_dual_sub_nc_u32 v0, 29, v0 :: v_dual_cndmask_b32 v2, 0, v2, vcc_lo
	s_delay_alu instid0(VALU_DEP_1) | instskip(SKIP_1) | instid1(VALU_DEP_3)
	v_cndmask_b32_e32 v0, v31, v0, vcc_lo
	v_lshlrev_b32_e32 v31, 24, v32
	v_lshlrev_b64_e32 v[36:37], v2, v[32:33]
	s_delay_alu instid0(VALU_DEP_3) | instskip(NEXT) | instid1(VALU_DEP_3)
	v_lshl_add_u32 v0, v0, 23, 0x3c000000
	v_and_b32_e32 v31, 0x80000000, v31
	s_delay_alu instid0(VALU_DEP_3) | instskip(NEXT) | instid1(VALU_DEP_1)
	v_lshlrev_b32_e32 v2, 20, v36
	v_and_b32_e32 v2, 0x700000, v2
	s_delay_alu instid0(VALU_DEP_1)
	v_or3_b32 v2, v2, v31, v0
.LBB6_4746:                             ;   in Loop: Header=BB6_4246 Depth=3
	s_or_b32 exec_lo, exec_lo, s45
.LBB6_4747:                             ;   in Loop: Header=BB6_4246 Depth=3
	s_delay_alu instid0(SALU_CYCLE_1)
	s_or_b32 exec_lo, exec_lo, s44
.LBB6_4748:                             ;   in Loop: Header=BB6_4246 Depth=3
	s_delay_alu instid0(SALU_CYCLE_1) | instskip(SKIP_3) | instid1(VALU_DEP_1)
	s_or_b32 exec_lo, exec_lo, s13
	s_wait_loadcnt 0x2
	v_and_b32_e32 v0, 0xff, v24
	s_mov_b32 s13, exec_lo
	v_cmpx_ne_u16_e32 0, v0
	s_cbranch_execz .LBB6_4754
; %bb.4749:                             ;   in Loop: Header=BB6_4246 Depth=3
	v_bfrev_b32_e32 v1, 1
	s_mov_b32 s44, exec_lo
	v_cmpx_ne_u16_e32 0x80, v0
	s_cbranch_execz .LBB6_4753
; %bb.4750:                             ;   in Loop: Header=BB6_4246 Depth=3
	v_and_b32_e32 v0, 0x7f, v24
	v_mov_b32_e32 v1, 0x7f800001
	s_mov_b32 s45, exec_lo
	s_delay_alu instid0(VALU_DEP_2)
	v_cmpx_ne_u32_e32 0x7f, v0
	s_cbranch_execz .LBB6_4752
; %bb.4751:                             ;   in Loop: Header=BB6_4246 Depth=3
	v_and_b32_e32 v1, 7, v24
	v_lshrrev_b32_e32 v31, 3, v0
	v_cmp_gt_u32_e32 vcc_lo, 8, v0
	s_delay_alu instid0(VALU_DEP_3) | instskip(NEXT) | instid1(VALU_DEP_1)
	v_clz_i32_u32_e32 v0, v1
	v_min_u32_e32 v0, 32, v0
	s_delay_alu instid0(VALU_DEP_1) | instskip(SKIP_1) | instid1(VALU_DEP_1)
	v_subrev_nc_u32_e32 v1, 28, v0
	v_sub_nc_u32_e32 v0, 29, v0
	v_dual_cndmask_b32 v31, v31, v0 :: v_dual_cndmask_b32 v0, 0, v1
	s_delay_alu instid0(VALU_DEP_1) | instskip(NEXT) | instid1(VALU_DEP_2)
	v_lshl_add_u32 v31, v31, 23, 0x3c000000
	v_lshlrev_b64_e32 v[0:1], v0, v[24:25]
	v_lshlrev_b32_e32 v1, 24, v24
	s_delay_alu instid0(VALU_DEP_1) | instskip(NEXT) | instid1(VALU_DEP_3)
	v_and_b32_e32 v1, 0x80000000, v1
	v_lshlrev_b32_e32 v0, 20, v0
	s_delay_alu instid0(VALU_DEP_1) | instskip(NEXT) | instid1(VALU_DEP_1)
	v_and_b32_e32 v0, 0x700000, v0
	v_or3_b32 v1, v0, v1, v31
.LBB6_4752:                             ;   in Loop: Header=BB6_4246 Depth=3
	s_or_b32 exec_lo, exec_lo, s45
.LBB6_4753:                             ;   in Loop: Header=BB6_4246 Depth=3
	s_delay_alu instid0(SALU_CYCLE_1)
	s_or_b32 exec_lo, exec_lo, s44
.LBB6_4754:                             ;   in Loop: Header=BB6_4246 Depth=3
	s_delay_alu instid0(SALU_CYCLE_1) | instskip(NEXT) | instid1(VALU_DEP_1)
	s_or_b32 exec_lo, exec_lo, s13
	v_add_f32_e32 v0, v2, v1
                                        ; implicit-def: $vgpr50
	s_mov_b32 s13, exec_lo
	s_delay_alu instid0(VALU_DEP_1) | instskip(SKIP_1) | instid1(VALU_DEP_2)
	v_and_b32_e32 v2, 0x7f800000, v0
	v_lshrrev_b32_e32 v1, 24, v0
	v_cmpx_ne_u64_e32 0x7f800000, v[2:3]
	s_xor_b32 s44, exec_lo, s13
	s_cbranch_execz .LBB6_4768
; %bb.4755:                             ;   in Loop: Header=BB6_4246 Depth=3
	v_and_b32_e32 v2, 0x7fffffff, v0
	v_and_b32_e32 v1, 0x80, v1
                                        ; implicit-def: $vgpr50
	s_mov_b32 s13, exec_lo
	s_delay_alu instid0(VALU_DEP_2)
	v_cmpx_gt_u64_e32 0x43e00001, v[2:3]
	s_xor_b32 s45, exec_lo, s13
	s_cbranch_execz .LBB6_4765
; %bb.4756:                             ;   in Loop: Header=BB6_4246 Depth=3
	v_mov_b32_e32 v50, 0
	s_mov_b32 s74, exec_lo
	v_cmpx_ne_u32_e32 0, v0
	s_cbranch_execz .LBB6_4764
; %bb.4757:                             ;   in Loop: Header=BB6_4246 Depth=3
	v_bfe_u32 v31, v0, 23, 8
	v_and_b32_e32 v2, 0x7fffff, v0
	s_delay_alu instid0(VALU_DEP_2) | instskip(SKIP_2) | instid1(VALU_DEP_4)
	v_cmp_gt_u32_e64 s13, 0x7a, v31
	v_sub_nc_u32_e32 v0, 0x79, v31
	v_cmp_eq_u32_e32 vcc_lo, 0, v31
	v_or_b32_e32 v36, 0x800000, v2
	s_delay_alu instid0(VALU_DEP_1) | instskip(NEXT) | instid1(VALU_DEP_1)
	v_dual_cndmask_b32 v0, 0, v0, s13 :: v_dual_cndmask_b32 v2, v36, v2, vcc_lo
	v_cndmask_b32_e64 v0, v0, 0x78, vcc_lo
	s_delay_alu instid0(VALU_DEP_1) | instskip(NEXT) | instid1(VALU_DEP_1)
	v_dual_add_nc_u32 v36, 20, v0 :: v_dual_add_nc_u32 v38, 19, v0
	v_lshlrev_b64_e64 v[36:37], v36, -1
	s_delay_alu instid0(VALU_DEP_2) | instskip(NEXT) | instid1(VALU_DEP_2)
	v_lshlrev_b64_e64 v[38:39], v38, 1
	v_bfi_b32 v37, v37, 0, 0
	s_delay_alu instid0(VALU_DEP_3) | instskip(NEXT) | instid1(VALU_DEP_1)
	v_bfi_b32 v36, v36, 0, v2
	v_cmp_eq_u64_e64 s13, v[36:37], v[38:39]
	v_lshrrev_b64 v[36:37], v0, v[2:3]
	s_delay_alu instid0(VALU_DEP_1)
	v_mov_b64_e32 v[38:39], v[36:37]
	s_and_saveexec_b32 s75, s13
; %bb.4758:                             ;   in Loop: Header=BB6_4246 Depth=3
	v_bfe_u32 v2, v36, 20, 1
	s_delay_alu instid0(VALU_DEP_1) | instskip(NEXT) | instid1(VALU_DEP_1)
	v_add_nc_u64_e32 v[38:39], v[36:37], v[2:3]
	v_add_nc_u64_e32 v[38:39], -1, v[38:39]
; %bb.4759:                             ;   in Loop: Header=BB6_4246 Depth=3
	s_or_b32 exec_lo, exec_lo, s75
	v_add_nc_u32_e32 v2, 0xffffff81, v31
	v_lshrrev_b32_e32 v31, 23, v36
	s_mov_b32 s13, exec_lo
	s_delay_alu instid0(VALU_DEP_2) | instskip(NEXT) | instid1(VALU_DEP_1)
	v_cndmask_b32_e64 v2, v2, 0xffffff82, vcc_lo
	v_add3_u32 v39, v0, v2, v31
	v_and_b32_e32 v0, 0xfffff, v38
	s_delay_alu instid0(VALU_DEP_1) | instskip(NEXT) | instid1(VALU_DEP_1)
	v_dual_add_nc_u32 v31, 6, v39 :: v_dual_add_nc_u32 v2, v0, v36
                                        ; implicit-def: $vgpr36_vgpr37
                                        ; implicit-def: $vgpr0
	v_cmpx_ne_u32_e32 0, v31
	s_xor_b32 s13, exec_lo, s13
; %bb.4760:                             ;   in Loop: Header=BB6_4246 Depth=3
	s_delay_alu instid0(VALU_DEP_2) | instskip(SKIP_1) | instid1(VALU_DEP_1)
	v_cmp_lt_u64_e32 vcc_lo, 0xffffff, v[2:3]
	v_add_nc_u32_e32 v0, 7, v39
	v_cndmask_b32_e32 v0, v31, v0, vcc_lo
	v_cndmask_b32_e64 v31, 0, 1, vcc_lo
	s_delay_alu instid0(VALU_DEP_1)
	v_lshrrev_b64 v[36:37], v31, v[2:3]
; %bb.4761:                             ;   in Loop: Header=BB6_4246 Depth=3
	s_and_not1_saveexec_b32 s13, s13
; %bb.4762:                             ;   in Loop: Header=BB6_4246 Depth=3
	v_mov_b64_e32 v[36:37], v[2:3]
	v_bfe_u32 v0, v2, 23, 1
; %bb.4763:                             ;   in Loop: Header=BB6_4246 Depth=3
	s_or_b32 exec_lo, exec_lo, s13
	s_delay_alu instid0(VALU_DEP_2) | instskip(NEXT) | instid1(VALU_DEP_2)
	v_lshrrev_b64 v[36:37], 20, v[36:37]
	v_cmp_gt_i32_e32 vcc_lo, 16, v0
	v_min_i32_e32 v2, 15, v0
	v_cmp_eq_u32_e64 s13, 0, v0
	s_delay_alu instid0(VALU_DEP_2) | instskip(SKIP_1) | instid1(VALU_DEP_2)
	v_dual_cndmask_b32 v37, 0, v37 :: v_dual_lshlrev_b32 v2, 3, v2
	v_cndmask_b32_e32 v36, 7, v36, vcc_lo
	v_and_b32_e32 v2, 0xf8, v2
	s_delay_alu instid0(VALU_DEP_2) | instskip(NEXT) | instid1(VALU_DEP_2)
	v_cmp_eq_u64_e32 vcc_lo, 0, v[36:37]
	v_and_or_b32 v0, v36, 7, v2
	s_and_b32 s13, s13, vcc_lo
	s_delay_alu instid0(VALU_DEP_1) | instid1(SALU_CYCLE_1)
	v_cndmask_b32_e64 v0, v0, 0, s13
	s_delay_alu instid0(VALU_DEP_1)
	v_or_b32_e32 v50, v0, v1
.LBB6_4764:                             ;   in Loop: Header=BB6_4246 Depth=3
	s_or_b32 exec_lo, exec_lo, s74
                                        ; implicit-def: $vgpr1
.LBB6_4765:                             ;   in Loop: Header=BB6_4246 Depth=3
	s_and_not1_saveexec_b32 s13, s45
; %bb.4766:                             ;   in Loop: Header=BB6_4246 Depth=3
	v_or_b32_e32 v50, 0x7e, v1
; %bb.4767:                             ;   in Loop: Header=BB6_4246 Depth=3
	s_or_b32 exec_lo, exec_lo, s13
                                        ; implicit-def: $vgpr1
.LBB6_4768:                             ;   in Loop: Header=BB6_4246 Depth=3
	s_and_not1_saveexec_b32 s13, s44
; %bb.4769:                             ;   in Loop: Header=BB6_4246 Depth=3
	v_or_b32_e32 v50, 0x7f, v1
; %bb.4770:                             ;   in Loop: Header=BB6_4246 Depth=3
	s_or_b32 exec_lo, exec_lo, s13
	v_lshrrev_b16 v0, 8, v32
	v_dual_mov_b32 v1, 0 :: v_dual_mov_b32 v31, 0
	s_mov_b32 s13, exec_lo
	s_delay_alu instid0(VALU_DEP_2)
	v_cmpx_ne_u16_e32 0, v0
	s_cbranch_execz .LBB6_4778
; %bb.4771:                             ;   in Loop: Header=BB6_4246 Depth=3
	v_bfrev_b32_e32 v31, 1
	s_mov_b32 s44, exec_lo
	v_cmpx_ne_u16_e32 0x80, v0
	s_cbranch_execz .LBB6_4777
; %bb.4772:                             ;   in Loop: Header=BB6_4246 Depth=3
	v_and_b32_e32 v0, 0xffff, v0
	v_mov_b32_e32 v31, 0x7f800001
	s_mov_b32 s45, exec_lo
	s_delay_alu instid0(VALU_DEP_2) | instskip(NEXT) | instid1(VALU_DEP_1)
	v_and_b32_e32 v36, 0x7f, v0
	v_cmpx_ne_u32_e32 0x7f, v36
	s_cbranch_execz .LBB6_4776
; %bb.4773:                             ;   in Loop: Header=BB6_4246 Depth=3
	v_and_b32_e32 v2, 7, v0
	v_lshrrev_b32_e32 v0, 3, v36
	v_cmp_gt_u32_e32 vcc_lo, 8, v36
	s_delay_alu instid0(VALU_DEP_3)
	v_mov_b64_e32 v[36:37], v[2:3]
	s_and_saveexec_b32 s74, vcc_lo
; %bb.4774:                             ;   in Loop: Header=BB6_4246 Depth=3
	v_clz_i32_u32_e32 v0, v2
	s_delay_alu instid0(VALU_DEP_1) | instskip(NEXT) | instid1(VALU_DEP_1)
	v_min_u32_e32 v0, 32, v0
	v_subrev_nc_u32_e32 v31, 28, v0
	v_sub_nc_u32_e32 v0, 29, v0
	s_delay_alu instid0(VALU_DEP_2) | instskip(NEXT) | instid1(VALU_DEP_1)
	v_lshlrev_b64_e32 v[36:37], v31, v[2:3]
	v_and_b32_e32 v36, 7, v36
; %bb.4775:                             ;   in Loop: Header=BB6_4246 Depth=3
	s_or_b32 exec_lo, exec_lo, s74
	v_lshlrev_b32_e32 v2, 16, v32
	s_delay_alu instid0(VALU_DEP_2) | instskip(SKIP_1) | instid1(VALU_DEP_3)
	v_lshlrev_b32_e32 v31, 20, v36
	v_lshl_add_u32 v0, v0, 23, 0x3c000000
	v_and_b32_e32 v2, 0x80000000, v2
	s_delay_alu instid0(VALU_DEP_1)
	v_or3_b32 v31, v31, v2, v0
.LBB6_4776:                             ;   in Loop: Header=BB6_4246 Depth=3
	s_or_b32 exec_lo, exec_lo, s45
.LBB6_4777:                             ;   in Loop: Header=BB6_4246 Depth=3
	s_delay_alu instid0(SALU_CYCLE_1)
	s_or_b32 exec_lo, exec_lo, s44
.LBB6_4778:                             ;   in Loop: Header=BB6_4246 Depth=3
	s_delay_alu instid0(SALU_CYCLE_1) | instskip(SKIP_2) | instid1(VALU_DEP_1)
	s_or_b32 exec_lo, exec_lo, s13
	v_lshrrev_b16 v0, 8, v24
	s_mov_b32 s13, exec_lo
	v_cmpx_ne_u16_e32 0, v0
	s_cbranch_execz .LBB6_4786
; %bb.4779:                             ;   in Loop: Header=BB6_4246 Depth=3
	v_bfrev_b32_e32 v1, 1
	s_mov_b32 s44, exec_lo
	v_cmpx_ne_u16_e32 0x80, v0
	s_cbranch_execz .LBB6_4785
; %bb.4780:                             ;   in Loop: Header=BB6_4246 Depth=3
	v_and_b32_e32 v0, 0xffff, v0
	v_mov_b32_e32 v1, 0x7f800001
	s_mov_b32 s45, exec_lo
	s_delay_alu instid0(VALU_DEP_2) | instskip(NEXT) | instid1(VALU_DEP_1)
	v_and_b32_e32 v36, 0x7f, v0
	v_cmpx_ne_u32_e32 0x7f, v36
	s_cbranch_execz .LBB6_4784
; %bb.4781:                             ;   in Loop: Header=BB6_4246 Depth=3
	v_and_b32_e32 v2, 7, v0
	v_lshrrev_b32_e32 v0, 3, v36
	v_cmp_gt_u32_e32 vcc_lo, 8, v36
	s_delay_alu instid0(VALU_DEP_3)
	v_mov_b64_e32 v[36:37], v[2:3]
	s_and_saveexec_b32 s74, vcc_lo
; %bb.4782:                             ;   in Loop: Header=BB6_4246 Depth=3
	v_clz_i32_u32_e32 v0, v2
	s_delay_alu instid0(VALU_DEP_1) | instskip(NEXT) | instid1(VALU_DEP_1)
	v_min_u32_e32 v0, 32, v0
	v_subrev_nc_u32_e32 v1, 28, v0
	v_sub_nc_u32_e32 v0, 29, v0
	s_delay_alu instid0(VALU_DEP_2) | instskip(NEXT) | instid1(VALU_DEP_1)
	v_lshlrev_b64_e32 v[36:37], v1, v[2:3]
	v_and_b32_e32 v36, 7, v36
; %bb.4783:                             ;   in Loop: Header=BB6_4246 Depth=3
	s_or_b32 exec_lo, exec_lo, s74
	v_lshlrev_b32_e32 v1, 16, v24
	s_delay_alu instid0(VALU_DEP_2) | instskip(SKIP_1) | instid1(VALU_DEP_3)
	v_lshlrev_b32_e32 v2, 20, v36
	v_lshl_add_u32 v0, v0, 23, 0x3c000000
	v_and_b32_e32 v1, 0x80000000, v1
	s_delay_alu instid0(VALU_DEP_1)
	v_or3_b32 v1, v2, v1, v0
.LBB6_4784:                             ;   in Loop: Header=BB6_4246 Depth=3
	s_or_b32 exec_lo, exec_lo, s45
.LBB6_4785:                             ;   in Loop: Header=BB6_4246 Depth=3
	s_delay_alu instid0(SALU_CYCLE_1)
	s_or_b32 exec_lo, exec_lo, s44
.LBB6_4786:                             ;   in Loop: Header=BB6_4246 Depth=3
	s_delay_alu instid0(SALU_CYCLE_1) | instskip(NEXT) | instid1(VALU_DEP_1)
	s_or_b32 exec_lo, exec_lo, s13
	v_add_f32_e32 v0, v31, v1
                                        ; implicit-def: $vgpr51
	s_mov_b32 s13, exec_lo
	s_delay_alu instid0(VALU_DEP_1) | instskip(SKIP_1) | instid1(VALU_DEP_2)
	v_and_b32_e32 v2, 0x7f800000, v0
	v_lshrrev_b32_e32 v1, 24, v0
	v_cmpx_ne_u64_e32 0x7f800000, v[2:3]
	s_xor_b32 s44, exec_lo, s13
	s_cbranch_execz .LBB6_4800
; %bb.4787:                             ;   in Loop: Header=BB6_4246 Depth=3
	v_and_b32_e32 v2, 0x7fffffff, v0
	v_and_b32_e32 v1, 0x80, v1
                                        ; implicit-def: $vgpr51
	s_mov_b32 s13, exec_lo
	s_delay_alu instid0(VALU_DEP_2)
	v_cmpx_gt_u64_e32 0x43e00001, v[2:3]
	s_xor_b32 s45, exec_lo, s13
	s_cbranch_execz .LBB6_4797
; %bb.4788:                             ;   in Loop: Header=BB6_4246 Depth=3
	v_mov_b32_e32 v51, 0
	s_mov_b32 s74, exec_lo
	v_cmpx_ne_u32_e32 0, v0
	s_cbranch_execz .LBB6_4796
; %bb.4789:                             ;   in Loop: Header=BB6_4246 Depth=3
	v_bfe_u32 v31, v0, 23, 8
	v_and_b32_e32 v2, 0x7fffff, v0
	s_delay_alu instid0(VALU_DEP_2) | instskip(SKIP_2) | instid1(VALU_DEP_4)
	v_cmp_gt_u32_e64 s13, 0x7a, v31
	v_sub_nc_u32_e32 v0, 0x79, v31
	v_cmp_eq_u32_e32 vcc_lo, 0, v31
	v_or_b32_e32 v36, 0x800000, v2
	s_delay_alu instid0(VALU_DEP_1) | instskip(NEXT) | instid1(VALU_DEP_1)
	v_dual_cndmask_b32 v0, 0, v0, s13 :: v_dual_cndmask_b32 v2, v36, v2, vcc_lo
	v_cndmask_b32_e64 v0, v0, 0x78, vcc_lo
	s_delay_alu instid0(VALU_DEP_1) | instskip(NEXT) | instid1(VALU_DEP_1)
	v_dual_add_nc_u32 v36, 20, v0 :: v_dual_add_nc_u32 v38, 19, v0
	v_lshlrev_b64_e64 v[36:37], v36, -1
	s_delay_alu instid0(VALU_DEP_2) | instskip(NEXT) | instid1(VALU_DEP_2)
	v_lshlrev_b64_e64 v[38:39], v38, 1
	v_bfi_b32 v37, v37, 0, 0
	s_delay_alu instid0(VALU_DEP_3) | instskip(NEXT) | instid1(VALU_DEP_1)
	v_bfi_b32 v36, v36, 0, v2
	v_cmp_eq_u64_e64 s13, v[36:37], v[38:39]
	v_lshrrev_b64 v[36:37], v0, v[2:3]
	s_delay_alu instid0(VALU_DEP_1)
	v_mov_b64_e32 v[38:39], v[36:37]
	s_and_saveexec_b32 s75, s13
; %bb.4790:                             ;   in Loop: Header=BB6_4246 Depth=3
	v_bfe_u32 v2, v36, 20, 1
	s_delay_alu instid0(VALU_DEP_1) | instskip(NEXT) | instid1(VALU_DEP_1)
	v_add_nc_u64_e32 v[38:39], v[36:37], v[2:3]
	v_add_nc_u64_e32 v[38:39], -1, v[38:39]
; %bb.4791:                             ;   in Loop: Header=BB6_4246 Depth=3
	s_or_b32 exec_lo, exec_lo, s75
	v_add_nc_u32_e32 v2, 0xffffff81, v31
	v_lshrrev_b32_e32 v31, 23, v36
	s_mov_b32 s13, exec_lo
	s_delay_alu instid0(VALU_DEP_2) | instskip(NEXT) | instid1(VALU_DEP_1)
	v_cndmask_b32_e64 v2, v2, 0xffffff82, vcc_lo
	v_add3_u32 v39, v0, v2, v31
	v_and_b32_e32 v0, 0xfffff, v38
	s_delay_alu instid0(VALU_DEP_1) | instskip(NEXT) | instid1(VALU_DEP_1)
	v_dual_add_nc_u32 v31, 6, v39 :: v_dual_add_nc_u32 v2, v0, v36
                                        ; implicit-def: $vgpr36_vgpr37
                                        ; implicit-def: $vgpr0
	v_cmpx_ne_u32_e32 0, v31
	s_xor_b32 s13, exec_lo, s13
; %bb.4792:                             ;   in Loop: Header=BB6_4246 Depth=3
	s_delay_alu instid0(VALU_DEP_2) | instskip(SKIP_1) | instid1(VALU_DEP_1)
	v_cmp_lt_u64_e32 vcc_lo, 0xffffff, v[2:3]
	v_add_nc_u32_e32 v0, 7, v39
	v_cndmask_b32_e32 v0, v31, v0, vcc_lo
	v_cndmask_b32_e64 v31, 0, 1, vcc_lo
	s_delay_alu instid0(VALU_DEP_1)
	v_lshrrev_b64 v[36:37], v31, v[2:3]
; %bb.4793:                             ;   in Loop: Header=BB6_4246 Depth=3
	s_and_not1_saveexec_b32 s13, s13
; %bb.4794:                             ;   in Loop: Header=BB6_4246 Depth=3
	v_mov_b64_e32 v[36:37], v[2:3]
	v_bfe_u32 v0, v2, 23, 1
; %bb.4795:                             ;   in Loop: Header=BB6_4246 Depth=3
	s_or_b32 exec_lo, exec_lo, s13
	s_delay_alu instid0(VALU_DEP_2) | instskip(NEXT) | instid1(VALU_DEP_2)
	v_lshrrev_b64 v[36:37], 20, v[36:37]
	v_cmp_gt_i32_e32 vcc_lo, 16, v0
	v_min_i32_e32 v2, 15, v0
	v_cmp_eq_u32_e64 s13, 0, v0
	s_delay_alu instid0(VALU_DEP_2) | instskip(SKIP_1) | instid1(VALU_DEP_2)
	v_dual_cndmask_b32 v37, 0, v37 :: v_dual_lshlrev_b32 v2, 3, v2
	v_cndmask_b32_e32 v36, 7, v36, vcc_lo
	v_and_b32_e32 v2, 0xf8, v2
	s_delay_alu instid0(VALU_DEP_2) | instskip(NEXT) | instid1(VALU_DEP_2)
	v_cmp_eq_u64_e32 vcc_lo, 0, v[36:37]
	v_and_or_b32 v0, v36, 7, v2
	s_and_b32 s13, s13, vcc_lo
	s_delay_alu instid0(VALU_DEP_1) | instid1(SALU_CYCLE_1)
	v_cndmask_b32_e64 v0, v0, 0, s13
	s_delay_alu instid0(VALU_DEP_1)
	v_or_b32_e32 v51, v0, v1
.LBB6_4796:                             ;   in Loop: Header=BB6_4246 Depth=3
	s_or_b32 exec_lo, exec_lo, s74
                                        ; implicit-def: $vgpr1
.LBB6_4797:                             ;   in Loop: Header=BB6_4246 Depth=3
	s_and_not1_saveexec_b32 s13, s45
; %bb.4798:                             ;   in Loop: Header=BB6_4246 Depth=3
	v_or_b32_e32 v51, 0x7e, v1
; %bb.4799:                             ;   in Loop: Header=BB6_4246 Depth=3
	s_or_b32 exec_lo, exec_lo, s13
                                        ; implicit-def: $vgpr1
.LBB6_4800:                             ;   in Loop: Header=BB6_4246 Depth=3
	s_and_not1_saveexec_b32 s13, s44
; %bb.4801:                             ;   in Loop: Header=BB6_4246 Depth=3
	v_or_b32_e32 v51, 0x7f, v1
; %bb.4802:                             ;   in Loop: Header=BB6_4246 Depth=3
	s_or_b32 exec_lo, exec_lo, s13
	v_dual_mov_b32 v1, 0 :: v_dual_lshrrev_b32 v0, 16, v32
	v_mov_b32_e32 v31, 0
	s_mov_b32 s13, exec_lo
	s_delay_alu instid0(VALU_DEP_2) | instskip(NEXT) | instid1(VALU_DEP_1)
	v_and_b32_e32 v2, 0xff, v0
	v_cmpx_ne_u16_e32 0, v2
	s_cbranch_execz .LBB6_4810
; %bb.4803:                             ;   in Loop: Header=BB6_4246 Depth=3
	v_bfrev_b32_e32 v31, 1
	s_mov_b32 s44, exec_lo
	v_cmpx_ne_u16_e32 0x80, v2
	s_cbranch_execz .LBB6_4809
; %bb.4804:                             ;   in Loop: Header=BB6_4246 Depth=3
	v_bfe_u32 v36, v32, 16, 7
	v_mov_b32_e32 v31, 0x7f800001
	s_mov_b32 s45, exec_lo
	s_delay_alu instid0(VALU_DEP_2)
	v_cmpx_ne_u32_e32 0x7f, v36
	s_cbranch_execz .LBB6_4808
; %bb.4805:                             ;   in Loop: Header=BB6_4246 Depth=3
	v_and_b32_e32 v2, 7, v0
	v_lshrrev_b32_e32 v31, 3, v36
	v_cmp_gt_u32_e32 vcc_lo, 8, v36
	s_delay_alu instid0(VALU_DEP_3)
	v_mov_b64_e32 v[36:37], v[2:3]
	s_and_saveexec_b32 s74, vcc_lo
; %bb.4806:                             ;   in Loop: Header=BB6_4246 Depth=3
	v_clz_i32_u32_e32 v31, v2
	s_delay_alu instid0(VALU_DEP_1) | instskip(NEXT) | instid1(VALU_DEP_1)
	v_min_u32_e32 v31, 32, v31
	v_subrev_nc_u32_e32 v36, 28, v31
	s_delay_alu instid0(VALU_DEP_1) | instskip(NEXT) | instid1(VALU_DEP_1)
	v_lshlrev_b64_e32 v[36:37], v36, v[2:3]
	v_dual_sub_nc_u32 v31, 29, v31 :: v_dual_bitop2_b32 v36, 7, v36 bitop3:0x40
; %bb.4807:                             ;   in Loop: Header=BB6_4246 Depth=3
	s_or_b32 exec_lo, exec_lo, s74
	v_lshlrev_b32_e32 v0, 24, v0
	s_delay_alu instid0(VALU_DEP_2) | instskip(NEXT) | instid1(VALU_DEP_3)
	v_lshlrev_b32_e32 v2, 20, v36
	v_lshl_add_u32 v31, v31, 23, 0x3c000000
	s_delay_alu instid0(VALU_DEP_3) | instskip(NEXT) | instid1(VALU_DEP_1)
	v_and_b32_e32 v0, 0x80000000, v0
	v_or3_b32 v31, v2, v0, v31
.LBB6_4808:                             ;   in Loop: Header=BB6_4246 Depth=3
	s_or_b32 exec_lo, exec_lo, s45
.LBB6_4809:                             ;   in Loop: Header=BB6_4246 Depth=3
	s_delay_alu instid0(SALU_CYCLE_1)
	s_or_b32 exec_lo, exec_lo, s44
.LBB6_4810:                             ;   in Loop: Header=BB6_4246 Depth=3
	s_delay_alu instid0(SALU_CYCLE_1) | instskip(SKIP_2) | instid1(VALU_DEP_1)
	s_or_b32 exec_lo, exec_lo, s13
	v_lshrrev_b32_e32 v0, 16, v24
	s_mov_b32 s13, exec_lo
	v_and_b32_e32 v2, 0xff, v0
	s_delay_alu instid0(VALU_DEP_1)
	v_cmpx_ne_u16_e32 0, v2
	s_cbranch_execz .LBB6_4818
; %bb.4811:                             ;   in Loop: Header=BB6_4246 Depth=3
	v_bfrev_b32_e32 v1, 1
	s_mov_b32 s44, exec_lo
	v_cmpx_ne_u16_e32 0x80, v2
	s_cbranch_execz .LBB6_4817
; %bb.4812:                             ;   in Loop: Header=BB6_4246 Depth=3
	v_bfe_u32 v36, v24, 16, 7
	v_mov_b32_e32 v1, 0x7f800001
	s_mov_b32 s45, exec_lo
	s_delay_alu instid0(VALU_DEP_2)
	v_cmpx_ne_u32_e32 0x7f, v36
	s_cbranch_execz .LBB6_4816
; %bb.4813:                             ;   in Loop: Header=BB6_4246 Depth=3
	v_and_b32_e32 v2, 7, v0
	v_lshrrev_b32_e32 v0, 3, v36
	v_cmp_gt_u32_e32 vcc_lo, 8, v36
	s_delay_alu instid0(VALU_DEP_3)
	v_mov_b64_e32 v[36:37], v[2:3]
	s_and_saveexec_b32 s74, vcc_lo
; %bb.4814:                             ;   in Loop: Header=BB6_4246 Depth=3
	v_clz_i32_u32_e32 v0, v2
	s_delay_alu instid0(VALU_DEP_1) | instskip(NEXT) | instid1(VALU_DEP_1)
	v_min_u32_e32 v0, 32, v0
	v_subrev_nc_u32_e32 v1, 28, v0
	v_sub_nc_u32_e32 v0, 29, v0
	s_delay_alu instid0(VALU_DEP_2) | instskip(NEXT) | instid1(VALU_DEP_1)
	v_lshlrev_b64_e32 v[36:37], v1, v[2:3]
	v_and_b32_e32 v36, 7, v36
; %bb.4815:                             ;   in Loop: Header=BB6_4246 Depth=3
	s_or_b32 exec_lo, exec_lo, s74
	v_lshlrev_b32_e32 v1, 8, v24
	s_delay_alu instid0(VALU_DEP_2) | instskip(SKIP_1) | instid1(VALU_DEP_3)
	v_lshlrev_b32_e32 v2, 20, v36
	v_lshl_add_u32 v0, v0, 23, 0x3c000000
	v_and_b32_e32 v1, 0x80000000, v1
	s_delay_alu instid0(VALU_DEP_1)
	v_or3_b32 v1, v2, v1, v0
.LBB6_4816:                             ;   in Loop: Header=BB6_4246 Depth=3
	s_or_b32 exec_lo, exec_lo, s45
.LBB6_4817:                             ;   in Loop: Header=BB6_4246 Depth=3
	s_delay_alu instid0(SALU_CYCLE_1)
	s_or_b32 exec_lo, exec_lo, s44
.LBB6_4818:                             ;   in Loop: Header=BB6_4246 Depth=3
	s_delay_alu instid0(SALU_CYCLE_1) | instskip(NEXT) | instid1(VALU_DEP_1)
	s_or_b32 exec_lo, exec_lo, s13
	v_add_f32_e32 v0, v31, v1
                                        ; implicit-def: $vgpr63
	s_mov_b32 s13, exec_lo
	s_delay_alu instid0(VALU_DEP_1) | instskip(SKIP_1) | instid1(VALU_DEP_2)
	v_and_b32_e32 v2, 0x7f800000, v0
	v_lshrrev_b32_e32 v1, 24, v0
	v_cmpx_ne_u64_e32 0x7f800000, v[2:3]
	s_xor_b32 s44, exec_lo, s13
	s_cbranch_execz .LBB6_4832
; %bb.4819:                             ;   in Loop: Header=BB6_4246 Depth=3
	v_and_b32_e32 v2, 0x7fffffff, v0
	v_and_b32_e32 v1, 0x80, v1
                                        ; implicit-def: $vgpr63
	s_mov_b32 s13, exec_lo
	s_delay_alu instid0(VALU_DEP_2)
	v_cmpx_gt_u64_e32 0x43e00001, v[2:3]
	s_xor_b32 s45, exec_lo, s13
	s_cbranch_execz .LBB6_4829
; %bb.4820:                             ;   in Loop: Header=BB6_4246 Depth=3
	v_mov_b32_e32 v63, 0
	s_mov_b32 s74, exec_lo
	v_cmpx_ne_u32_e32 0, v0
	s_cbranch_execz .LBB6_4828
; %bb.4821:                             ;   in Loop: Header=BB6_4246 Depth=3
	v_bfe_u32 v31, v0, 23, 8
	v_and_b32_e32 v2, 0x7fffff, v0
	s_delay_alu instid0(VALU_DEP_2) | instskip(SKIP_2) | instid1(VALU_DEP_4)
	v_cmp_gt_u32_e64 s13, 0x7a, v31
	v_sub_nc_u32_e32 v0, 0x79, v31
	v_cmp_eq_u32_e32 vcc_lo, 0, v31
	v_or_b32_e32 v36, 0x800000, v2
	s_delay_alu instid0(VALU_DEP_1) | instskip(NEXT) | instid1(VALU_DEP_1)
	v_dual_cndmask_b32 v0, 0, v0, s13 :: v_dual_cndmask_b32 v2, v36, v2, vcc_lo
	v_cndmask_b32_e64 v0, v0, 0x78, vcc_lo
	s_delay_alu instid0(VALU_DEP_1) | instskip(NEXT) | instid1(VALU_DEP_1)
	v_dual_add_nc_u32 v36, 20, v0 :: v_dual_add_nc_u32 v38, 19, v0
	v_lshlrev_b64_e64 v[36:37], v36, -1
	s_delay_alu instid0(VALU_DEP_2) | instskip(NEXT) | instid1(VALU_DEP_2)
	v_lshlrev_b64_e64 v[38:39], v38, 1
	v_bfi_b32 v37, v37, 0, 0
	s_delay_alu instid0(VALU_DEP_3) | instskip(NEXT) | instid1(VALU_DEP_1)
	v_bfi_b32 v36, v36, 0, v2
	v_cmp_eq_u64_e64 s13, v[36:37], v[38:39]
	v_lshrrev_b64 v[36:37], v0, v[2:3]
	s_delay_alu instid0(VALU_DEP_1)
	v_mov_b64_e32 v[38:39], v[36:37]
	s_and_saveexec_b32 s75, s13
; %bb.4822:                             ;   in Loop: Header=BB6_4246 Depth=3
	v_bfe_u32 v2, v36, 20, 1
	s_delay_alu instid0(VALU_DEP_1) | instskip(NEXT) | instid1(VALU_DEP_1)
	v_add_nc_u64_e32 v[38:39], v[36:37], v[2:3]
	v_add_nc_u64_e32 v[38:39], -1, v[38:39]
; %bb.4823:                             ;   in Loop: Header=BB6_4246 Depth=3
	s_or_b32 exec_lo, exec_lo, s75
	v_add_nc_u32_e32 v2, 0xffffff81, v31
	v_lshrrev_b32_e32 v31, 23, v36
	s_mov_b32 s13, exec_lo
	s_delay_alu instid0(VALU_DEP_2) | instskip(NEXT) | instid1(VALU_DEP_1)
	v_cndmask_b32_e64 v2, v2, 0xffffff82, vcc_lo
	v_add3_u32 v39, v0, v2, v31
	v_and_b32_e32 v0, 0xfffff, v38
	s_delay_alu instid0(VALU_DEP_1) | instskip(NEXT) | instid1(VALU_DEP_1)
	v_dual_add_nc_u32 v31, 6, v39 :: v_dual_add_nc_u32 v2, v0, v36
                                        ; implicit-def: $vgpr36_vgpr37
                                        ; implicit-def: $vgpr0
	v_cmpx_ne_u32_e32 0, v31
	s_xor_b32 s13, exec_lo, s13
; %bb.4824:                             ;   in Loop: Header=BB6_4246 Depth=3
	s_delay_alu instid0(VALU_DEP_2) | instskip(SKIP_1) | instid1(VALU_DEP_1)
	v_cmp_lt_u64_e32 vcc_lo, 0xffffff, v[2:3]
	v_add_nc_u32_e32 v0, 7, v39
	v_cndmask_b32_e32 v0, v31, v0, vcc_lo
	v_cndmask_b32_e64 v31, 0, 1, vcc_lo
	s_delay_alu instid0(VALU_DEP_1)
	v_lshrrev_b64 v[36:37], v31, v[2:3]
; %bb.4825:                             ;   in Loop: Header=BB6_4246 Depth=3
	s_and_not1_saveexec_b32 s13, s13
; %bb.4826:                             ;   in Loop: Header=BB6_4246 Depth=3
	v_mov_b64_e32 v[36:37], v[2:3]
	v_bfe_u32 v0, v2, 23, 1
; %bb.4827:                             ;   in Loop: Header=BB6_4246 Depth=3
	s_or_b32 exec_lo, exec_lo, s13
	s_delay_alu instid0(VALU_DEP_2) | instskip(NEXT) | instid1(VALU_DEP_2)
	v_lshrrev_b64 v[36:37], 20, v[36:37]
	v_cmp_gt_i32_e32 vcc_lo, 16, v0
	v_min_i32_e32 v2, 15, v0
	v_cmp_eq_u32_e64 s13, 0, v0
	s_delay_alu instid0(VALU_DEP_2) | instskip(SKIP_1) | instid1(VALU_DEP_2)
	v_dual_cndmask_b32 v37, 0, v37 :: v_dual_lshlrev_b32 v2, 3, v2
	v_cndmask_b32_e32 v36, 7, v36, vcc_lo
	v_and_b32_e32 v2, 0xf8, v2
	s_delay_alu instid0(VALU_DEP_2) | instskip(NEXT) | instid1(VALU_DEP_2)
	v_cmp_eq_u64_e32 vcc_lo, 0, v[36:37]
	v_and_or_b32 v0, v36, 7, v2
	s_and_b32 s13, s13, vcc_lo
	s_delay_alu instid0(VALU_DEP_1) | instid1(SALU_CYCLE_1)
	v_cndmask_b32_e64 v0, v0, 0, s13
	s_delay_alu instid0(VALU_DEP_1)
	v_or_b32_e32 v63, v0, v1
.LBB6_4828:                             ;   in Loop: Header=BB6_4246 Depth=3
	s_or_b32 exec_lo, exec_lo, s74
                                        ; implicit-def: $vgpr1
.LBB6_4829:                             ;   in Loop: Header=BB6_4246 Depth=3
	s_and_not1_saveexec_b32 s13, s45
; %bb.4830:                             ;   in Loop: Header=BB6_4246 Depth=3
	v_or_b32_e32 v63, 0x7e, v1
; %bb.4831:                             ;   in Loop: Header=BB6_4246 Depth=3
	s_or_b32 exec_lo, exec_lo, s13
                                        ; implicit-def: $vgpr1
.LBB6_4832:                             ;   in Loop: Header=BB6_4246 Depth=3
	s_and_not1_saveexec_b32 s13, s44
; %bb.4833:                             ;   in Loop: Header=BB6_4246 Depth=3
	v_or_b32_e32 v63, 0x7f, v1
; %bb.4834:                             ;   in Loop: Header=BB6_4246 Depth=3
	s_or_b32 exec_lo, exec_lo, s13
	v_dual_mov_b32 v1, 0 :: v_dual_mov_b32 v31, 0
	s_mov_b32 s13, exec_lo
	v_cmpx_lt_u32_e32 0xffffff, v32
	s_cbranch_execz .LBB6_4842
; %bb.4835:                             ;   in Loop: Header=BB6_4246 Depth=3
	v_lshrrev_b32_e32 v0, 24, v32
	v_bfrev_b32_e32 v31, 1
	s_mov_b32 s44, exec_lo
	s_delay_alu instid0(VALU_DEP_2)
	v_cmpx_ne_u32_e32 0x80, v0
	s_cbranch_execz .LBB6_4841
; %bb.4836:                             ;   in Loop: Header=BB6_4246 Depth=3
	v_bfe_u32 v36, v32, 24, 7
	v_mov_b32_e32 v31, 0x7f800001
	s_mov_b32 s45, exec_lo
	s_delay_alu instid0(VALU_DEP_2)
	v_cmpx_ne_u32_e32 0x7f, v36
	s_cbranch_execz .LBB6_4840
; %bb.4837:                             ;   in Loop: Header=BB6_4246 Depth=3
	v_and_b32_e32 v2, 7, v0
	v_lshrrev_b32_e32 v31, 3, v36
	v_cmp_gt_u32_e32 vcc_lo, 8, v36
	s_delay_alu instid0(VALU_DEP_3)
	v_mov_b64_e32 v[36:37], v[2:3]
	s_and_saveexec_b32 s74, vcc_lo
; %bb.4838:                             ;   in Loop: Header=BB6_4246 Depth=3
	v_clz_i32_u32_e32 v31, v2
	s_delay_alu instid0(VALU_DEP_1) | instskip(NEXT) | instid1(VALU_DEP_1)
	v_min_u32_e32 v31, 32, v31
	v_subrev_nc_u32_e32 v36, 28, v31
	s_delay_alu instid0(VALU_DEP_1) | instskip(NEXT) | instid1(VALU_DEP_1)
	v_lshlrev_b64_e32 v[36:37], v36, v[2:3]
	v_dual_sub_nc_u32 v31, 29, v31 :: v_dual_bitop2_b32 v36, 7, v36 bitop3:0x40
; %bb.4839:                             ;   in Loop: Header=BB6_4246 Depth=3
	s_or_b32 exec_lo, exec_lo, s74
	v_lshlrev_b32_e32 v0, 24, v0
	s_delay_alu instid0(VALU_DEP_2) | instskip(NEXT) | instid1(VALU_DEP_3)
	v_lshlrev_b32_e32 v2, 20, v36
	v_lshl_add_u32 v31, v31, 23, 0x3c000000
	s_delay_alu instid0(VALU_DEP_3) | instskip(NEXT) | instid1(VALU_DEP_1)
	v_and_b32_e32 v0, 0x80000000, v0
	v_or3_b32 v31, v2, v0, v31
.LBB6_4840:                             ;   in Loop: Header=BB6_4246 Depth=3
	s_or_b32 exec_lo, exec_lo, s45
.LBB6_4841:                             ;   in Loop: Header=BB6_4246 Depth=3
	s_delay_alu instid0(SALU_CYCLE_1)
	s_or_b32 exec_lo, exec_lo, s44
.LBB6_4842:                             ;   in Loop: Header=BB6_4246 Depth=3
	s_delay_alu instid0(SALU_CYCLE_1) | instskip(NEXT) | instid1(SALU_CYCLE_1)
	s_or_b32 exec_lo, exec_lo, s13
	s_mov_b32 s13, exec_lo
	v_cmpx_lt_u32_e32 0xffffff, v24
	s_cbranch_execz .LBB6_4850
; %bb.4843:                             ;   in Loop: Header=BB6_4246 Depth=3
	v_lshrrev_b32_e32 v0, 24, v24
	v_bfrev_b32_e32 v1, 1
	s_mov_b32 s44, exec_lo
	s_delay_alu instid0(VALU_DEP_2)
	v_cmpx_ne_u32_e32 0x80, v0
	s_cbranch_execz .LBB6_4849
; %bb.4844:                             ;   in Loop: Header=BB6_4246 Depth=3
	v_bfe_u32 v36, v24, 24, 7
	v_mov_b32_e32 v1, 0x7f800001
	s_mov_b32 s45, exec_lo
	s_delay_alu instid0(VALU_DEP_2)
	v_cmpx_ne_u32_e32 0x7f, v36
	s_cbranch_execz .LBB6_4848
; %bb.4845:                             ;   in Loop: Header=BB6_4246 Depth=3
	v_and_b32_e32 v2, 7, v0
	v_lshrrev_b32_e32 v1, 3, v36
	v_cmp_gt_u32_e32 vcc_lo, 8, v36
	s_delay_alu instid0(VALU_DEP_3)
	v_mov_b64_e32 v[36:37], v[2:3]
	s_and_saveexec_b32 s74, vcc_lo
; %bb.4846:                             ;   in Loop: Header=BB6_4246 Depth=3
	v_clz_i32_u32_e32 v1, v2
	s_delay_alu instid0(VALU_DEP_1) | instskip(NEXT) | instid1(VALU_DEP_1)
	v_min_u32_e32 v1, 32, v1
	v_subrev_nc_u32_e32 v36, 28, v1
	s_delay_alu instid0(VALU_DEP_1) | instskip(NEXT) | instid1(VALU_DEP_1)
	v_lshlrev_b64_e32 v[36:37], v36, v[2:3]
	v_dual_sub_nc_u32 v1, 29, v1 :: v_dual_bitop2_b32 v36, 7, v36 bitop3:0x40
; %bb.4847:                             ;   in Loop: Header=BB6_4246 Depth=3
	s_or_b32 exec_lo, exec_lo, s74
	v_lshlrev_b32_e32 v0, 24, v0
	s_delay_alu instid0(VALU_DEP_2) | instskip(NEXT) | instid1(VALU_DEP_3)
	v_lshlrev_b32_e32 v2, 20, v36
	v_lshl_add_u32 v1, v1, 23, 0x3c000000
	s_delay_alu instid0(VALU_DEP_3) | instskip(NEXT) | instid1(VALU_DEP_1)
	v_and_b32_e32 v0, 0x80000000, v0
	v_or3_b32 v1, v2, v0, v1
.LBB6_4848:                             ;   in Loop: Header=BB6_4246 Depth=3
	s_or_b32 exec_lo, exec_lo, s45
.LBB6_4849:                             ;   in Loop: Header=BB6_4246 Depth=3
	s_delay_alu instid0(SALU_CYCLE_1)
	s_or_b32 exec_lo, exec_lo, s44
.LBB6_4850:                             ;   in Loop: Header=BB6_4246 Depth=3
	s_delay_alu instid0(SALU_CYCLE_1) | instskip(NEXT) | instid1(VALU_DEP_1)
	s_or_b32 exec_lo, exec_lo, s13
	v_add_f32_e32 v0, v31, v1
                                        ; implicit-def: $vgpr54
	s_mov_b32 s13, exec_lo
	s_delay_alu instid0(VALU_DEP_1) | instskip(SKIP_1) | instid1(VALU_DEP_2)
	v_and_b32_e32 v2, 0x7f800000, v0
	v_lshrrev_b32_e32 v1, 24, v0
	v_cmpx_ne_u64_e32 0x7f800000, v[2:3]
	s_xor_b32 s44, exec_lo, s13
	s_cbranch_execz .LBB6_4864
; %bb.4851:                             ;   in Loop: Header=BB6_4246 Depth=3
	v_and_b32_e32 v2, 0x7fffffff, v0
	v_and_b32_e32 v1, 0x80, v1
                                        ; implicit-def: $vgpr54
	s_mov_b32 s13, exec_lo
	s_delay_alu instid0(VALU_DEP_2)
	v_cmpx_gt_u64_e32 0x43e00001, v[2:3]
	s_xor_b32 s45, exec_lo, s13
	s_cbranch_execz .LBB6_4861
; %bb.4852:                             ;   in Loop: Header=BB6_4246 Depth=3
	v_mov_b32_e32 v54, 0
	s_mov_b32 s74, exec_lo
	v_cmpx_ne_u32_e32 0, v0
	s_cbranch_execz .LBB6_4860
; %bb.4853:                             ;   in Loop: Header=BB6_4246 Depth=3
	v_bfe_u32 v31, v0, 23, 8
	v_and_b32_e32 v2, 0x7fffff, v0
	s_delay_alu instid0(VALU_DEP_2) | instskip(SKIP_2) | instid1(VALU_DEP_4)
	v_cmp_gt_u32_e64 s13, 0x7a, v31
	v_sub_nc_u32_e32 v0, 0x79, v31
	v_cmp_eq_u32_e32 vcc_lo, 0, v31
	v_or_b32_e32 v36, 0x800000, v2
	s_delay_alu instid0(VALU_DEP_1) | instskip(NEXT) | instid1(VALU_DEP_1)
	v_dual_cndmask_b32 v0, 0, v0, s13 :: v_dual_cndmask_b32 v2, v36, v2, vcc_lo
	v_cndmask_b32_e64 v0, v0, 0x78, vcc_lo
	s_delay_alu instid0(VALU_DEP_1) | instskip(NEXT) | instid1(VALU_DEP_1)
	v_dual_add_nc_u32 v36, 20, v0 :: v_dual_add_nc_u32 v38, 19, v0
	v_lshlrev_b64_e64 v[36:37], v36, -1
	s_delay_alu instid0(VALU_DEP_2) | instskip(NEXT) | instid1(VALU_DEP_2)
	v_lshlrev_b64_e64 v[38:39], v38, 1
	v_bfi_b32 v37, v37, 0, 0
	s_delay_alu instid0(VALU_DEP_3) | instskip(NEXT) | instid1(VALU_DEP_1)
	v_bfi_b32 v36, v36, 0, v2
	v_cmp_eq_u64_e64 s13, v[36:37], v[38:39]
	v_lshrrev_b64 v[36:37], v0, v[2:3]
	s_delay_alu instid0(VALU_DEP_1)
	v_mov_b64_e32 v[38:39], v[36:37]
	s_and_saveexec_b32 s75, s13
; %bb.4854:                             ;   in Loop: Header=BB6_4246 Depth=3
	v_bfe_u32 v2, v36, 20, 1
	s_delay_alu instid0(VALU_DEP_1) | instskip(NEXT) | instid1(VALU_DEP_1)
	v_add_nc_u64_e32 v[38:39], v[36:37], v[2:3]
	v_add_nc_u64_e32 v[38:39], -1, v[38:39]
; %bb.4855:                             ;   in Loop: Header=BB6_4246 Depth=3
	s_or_b32 exec_lo, exec_lo, s75
	v_add_nc_u32_e32 v2, 0xffffff81, v31
	v_lshrrev_b32_e32 v31, 23, v36
	s_mov_b32 s13, exec_lo
	s_delay_alu instid0(VALU_DEP_2) | instskip(NEXT) | instid1(VALU_DEP_1)
	v_cndmask_b32_e64 v2, v2, 0xffffff82, vcc_lo
	v_add3_u32 v39, v0, v2, v31
	v_and_b32_e32 v0, 0xfffff, v38
	s_delay_alu instid0(VALU_DEP_1) | instskip(NEXT) | instid1(VALU_DEP_1)
	v_dual_add_nc_u32 v31, 6, v39 :: v_dual_add_nc_u32 v2, v0, v36
                                        ; implicit-def: $vgpr36_vgpr37
                                        ; implicit-def: $vgpr0
	v_cmpx_ne_u32_e32 0, v31
	s_xor_b32 s13, exec_lo, s13
; %bb.4856:                             ;   in Loop: Header=BB6_4246 Depth=3
	s_delay_alu instid0(VALU_DEP_2) | instskip(SKIP_1) | instid1(VALU_DEP_1)
	v_cmp_lt_u64_e32 vcc_lo, 0xffffff, v[2:3]
	v_add_nc_u32_e32 v0, 7, v39
	v_cndmask_b32_e32 v0, v31, v0, vcc_lo
	v_cndmask_b32_e64 v31, 0, 1, vcc_lo
	s_delay_alu instid0(VALU_DEP_1)
	v_lshrrev_b64 v[36:37], v31, v[2:3]
; %bb.4857:                             ;   in Loop: Header=BB6_4246 Depth=3
	s_and_not1_saveexec_b32 s13, s13
; %bb.4858:                             ;   in Loop: Header=BB6_4246 Depth=3
	v_mov_b64_e32 v[36:37], v[2:3]
	v_bfe_u32 v0, v2, 23, 1
; %bb.4859:                             ;   in Loop: Header=BB6_4246 Depth=3
	s_or_b32 exec_lo, exec_lo, s13
	s_delay_alu instid0(VALU_DEP_2) | instskip(NEXT) | instid1(VALU_DEP_2)
	v_lshrrev_b64 v[36:37], 20, v[36:37]
	v_cmp_gt_i32_e32 vcc_lo, 16, v0
	v_min_i32_e32 v2, 15, v0
	v_cmp_eq_u32_e64 s13, 0, v0
	s_delay_alu instid0(VALU_DEP_2) | instskip(SKIP_1) | instid1(VALU_DEP_2)
	v_dual_cndmask_b32 v37, 0, v37 :: v_dual_lshlrev_b32 v2, 3, v2
	v_cndmask_b32_e32 v36, 7, v36, vcc_lo
	v_and_b32_e32 v2, 0xf8, v2
	s_delay_alu instid0(VALU_DEP_2) | instskip(NEXT) | instid1(VALU_DEP_2)
	v_cmp_eq_u64_e32 vcc_lo, 0, v[36:37]
	v_and_or_b32 v0, v36, 7, v2
	s_and_b32 s13, s13, vcc_lo
	s_delay_alu instid0(VALU_DEP_1) | instid1(SALU_CYCLE_1)
	v_cndmask_b32_e64 v0, v0, 0, s13
	s_delay_alu instid0(VALU_DEP_1)
	v_or_b32_e32 v54, v0, v1
.LBB6_4860:                             ;   in Loop: Header=BB6_4246 Depth=3
	s_or_b32 exec_lo, exec_lo, s74
                                        ; implicit-def: $vgpr1
.LBB6_4861:                             ;   in Loop: Header=BB6_4246 Depth=3
	s_and_not1_saveexec_b32 s13, s45
; %bb.4862:                             ;   in Loop: Header=BB6_4246 Depth=3
	v_or_b32_e32 v54, 0x7e, v1
; %bb.4863:                             ;   in Loop: Header=BB6_4246 Depth=3
	s_or_b32 exec_lo, exec_lo, s13
                                        ; implicit-def: $vgpr1
.LBB6_4864:                             ;   in Loop: Header=BB6_4246 Depth=3
	s_and_not1_saveexec_b32 s13, s44
; %bb.4865:                             ;   in Loop: Header=BB6_4246 Depth=3
	v_or_b32_e32 v54, 0x7f, v1
; %bb.4866:                             ;   in Loop: Header=BB6_4246 Depth=3
	s_or_b32 exec_lo, exec_lo, s13
	v_and_b32_e32 v0, 0xff, v33
	v_dual_mov_b32 v2, v33 :: v_dual_mov_b32 v1, 0
	v_mov_b32_e32 v31, 0
	s_mov_b32 s13, exec_lo
	s_delay_alu instid0(VALU_DEP_3)
	v_cmpx_ne_u16_e32 0, v0
	s_cbranch_execz .LBB6_4872
; %bb.4867:                             ;   in Loop: Header=BB6_4246 Depth=3
	v_bfrev_b32_e32 v31, 1
	s_mov_b32 s44, exec_lo
	v_cmpx_ne_u16_e32 0x80, v0
	s_cbranch_execz .LBB6_4871
; %bb.4868:                             ;   in Loop: Header=BB6_4246 Depth=3
	v_and_b32_e32 v0, 0x7f, v33
	v_mov_b32_e32 v31, 0x7f800001
	s_mov_b32 s45, exec_lo
	s_delay_alu instid0(VALU_DEP_2)
	v_cmpx_ne_u32_e32 0x7f, v0
	s_cbranch_execz .LBB6_4870
; %bb.4869:                             ;   in Loop: Header=BB6_4246 Depth=3
	v_dual_lshrrev_b32 v36, 3, v0 :: v_dual_bitop2_b32 v31, 7, v33 bitop3:0x40
	v_cmp_gt_u32_e32 vcc_lo, 8, v0
	s_delay_alu instid0(VALU_DEP_2) | instskip(NEXT) | instid1(VALU_DEP_1)
	v_clz_i32_u32_e32 v0, v31
	v_min_u32_e32 v0, 32, v0
	s_delay_alu instid0(VALU_DEP_1) | instskip(NEXT) | instid1(VALU_DEP_1)
	v_subrev_nc_u32_e32 v31, 28, v0
	v_dual_cndmask_b32 v31, 0, v31 :: v_dual_sub_nc_u32 v0, 29, v0
	s_delay_alu instid0(VALU_DEP_1) | instskip(NEXT) | instid1(VALU_DEP_2)
	v_cndmask_b32_e32 v0, v36, v0, vcc_lo
	v_lshlrev_b64_e32 v[36:37], v31, v[2:3]
	s_delay_alu instid0(VALU_DEP_1) | instskip(NEXT) | instid1(VALU_DEP_3)
	v_dual_lshlrev_b32 v31, 20, v36 :: v_dual_lshlrev_b32 v36, 24, v2
	v_lshl_add_u32 v0, v0, 23, 0x3c000000
	s_delay_alu instid0(VALU_DEP_2) | instskip(NEXT) | instid1(VALU_DEP_3)
	v_and_b32_e32 v31, 0x700000, v31
	v_and_b32_e32 v36, 0x80000000, v36
	s_delay_alu instid0(VALU_DEP_1)
	v_or3_b32 v31, v31, v36, v0
.LBB6_4870:                             ;   in Loop: Header=BB6_4246 Depth=3
	s_or_b32 exec_lo, exec_lo, s45
.LBB6_4871:                             ;   in Loop: Header=BB6_4246 Depth=3
	s_delay_alu instid0(SALU_CYCLE_1)
	s_or_b32 exec_lo, exec_lo, s44
.LBB6_4872:                             ;   in Loop: Header=BB6_4246 Depth=3
	s_delay_alu instid0(SALU_CYCLE_1) | instskip(SKIP_2) | instid1(VALU_DEP_1)
	s_or_b32 exec_lo, exec_lo, s13
	v_and_b32_e32 v0, 0xff, v25
	s_mov_b32 s13, exec_lo
	v_cmpx_ne_u16_e32 0, v0
	s_cbranch_execz .LBB6_4878
; %bb.4873:                             ;   in Loop: Header=BB6_4246 Depth=3
	v_bfrev_b32_e32 v1, 1
	s_mov_b32 s44, exec_lo
	v_cmpx_ne_u16_e32 0x80, v0
	s_cbranch_execz .LBB6_4877
; %bb.4874:                             ;   in Loop: Header=BB6_4246 Depth=3
	v_and_b32_e32 v0, 0x7f, v25
	v_mov_b32_e32 v1, 0x7f800001
	s_mov_b32 s45, exec_lo
	s_delay_alu instid0(VALU_DEP_2)
	v_cmpx_ne_u32_e32 0x7f, v0
	s_cbranch_execz .LBB6_4876
; %bb.4875:                             ;   in Loop: Header=BB6_4246 Depth=3
	v_dual_lshrrev_b32 v36, 3, v0 :: v_dual_bitop2_b32 v1, 7, v25 bitop3:0x40
	v_cmp_gt_u32_e32 vcc_lo, 8, v0
	v_mov_b32_e32 v0, v25
	s_delay_alu instid0(VALU_DEP_3) | instskip(NEXT) | instid1(VALU_DEP_1)
	v_clz_i32_u32_e32 v1, v1
	v_min_u32_e32 v1, 32, v1
	s_delay_alu instid0(VALU_DEP_1) | instskip(SKIP_1) | instid1(VALU_DEP_2)
	v_sub_nc_u32_e32 v37, 29, v1
	v_subrev_nc_u32_e32 v38, 28, v1
	v_dual_mov_b32 v1, v3 :: v_dual_cndmask_b32 v39, v36, v37, vcc_lo
	s_delay_alu instid0(VALU_DEP_2) | instskip(NEXT) | instid1(VALU_DEP_1)
	v_cndmask_b32_e32 v36, 0, v38, vcc_lo
	v_lshlrev_b64_e32 v[36:37], v36, v[0:1]
	v_lshlrev_b32_e32 v0, 24, v0
	s_delay_alu instid0(VALU_DEP_1) | instskip(NEXT) | instid1(VALU_DEP_3)
	v_and_b32_e32 v0, 0x80000000, v0
	v_lshlrev_b32_e32 v1, 20, v36
	v_lshl_add_u32 v36, v39, 23, 0x3c000000
	s_delay_alu instid0(VALU_DEP_2) | instskip(NEXT) | instid1(VALU_DEP_1)
	v_and_b32_e32 v1, 0x700000, v1
	v_or3_b32 v1, v1, v0, v36
.LBB6_4876:                             ;   in Loop: Header=BB6_4246 Depth=3
	s_or_b32 exec_lo, exec_lo, s45
.LBB6_4877:                             ;   in Loop: Header=BB6_4246 Depth=3
	s_delay_alu instid0(SALU_CYCLE_1)
	s_or_b32 exec_lo, exec_lo, s44
.LBB6_4878:                             ;   in Loop: Header=BB6_4246 Depth=3
	s_delay_alu instid0(SALU_CYCLE_1) | instskip(NEXT) | instid1(VALU_DEP_1)
	s_or_b32 exec_lo, exec_lo, s13
	v_add_f32_e32 v0, v31, v1
	v_mov_b32_e32 v37, v3
                                        ; implicit-def: $vgpr31
	s_mov_b32 s13, exec_lo
	s_delay_alu instid0(VALU_DEP_2) | instskip(SKIP_1) | instid1(VALU_DEP_2)
	v_and_b32_e32 v36, 0x7f800000, v0
	v_lshrrev_b32_e32 v1, 24, v0
	v_cmpx_ne_u64_e32 0x7f800000, v[36:37]
	s_xor_b32 s44, exec_lo, s13
	s_cbranch_execz .LBB6_4892
; %bb.4879:                             ;   in Loop: Header=BB6_4246 Depth=3
	v_and_b32_e32 v36, 0x7fffffff, v0
	v_mov_b32_e32 v37, v3
	v_and_b32_e32 v1, 0x80, v1
                                        ; implicit-def: $vgpr31
	s_mov_b32 s13, exec_lo
	s_delay_alu instid0(VALU_DEP_2)
	v_cmpx_gt_u64_e32 0x43e00001, v[36:37]
	s_xor_b32 s45, exec_lo, s13
	s_cbranch_execz .LBB6_4889
; %bb.4880:                             ;   in Loop: Header=BB6_4246 Depth=3
	v_mov_b32_e32 v31, 0
	s_mov_b32 s74, exec_lo
	v_cmpx_ne_u32_e32 0, v0
	s_cbranch_execz .LBB6_4888
; %bb.4881:                             ;   in Loop: Header=BB6_4246 Depth=3
	v_and_b32_e32 v36, 0x7fffff, v0
	v_bfe_u32 v31, v0, 23, 8
	s_delay_alu instid0(VALU_DEP_2) | instskip(NEXT) | instid1(VALU_DEP_2)
	v_or_b32_e32 v37, 0x800000, v36
	v_cmp_eq_u32_e32 vcc_lo, 0, v31
	v_cmp_gt_u32_e64 s13, 0x7a, v31
	v_sub_nc_u32_e32 v0, 0x79, v31
	s_delay_alu instid0(VALU_DEP_4) | instskip(NEXT) | instid1(VALU_DEP_2)
	v_dual_cndmask_b32 v36, v37, v36 :: v_dual_mov_b32 v37, v3
	v_cndmask_b32_e64 v0, 0, v0, s13
	s_delay_alu instid0(VALU_DEP_1) | instskip(NEXT) | instid1(VALU_DEP_1)
	v_cndmask_b32_e64 v0, v0, 0x78, vcc_lo
	v_dual_add_nc_u32 v38, 20, v0 :: v_dual_add_nc_u32 v52, 19, v0
	s_delay_alu instid0(VALU_DEP_1) | instskip(NEXT) | instid1(VALU_DEP_2)
	v_lshlrev_b64_e64 v[38:39], v38, -1
	v_lshlrev_b64_e64 v[52:53], v52, 1
	s_delay_alu instid0(VALU_DEP_2) | instskip(SKIP_1) | instid1(VALU_DEP_4)
	v_bfi_b32 v38, v38, 0, v36
	v_lshrrev_b64 v[36:37], v0, v[36:37]
	v_bfi_b32 v39, v39, 0, 0
	s_delay_alu instid0(VALU_DEP_1) | instskip(NEXT) | instid1(VALU_DEP_3)
	v_cmp_eq_u64_e64 s13, v[38:39], v[52:53]
	v_mov_b64_e32 v[38:39], v[36:37]
	s_and_saveexec_b32 s75, s13
; %bb.4882:                             ;   in Loop: Header=BB6_4246 Depth=3
	v_bfe_u32 v38, v36, 20, 1
	v_mov_b32_e32 v39, v3
	s_delay_alu instid0(VALU_DEP_1) | instskip(NEXT) | instid1(VALU_DEP_1)
	v_add_nc_u64_e32 v[38:39], v[36:37], v[38:39]
	v_add_nc_u64_e32 v[38:39], -1, v[38:39]
; %bb.4883:                             ;   in Loop: Header=BB6_4246 Depth=3
	s_or_b32 exec_lo, exec_lo, s75
	v_add_nc_u32_e32 v31, 0xffffff81, v31
	v_lshrrev_b32_e32 v37, 23, v36
	s_mov_b32 s13, exec_lo
	s_delay_alu instid0(VALU_DEP_2) | instskip(NEXT) | instid1(VALU_DEP_1)
	v_cndmask_b32_e64 v31, v31, 0xffffff82, vcc_lo
	v_add3_u32 v39, v0, v31, v37
	v_and_b32_e32 v0, 0xfffff, v38
	s_delay_alu instid0(VALU_DEP_2) | instskip(NEXT) | instid1(VALU_DEP_2)
	v_dual_mov_b32 v37, v3 :: v_dual_add_nc_u32 v31, 6, v39
	v_add_nc_u32_e32 v36, v0, v36
                                        ; implicit-def: $vgpr0
	s_delay_alu instid0(VALU_DEP_2)
	v_cmpx_ne_u32_e32 0, v31
	s_xor_b32 s13, exec_lo, s13
; %bb.4884:                             ;   in Loop: Header=BB6_4246 Depth=3
	s_delay_alu instid0(VALU_DEP_2) | instskip(SKIP_1) | instid1(VALU_DEP_1)
	v_cmp_lt_u64_e32 vcc_lo, 0xffffff, v[36:37]
	v_add_nc_u32_e32 v0, 7, v39
	v_cndmask_b32_e32 v0, v31, v0, vcc_lo
	v_cndmask_b32_e64 v31, 0, 1, vcc_lo
	s_delay_alu instid0(VALU_DEP_1)
	v_lshrrev_b64 v[36:37], v31, v[36:37]
; %bb.4885:                             ;   in Loop: Header=BB6_4246 Depth=3
	s_and_not1_saveexec_b32 s13, s13
; %bb.4886:                             ;   in Loop: Header=BB6_4246 Depth=3
	s_delay_alu instid0(VALU_DEP_1)
	v_bfe_u32 v0, v36, 23, 1
; %bb.4887:                             ;   in Loop: Header=BB6_4246 Depth=3
	s_or_b32 exec_lo, exec_lo, s13
	s_delay_alu instid0(VALU_DEP_2) | instskip(NEXT) | instid1(VALU_DEP_2)
	v_lshrrev_b64 v[36:37], 20, v[36:37]
	v_cmp_gt_i32_e32 vcc_lo, 16, v0
	v_min_i32_e32 v31, 15, v0
	v_cmp_eq_u32_e64 s13, 0, v0
	s_delay_alu instid0(VALU_DEP_2) | instskip(SKIP_1) | instid1(VALU_DEP_2)
	v_dual_cndmask_b32 v37, 0, v37, vcc_lo :: v_dual_lshlrev_b32 v31, 3, v31
	v_cndmask_b32_e32 v36, 7, v36, vcc_lo
	v_and_b32_e32 v31, 0xf8, v31
	s_delay_alu instid0(VALU_DEP_2) | instskip(NEXT) | instid1(VALU_DEP_2)
	v_cmp_eq_u64_e32 vcc_lo, 0, v[36:37]
	v_and_or_b32 v0, v36, 7, v31
	s_and_b32 s13, s13, vcc_lo
	s_delay_alu instid0(VALU_DEP_1) | instid1(SALU_CYCLE_1)
	v_cndmask_b32_e64 v0, v0, 0, s13
	s_delay_alu instid0(VALU_DEP_1)
	v_or_b32_e32 v31, v0, v1
.LBB6_4888:                             ;   in Loop: Header=BB6_4246 Depth=3
	s_or_b32 exec_lo, exec_lo, s74
                                        ; implicit-def: $vgpr1
.LBB6_4889:                             ;   in Loop: Header=BB6_4246 Depth=3
	s_and_not1_saveexec_b32 s13, s45
; %bb.4890:                             ;   in Loop: Header=BB6_4246 Depth=3
	v_or_b32_e32 v31, 0x7e, v1
; %bb.4891:                             ;   in Loop: Header=BB6_4246 Depth=3
	s_or_b32 exec_lo, exec_lo, s13
                                        ; implicit-def: $vgpr1
.LBB6_4892:                             ;   in Loop: Header=BB6_4246 Depth=3
	s_and_not1_saveexec_b32 s13, s44
; %bb.4893:                             ;   in Loop: Header=BB6_4246 Depth=3
	v_or_b32_e32 v31, 0x7f, v1
; %bb.4894:                             ;   in Loop: Header=BB6_4246 Depth=3
	s_or_b32 exec_lo, exec_lo, s13
	v_lshrrev_b16 v0, 8, v2
	v_dual_mov_b32 v1, 0 :: v_dual_mov_b32 v38, 0
	s_mov_b32 s13, exec_lo
	s_delay_alu instid0(VALU_DEP_2)
	v_cmpx_ne_u16_e32 0, v0
	s_cbranch_execz .LBB6_4902
; %bb.4895:                             ;   in Loop: Header=BB6_4246 Depth=3
	v_bfrev_b32_e32 v38, 1
	s_mov_b32 s44, exec_lo
	v_cmpx_ne_u16_e32 0x80, v0
	s_cbranch_execz .LBB6_4901
; %bb.4896:                             ;   in Loop: Header=BB6_4246 Depth=3
	v_and_b32_e32 v0, 0xffff, v0
	v_mov_b32_e32 v38, 0x7f800001
	s_mov_b32 s45, exec_lo
	s_delay_alu instid0(VALU_DEP_2) | instskip(NEXT) | instid1(VALU_DEP_1)
	v_and_b32_e32 v39, 0x7f, v0
	v_cmpx_ne_u32_e32 0x7f, v39
	s_cbranch_execz .LBB6_4900
; %bb.4897:                             ;   in Loop: Header=BB6_4246 Depth=3
	v_dual_mov_b32 v37, v3 :: v_dual_bitop2_b32 v36, 7, v0 bitop3:0x40
	v_lshrrev_b32_e32 v0, 3, v39
	s_mov_b32 s74, exec_lo
	v_cmpx_gt_u32_e32 8, v39
; %bb.4898:                             ;   in Loop: Header=BB6_4246 Depth=3
	s_delay_alu instid0(VALU_DEP_3) | instskip(NEXT) | instid1(VALU_DEP_1)
	v_clz_i32_u32_e32 v0, v36
	v_min_u32_e32 v0, 32, v0
	s_delay_alu instid0(VALU_DEP_1) | instskip(SKIP_1) | instid1(VALU_DEP_2)
	v_subrev_nc_u32_e32 v38, 28, v0
	v_sub_nc_u32_e32 v0, 29, v0
	v_lshlrev_b64_e32 v[36:37], v38, v[36:37]
	s_delay_alu instid0(VALU_DEP_1)
	v_and_b32_e32 v36, 7, v36
; %bb.4899:                             ;   in Loop: Header=BB6_4246 Depth=3
	s_or_b32 exec_lo, exec_lo, s74
	s_delay_alu instid0(VALU_DEP_1) | instskip(SKIP_1) | instid1(VALU_DEP_2)
	v_dual_lshlrev_b32 v2, 16, v2 :: v_dual_lshlrev_b32 v36, 20, v36
	v_lshl_add_u32 v0, v0, 23, 0x3c000000
	v_and_b32_e32 v2, 0x80000000, v2
	s_delay_alu instid0(VALU_DEP_1)
	v_or3_b32 v38, v36, v2, v0
.LBB6_4900:                             ;   in Loop: Header=BB6_4246 Depth=3
	s_or_b32 exec_lo, exec_lo, s45
.LBB6_4901:                             ;   in Loop: Header=BB6_4246 Depth=3
	s_delay_alu instid0(SALU_CYCLE_1)
	s_or_b32 exec_lo, exec_lo, s44
.LBB6_4902:                             ;   in Loop: Header=BB6_4246 Depth=3
	s_delay_alu instid0(SALU_CYCLE_1) | instskip(SKIP_2) | instid1(VALU_DEP_1)
	s_or_b32 exec_lo, exec_lo, s13
	v_lshrrev_b16 v0, 8, v25
	s_mov_b32 s13, exec_lo
	v_cmpx_ne_u16_e32 0, v0
	s_cbranch_execz .LBB6_4910
; %bb.4903:                             ;   in Loop: Header=BB6_4246 Depth=3
	v_bfrev_b32_e32 v1, 1
	s_mov_b32 s44, exec_lo
	v_cmpx_ne_u16_e32 0x80, v0
	s_cbranch_execz .LBB6_4909
; %bb.4904:                             ;   in Loop: Header=BB6_4246 Depth=3
	v_and_b32_e32 v0, 0xffff, v0
	v_mov_b32_e32 v1, 0x7f800001
	s_mov_b32 s45, exec_lo
	s_delay_alu instid0(VALU_DEP_2) | instskip(NEXT) | instid1(VALU_DEP_1)
	v_and_b32_e32 v36, 0x7f, v0
	v_cmpx_ne_u32_e32 0x7f, v36
	s_cbranch_execz .LBB6_4908
; %bb.4905:                             ;   in Loop: Header=BB6_4246 Depth=3
	v_and_b32_e32 v2, 7, v0
	v_lshrrev_b32_e32 v0, 3, v36
	v_cmp_gt_u32_e32 vcc_lo, 8, v36
	s_delay_alu instid0(VALU_DEP_3)
	v_mov_b64_e32 v[36:37], v[2:3]
	s_and_saveexec_b32 s74, vcc_lo
; %bb.4906:                             ;   in Loop: Header=BB6_4246 Depth=3
	v_clz_i32_u32_e32 v0, v2
	s_delay_alu instid0(VALU_DEP_1) | instskip(NEXT) | instid1(VALU_DEP_1)
	v_min_u32_e32 v0, 32, v0
	v_subrev_nc_u32_e32 v1, 28, v0
	v_sub_nc_u32_e32 v0, 29, v0
	s_delay_alu instid0(VALU_DEP_2) | instskip(NEXT) | instid1(VALU_DEP_1)
	v_lshlrev_b64_e32 v[36:37], v1, v[2:3]
	v_and_b32_e32 v36, 7, v36
; %bb.4907:                             ;   in Loop: Header=BB6_4246 Depth=3
	s_or_b32 exec_lo, exec_lo, s74
	s_delay_alu instid0(VALU_DEP_1) | instskip(SKIP_1) | instid1(VALU_DEP_2)
	v_dual_lshlrev_b32 v1, 16, v25 :: v_dual_lshlrev_b32 v2, 20, v36
	v_lshl_add_u32 v0, v0, 23, 0x3c000000
	v_and_b32_e32 v1, 0x80000000, v1
	s_delay_alu instid0(VALU_DEP_1)
	v_or3_b32 v1, v2, v1, v0
.LBB6_4908:                             ;   in Loop: Header=BB6_4246 Depth=3
	s_or_b32 exec_lo, exec_lo, s45
.LBB6_4909:                             ;   in Loop: Header=BB6_4246 Depth=3
	s_delay_alu instid0(SALU_CYCLE_1)
	s_or_b32 exec_lo, exec_lo, s44
.LBB6_4910:                             ;   in Loop: Header=BB6_4246 Depth=3
	s_delay_alu instid0(SALU_CYCLE_1) | instskip(NEXT) | instid1(VALU_DEP_1)
	s_or_b32 exec_lo, exec_lo, s13
	v_add_f32_e32 v0, v38, v1
                                        ; implicit-def: $vgpr1
	s_mov_b32 s13, exec_lo
	s_delay_alu instid0(VALU_DEP_1) | instskip(SKIP_1) | instid1(VALU_DEP_2)
	v_and_b32_e32 v2, 0x7f800000, v0
	v_lshrrev_b32_e32 v36, 24, v0
	v_cmpx_ne_u64_e32 0x7f800000, v[2:3]
	s_xor_b32 s44, exec_lo, s13
	s_cbranch_execz .LBB6_4924
; %bb.4911:                             ;   in Loop: Header=BB6_4246 Depth=3
	v_and_b32_e32 v2, 0x7fffffff, v0
	v_and_b32_e32 v53, 0x80, v36
                                        ; implicit-def: $vgpr1
	s_mov_b32 s13, exec_lo
	s_delay_alu instid0(VALU_DEP_2)
	v_cmpx_gt_u64_e32 0x43e00001, v[2:3]
	s_xor_b32 s45, exec_lo, s13
	s_cbranch_execz .LBB6_4921
; %bb.4912:                             ;   in Loop: Header=BB6_4246 Depth=3
	v_mov_b32_e32 v1, 0
	s_mov_b32 s74, exec_lo
	v_cmpx_ne_u32_e32 0, v0
	s_cbranch_execz .LBB6_4920
; %bb.4913:                             ;   in Loop: Header=BB6_4246 Depth=3
	v_bfe_u32 v1, v0, 23, 8
	v_and_b32_e32 v2, 0x7fffff, v0
	s_delay_alu instid0(VALU_DEP_2) | instskip(SKIP_2) | instid1(VALU_DEP_4)
	v_cmp_gt_u32_e64 s13, 0x7a, v1
	v_sub_nc_u32_e32 v0, 0x79, v1
	v_cmp_eq_u32_e32 vcc_lo, 0, v1
	v_or_b32_e32 v36, 0x800000, v2
	s_delay_alu instid0(VALU_DEP_1) | instskip(NEXT) | instid1(VALU_DEP_1)
	v_dual_cndmask_b32 v0, 0, v0, s13 :: v_dual_cndmask_b32 v2, v36, v2, vcc_lo
	v_cndmask_b32_e64 v0, v0, 0x78, vcc_lo
	s_delay_alu instid0(VALU_DEP_1) | instskip(NEXT) | instid1(VALU_DEP_1)
	v_dual_add_nc_u32 v36, 20, v0 :: v_dual_add_nc_u32 v38, 19, v0
	v_lshlrev_b64_e64 v[36:37], v36, -1
	s_delay_alu instid0(VALU_DEP_2) | instskip(NEXT) | instid1(VALU_DEP_2)
	v_lshlrev_b64_e64 v[38:39], v38, 1
	v_bfi_b32 v37, v37, 0, 0
	s_delay_alu instid0(VALU_DEP_3) | instskip(NEXT) | instid1(VALU_DEP_1)
	v_bfi_b32 v36, v36, 0, v2
	v_cmp_eq_u64_e64 s13, v[36:37], v[38:39]
	v_lshrrev_b64 v[36:37], v0, v[2:3]
	s_delay_alu instid0(VALU_DEP_1)
	v_mov_b64_e32 v[38:39], v[36:37]
	s_and_saveexec_b32 s75, s13
; %bb.4914:                             ;   in Loop: Header=BB6_4246 Depth=3
	v_bfe_u32 v2, v36, 20, 1
	s_delay_alu instid0(VALU_DEP_1) | instskip(NEXT) | instid1(VALU_DEP_1)
	v_add_nc_u64_e32 v[38:39], v[36:37], v[2:3]
	v_add_nc_u64_e32 v[38:39], -1, v[38:39]
; %bb.4915:                             ;   in Loop: Header=BB6_4246 Depth=3
	s_or_b32 exec_lo, exec_lo, s75
	v_add_nc_u32_e32 v1, 0xffffff81, v1
	v_lshrrev_b32_e32 v2, 23, v36
	s_mov_b32 s13, exec_lo
	s_delay_alu instid0(VALU_DEP_2) | instskip(NEXT) | instid1(VALU_DEP_1)
	v_cndmask_b32_e64 v1, v1, 0xffffff82, vcc_lo
	v_add3_u32 v39, v0, v1, v2
	v_and_b32_e32 v0, 0xfffff, v38
	s_delay_alu instid0(VALU_DEP_1) | instskip(NEXT) | instid1(VALU_DEP_1)
	v_dual_add_nc_u32 v1, 6, v39 :: v_dual_add_nc_u32 v2, v0, v36
                                        ; implicit-def: $vgpr36_vgpr37
                                        ; implicit-def: $vgpr0
	v_cmpx_ne_u32_e32 0, v1
	s_xor_b32 s13, exec_lo, s13
; %bb.4916:                             ;   in Loop: Header=BB6_4246 Depth=3
	s_delay_alu instid0(VALU_DEP_2) | instskip(SKIP_1) | instid1(VALU_DEP_1)
	v_cmp_lt_u64_e32 vcc_lo, 0xffffff, v[2:3]
	v_add_nc_u32_e32 v0, 7, v39
	v_cndmask_b32_e32 v0, v1, v0, vcc_lo
	v_cndmask_b32_e64 v1, 0, 1, vcc_lo
	s_delay_alu instid0(VALU_DEP_1)
	v_lshrrev_b64 v[36:37], v1, v[2:3]
; %bb.4917:                             ;   in Loop: Header=BB6_4246 Depth=3
	s_and_not1_saveexec_b32 s13, s13
; %bb.4918:                             ;   in Loop: Header=BB6_4246 Depth=3
	v_mov_b64_e32 v[36:37], v[2:3]
	v_bfe_u32 v0, v2, 23, 1
; %bb.4919:                             ;   in Loop: Header=BB6_4246 Depth=3
	s_or_b32 exec_lo, exec_lo, s13
	s_delay_alu instid0(VALU_DEP_2) | instskip(NEXT) | instid1(VALU_DEP_2)
	v_lshrrev_b64 v[36:37], 20, v[36:37]
	v_cmp_gt_i32_e32 vcc_lo, 16, v0
	v_min_i32_e32 v1, 15, v0
	v_cmp_eq_u32_e64 s13, 0, v0
	s_delay_alu instid0(VALU_DEP_4) | instskip(NEXT) | instid1(VALU_DEP_3)
	v_cndmask_b32_e32 v37, 0, v37, vcc_lo
	v_dual_cndmask_b32 v36, 7, v36 :: v_dual_lshlrev_b32 v1, 3, v1
	s_delay_alu instid0(VALU_DEP_1) | instskip(NEXT) | instid1(VALU_DEP_2)
	v_and_b32_e32 v1, 0xf8, v1
	v_cmp_eq_u64_e32 vcc_lo, 0, v[36:37]
	s_delay_alu instid0(VALU_DEP_2)
	v_and_or_b32 v0, v36, 7, v1
	s_and_b32 s13, s13, vcc_lo
	s_delay_alu instid0(VALU_DEP_1) | instid1(SALU_CYCLE_1)
	v_cndmask_b32_e64 v0, v0, 0, s13
	s_delay_alu instid0(VALU_DEP_1)
	v_or_b32_e32 v1, v0, v53
.LBB6_4920:                             ;   in Loop: Header=BB6_4246 Depth=3
	s_or_b32 exec_lo, exec_lo, s74
                                        ; implicit-def: $vgpr53
.LBB6_4921:                             ;   in Loop: Header=BB6_4246 Depth=3
	s_and_not1_saveexec_b32 s13, s45
; %bb.4922:                             ;   in Loop: Header=BB6_4246 Depth=3
	v_or_b32_e32 v1, 0x7e, v53
; %bb.4923:                             ;   in Loop: Header=BB6_4246 Depth=3
	s_or_b32 exec_lo, exec_lo, s13
                                        ; implicit-def: $vgpr36
.LBB6_4924:                             ;   in Loop: Header=BB6_4246 Depth=3
	s_and_not1_saveexec_b32 s13, s44
; %bb.4925:                             ;   in Loop: Header=BB6_4246 Depth=3
	v_or_b32_e32 v1, 0x7f, v36
; %bb.4926:                             ;   in Loop: Header=BB6_4246 Depth=3
	s_or_b32 exec_lo, exec_lo, s13
	v_dual_lshrrev_b32 v0, 16, v33 :: v_dual_mov_b32 v38, 0
	v_mov_b32_e32 v39, 0
	s_mov_b32 s13, exec_lo
	s_delay_alu instid0(VALU_DEP_2) | instskip(NEXT) | instid1(VALU_DEP_1)
	v_and_b32_e32 v2, 0xff, v0
	v_cmpx_ne_u16_e32 0, v2
	s_cbranch_execz .LBB6_4934
; %bb.4927:                             ;   in Loop: Header=BB6_4246 Depth=3
	v_bfrev_b32_e32 v39, 1
	s_mov_b32 s44, exec_lo
	v_cmpx_ne_u16_e32 0x80, v2
	s_cbranch_execz .LBB6_4933
; %bb.4928:                             ;   in Loop: Header=BB6_4246 Depth=3
	v_bfe_u32 v36, v33, 16, 7
	v_mov_b32_e32 v39, 0x7f800001
	s_mov_b32 s45, exec_lo
	s_delay_alu instid0(VALU_DEP_2)
	v_cmpx_ne_u32_e32 0x7f, v36
	s_cbranch_execz .LBB6_4932
; %bb.4929:                             ;   in Loop: Header=BB6_4246 Depth=3
	v_and_b32_e32 v2, 7, v0
	v_lshrrev_b32_e32 v39, 3, v36
	v_cmp_gt_u32_e32 vcc_lo, 8, v36
	s_delay_alu instid0(VALU_DEP_3)
	v_mov_b64_e32 v[36:37], v[2:3]
	s_and_saveexec_b32 s74, vcc_lo
; %bb.4930:                             ;   in Loop: Header=BB6_4246 Depth=3
	v_clz_i32_u32_e32 v36, v2
	s_delay_alu instid0(VALU_DEP_1) | instskip(NEXT) | instid1(VALU_DEP_1)
	v_min_u32_e32 v39, 32, v36
	v_subrev_nc_u32_e32 v36, 28, v39
	s_delay_alu instid0(VALU_DEP_1) | instskip(NEXT) | instid1(VALU_DEP_1)
	v_lshlrev_b64_e32 v[36:37], v36, v[2:3]
	v_dual_sub_nc_u32 v39, 29, v39 :: v_dual_bitop2_b32 v36, 7, v36 bitop3:0x40
; %bb.4931:                             ;   in Loop: Header=BB6_4246 Depth=3
	s_or_b32 exec_lo, exec_lo, s74
	v_lshlrev_b32_e32 v0, 24, v0
	s_delay_alu instid0(VALU_DEP_2) | instskip(NEXT) | instid1(VALU_DEP_3)
	v_lshlrev_b32_e32 v2, 20, v36
	v_lshl_add_u32 v36, v39, 23, 0x3c000000
	s_delay_alu instid0(VALU_DEP_3) | instskip(NEXT) | instid1(VALU_DEP_1)
	v_and_b32_e32 v0, 0x80000000, v0
	v_or3_b32 v39, v2, v0, v36
.LBB6_4932:                             ;   in Loop: Header=BB6_4246 Depth=3
	s_or_b32 exec_lo, exec_lo, s45
.LBB6_4933:                             ;   in Loop: Header=BB6_4246 Depth=3
	s_delay_alu instid0(SALU_CYCLE_1)
	s_or_b32 exec_lo, exec_lo, s44
.LBB6_4934:                             ;   in Loop: Header=BB6_4246 Depth=3
	s_delay_alu instid0(SALU_CYCLE_1) | instskip(SKIP_2) | instid1(VALU_DEP_1)
	s_or_b32 exec_lo, exec_lo, s13
	v_lshrrev_b32_e32 v0, 16, v25
	s_mov_b32 s13, exec_lo
	v_and_b32_e32 v2, 0xff, v0
	s_delay_alu instid0(VALU_DEP_1)
	v_cmpx_ne_u16_e32 0, v2
	s_cbranch_execz .LBB6_4942
; %bb.4935:                             ;   in Loop: Header=BB6_4246 Depth=3
	v_bfrev_b32_e32 v38, 1
	s_mov_b32 s44, exec_lo
	v_cmpx_ne_u16_e32 0x80, v2
	s_cbranch_execz .LBB6_4941
; %bb.4936:                             ;   in Loop: Header=BB6_4246 Depth=3
	v_bfe_u32 v36, v25, 16, 7
	v_mov_b32_e32 v38, 0x7f800001
	s_mov_b32 s45, exec_lo
	s_delay_alu instid0(VALU_DEP_2)
	v_cmpx_ne_u32_e32 0x7f, v36
	s_cbranch_execz .LBB6_4940
; %bb.4937:                             ;   in Loop: Header=BB6_4246 Depth=3
	v_and_b32_e32 v2, 7, v0
	v_lshrrev_b32_e32 v0, 3, v36
	v_cmp_gt_u32_e32 vcc_lo, 8, v36
	s_delay_alu instid0(VALU_DEP_3)
	v_mov_b64_e32 v[36:37], v[2:3]
	s_and_saveexec_b32 s74, vcc_lo
; %bb.4938:                             ;   in Loop: Header=BB6_4246 Depth=3
	v_clz_i32_u32_e32 v0, v2
	s_delay_alu instid0(VALU_DEP_1) | instskip(NEXT) | instid1(VALU_DEP_1)
	v_min_u32_e32 v0, 32, v0
	v_subrev_nc_u32_e32 v36, 28, v0
	v_sub_nc_u32_e32 v0, 29, v0
	s_delay_alu instid0(VALU_DEP_2) | instskip(NEXT) | instid1(VALU_DEP_1)
	v_lshlrev_b64_e32 v[36:37], v36, v[2:3]
	v_and_b32_e32 v36, 7, v36
; %bb.4939:                             ;   in Loop: Header=BB6_4246 Depth=3
	s_or_b32 exec_lo, exec_lo, s74
	s_delay_alu instid0(VALU_DEP_1) | instskip(SKIP_1) | instid1(VALU_DEP_2)
	v_dual_lshlrev_b32 v2, 8, v25 :: v_dual_lshlrev_b32 v36, 20, v36
	v_lshl_add_u32 v0, v0, 23, 0x3c000000
	v_and_b32_e32 v2, 0x80000000, v2
	s_delay_alu instid0(VALU_DEP_1)
	v_or3_b32 v38, v36, v2, v0
.LBB6_4940:                             ;   in Loop: Header=BB6_4246 Depth=3
	s_or_b32 exec_lo, exec_lo, s45
.LBB6_4941:                             ;   in Loop: Header=BB6_4246 Depth=3
	s_delay_alu instid0(SALU_CYCLE_1)
	s_or_b32 exec_lo, exec_lo, s44
.LBB6_4942:                             ;   in Loop: Header=BB6_4246 Depth=3
	s_delay_alu instid0(SALU_CYCLE_1) | instskip(NEXT) | instid1(VALU_DEP_1)
	s_or_b32 exec_lo, exec_lo, s13
	v_add_f32_e32 v0, v39, v38
                                        ; implicit-def: $vgpr36
	s_mov_b32 s13, exec_lo
	s_delay_alu instid0(VALU_DEP_1) | instskip(SKIP_1) | instid1(VALU_DEP_2)
	v_and_b32_e32 v2, 0x7f800000, v0
	v_lshrrev_b32_e32 v37, 24, v0
	v_cmpx_ne_u64_e32 0x7f800000, v[2:3]
	s_xor_b32 s44, exec_lo, s13
	s_cbranch_execz .LBB6_4956
; %bb.4943:                             ;   in Loop: Header=BB6_4246 Depth=3
	v_and_b32_e32 v2, 0x7fffffff, v0
	v_and_b32_e32 v53, 0x80, v37
                                        ; implicit-def: $vgpr36
	s_mov_b32 s13, exec_lo
	s_delay_alu instid0(VALU_DEP_2)
	v_cmpx_gt_u64_e32 0x43e00001, v[2:3]
	s_xor_b32 s45, exec_lo, s13
	s_cbranch_execz .LBB6_4953
; %bb.4944:                             ;   in Loop: Header=BB6_4246 Depth=3
	v_mov_b32_e32 v36, 0
	s_mov_b32 s74, exec_lo
	v_cmpx_ne_u32_e32 0, v0
	s_cbranch_execz .LBB6_4952
; %bb.4945:                             ;   in Loop: Header=BB6_4246 Depth=3
	v_bfe_u32 v66, v0, 23, 8
	v_and_b32_e32 v2, 0x7fffff, v0
	s_delay_alu instid0(VALU_DEP_2) | instskip(SKIP_2) | instid1(VALU_DEP_4)
	v_cmp_gt_u32_e64 s13, 0x7a, v66
	v_sub_nc_u32_e32 v0, 0x79, v66
	v_cmp_eq_u32_e32 vcc_lo, 0, v66
	v_or_b32_e32 v36, 0x800000, v2
	s_delay_alu instid0(VALU_DEP_1) | instskip(NEXT) | instid1(VALU_DEP_1)
	v_dual_cndmask_b32 v0, 0, v0, s13 :: v_dual_cndmask_b32 v2, v36, v2, vcc_lo
	v_cndmask_b32_e64 v0, v0, 0x78, vcc_lo
	s_delay_alu instid0(VALU_DEP_1) | instskip(NEXT) | instid1(VALU_DEP_1)
	v_dual_add_nc_u32 v36, 20, v0 :: v_dual_add_nc_u32 v38, 19, v0
	v_lshlrev_b64_e64 v[36:37], v36, -1
	s_delay_alu instid0(VALU_DEP_2) | instskip(NEXT) | instid1(VALU_DEP_2)
	v_lshlrev_b64_e64 v[38:39], v38, 1
	v_bfi_b32 v37, v37, 0, 0
	s_delay_alu instid0(VALU_DEP_3) | instskip(NEXT) | instid1(VALU_DEP_1)
	v_bfi_b32 v36, v36, 0, v2
	v_cmp_eq_u64_e64 s13, v[36:37], v[38:39]
	v_lshrrev_b64 v[36:37], v0, v[2:3]
	s_delay_alu instid0(VALU_DEP_1)
	v_mov_b64_e32 v[38:39], v[36:37]
	s_and_saveexec_b32 s75, s13
; %bb.4946:                             ;   in Loop: Header=BB6_4246 Depth=3
	v_bfe_u32 v2, v36, 20, 1
	s_delay_alu instid0(VALU_DEP_1) | instskip(NEXT) | instid1(VALU_DEP_1)
	v_add_nc_u64_e32 v[38:39], v[36:37], v[2:3]
	v_add_nc_u64_e32 v[38:39], -1, v[38:39]
; %bb.4947:                             ;   in Loop: Header=BB6_4246 Depth=3
	s_or_b32 exec_lo, exec_lo, s75
	v_add_nc_u32_e32 v2, 0xffffff81, v66
	v_lshrrev_b32_e32 v37, 23, v36
	s_mov_b32 s13, exec_lo
	s_delay_alu instid0(VALU_DEP_2) | instskip(NEXT) | instid1(VALU_DEP_1)
	v_cndmask_b32_e64 v2, v2, 0xffffff82, vcc_lo
	v_add3_u32 v39, v0, v2, v37
	v_and_b32_e32 v0, 0xfffff, v38
	s_delay_alu instid0(VALU_DEP_1) | instskip(NEXT) | instid1(VALU_DEP_1)
	v_dual_add_nc_u32 v38, 6, v39 :: v_dual_add_nc_u32 v2, v0, v36
                                        ; implicit-def: $vgpr36_vgpr37
                                        ; implicit-def: $vgpr0
	v_cmpx_ne_u32_e32 0, v38
	s_xor_b32 s13, exec_lo, s13
; %bb.4948:                             ;   in Loop: Header=BB6_4246 Depth=3
	s_delay_alu instid0(VALU_DEP_2) | instskip(SKIP_2) | instid1(VALU_DEP_2)
	v_cmp_lt_u64_e32 vcc_lo, 0xffffff, v[2:3]
	v_add_nc_u32_e32 v0, 7, v39
	v_cndmask_b32_e64 v36, 0, 1, vcc_lo
	v_cndmask_b32_e32 v0, v38, v0, vcc_lo
	s_delay_alu instid0(VALU_DEP_2)
	v_lshrrev_b64 v[36:37], v36, v[2:3]
; %bb.4949:                             ;   in Loop: Header=BB6_4246 Depth=3
	s_and_not1_saveexec_b32 s13, s13
; %bb.4950:                             ;   in Loop: Header=BB6_4246 Depth=3
	v_mov_b64_e32 v[36:37], v[2:3]
	v_bfe_u32 v0, v2, 23, 1
; %bb.4951:                             ;   in Loop: Header=BB6_4246 Depth=3
	s_or_b32 exec_lo, exec_lo, s13
	s_delay_alu instid0(VALU_DEP_2) | instskip(NEXT) | instid1(VALU_DEP_2)
	v_lshrrev_b64 v[36:37], 20, v[36:37]
	v_cmp_gt_i32_e32 vcc_lo, 16, v0
	v_min_i32_e32 v2, 15, v0
	v_cmp_eq_u32_e64 s13, 0, v0
	s_delay_alu instid0(VALU_DEP_2) | instskip(SKIP_1) | instid1(VALU_DEP_2)
	v_dual_cndmask_b32 v37, 0, v37 :: v_dual_lshlrev_b32 v2, 3, v2
	v_cndmask_b32_e32 v36, 7, v36, vcc_lo
	v_and_b32_e32 v2, 0xf8, v2
	s_delay_alu instid0(VALU_DEP_2) | instskip(NEXT) | instid1(VALU_DEP_2)
	v_cmp_eq_u64_e32 vcc_lo, 0, v[36:37]
	v_and_or_b32 v0, v36, 7, v2
	s_and_b32 s13, s13, vcc_lo
	s_delay_alu instid0(VALU_DEP_1) | instid1(SALU_CYCLE_1)
	v_cndmask_b32_e64 v0, v0, 0, s13
	s_delay_alu instid0(VALU_DEP_1)
	v_or_b32_e32 v36, v0, v53
.LBB6_4952:                             ;   in Loop: Header=BB6_4246 Depth=3
	s_or_b32 exec_lo, exec_lo, s74
                                        ; implicit-def: $vgpr53
.LBB6_4953:                             ;   in Loop: Header=BB6_4246 Depth=3
	s_and_not1_saveexec_b32 s13, s45
; %bb.4954:                             ;   in Loop: Header=BB6_4246 Depth=3
	v_or_b32_e32 v36, 0x7e, v53
; %bb.4955:                             ;   in Loop: Header=BB6_4246 Depth=3
	s_or_b32 exec_lo, exec_lo, s13
                                        ; implicit-def: $vgpr37
.LBB6_4956:                             ;   in Loop: Header=BB6_4246 Depth=3
	s_and_not1_saveexec_b32 s13, s44
; %bb.4957:                             ;   in Loop: Header=BB6_4246 Depth=3
	v_or_b32_e32 v36, 0x7f, v37
; %bb.4958:                             ;   in Loop: Header=BB6_4246 Depth=3
	s_or_b32 exec_lo, exec_lo, s13
	v_cmp_lt_u64_e32 vcc_lo, s[22:23], v[32:33]
	v_dual_mov_b32 v37, 0 :: v_dual_mov_b32 v32, 0
	s_and_saveexec_b32 s13, vcc_lo
	s_cbranch_execz .LBB6_4966
; %bb.4959:                             ;   in Loop: Header=BB6_4246 Depth=3
	v_lshrrev_b32_e32 v0, 24, v33
	v_bfrev_b32_e32 v32, 1
	s_mov_b32 s44, exec_lo
	s_delay_alu instid0(VALU_DEP_2)
	v_cmpx_ne_u32_e32 0x80, v0
	s_cbranch_execz .LBB6_4965
; %bb.4960:                             ;   in Loop: Header=BB6_4246 Depth=3
	v_bfe_u32 v33, v33, 24, 7
	v_mov_b32_e32 v32, 0x7f800001
	s_mov_b32 s45, exec_lo
	s_delay_alu instid0(VALU_DEP_2)
	v_cmpx_ne_u32_e32 0x7f, v33
	s_cbranch_execz .LBB6_4964
; %bb.4961:                             ;   in Loop: Header=BB6_4246 Depth=3
	v_dual_lshrrev_b32 v38, 3, v33 :: v_dual_bitop2_b32 v2, 7, v0 bitop3:0x40
	v_cmp_gt_u32_e32 vcc_lo, 8, v33
	s_delay_alu instid0(VALU_DEP_2)
	v_mov_b64_e32 v[32:33], v[2:3]
	s_and_saveexec_b32 s74, vcc_lo
; %bb.4962:                             ;   in Loop: Header=BB6_4246 Depth=3
	v_clz_i32_u32_e32 v32, v2
	s_delay_alu instid0(VALU_DEP_1) | instskip(NEXT) | instid1(VALU_DEP_1)
	v_min_u32_e32 v38, 32, v32
	v_subrev_nc_u32_e32 v32, 28, v38
	s_delay_alu instid0(VALU_DEP_1) | instskip(NEXT) | instid1(VALU_DEP_1)
	v_lshlrev_b64_e32 v[32:33], v32, v[2:3]
	v_dual_sub_nc_u32 v38, 29, v38 :: v_dual_bitop2_b32 v32, 7, v32 bitop3:0x40
; %bb.4963:                             ;   in Loop: Header=BB6_4246 Depth=3
	s_or_b32 exec_lo, exec_lo, s74
	v_lshlrev_b32_e32 v0, 24, v0
	s_delay_alu instid0(VALU_DEP_2) | instskip(NEXT) | instid1(VALU_DEP_3)
	v_lshlrev_b32_e32 v2, 20, v32
	v_lshl_add_u32 v32, v38, 23, 0x3c000000
	s_delay_alu instid0(VALU_DEP_3) | instskip(NEXT) | instid1(VALU_DEP_1)
	v_and_b32_e32 v0, 0x80000000, v0
	v_or3_b32 v32, v2, v0, v32
.LBB6_4964:                             ;   in Loop: Header=BB6_4246 Depth=3
	s_or_b32 exec_lo, exec_lo, s45
.LBB6_4965:                             ;   in Loop: Header=BB6_4246 Depth=3
	s_delay_alu instid0(SALU_CYCLE_1)
	s_or_b32 exec_lo, exec_lo, s44
.LBB6_4966:                             ;   in Loop: Header=BB6_4246 Depth=3
	s_delay_alu instid0(SALU_CYCLE_1) | instskip(NEXT) | instid1(SALU_CYCLE_1)
	s_or_b32 exec_lo, exec_lo, s13
	s_mov_b32 s13, exec_lo
	v_cmpx_lt_u64_e64 s[22:23], v[24:25]
	s_cbranch_execz .LBB6_4974
; %bb.4967:                             ;   in Loop: Header=BB6_4246 Depth=3
	v_lshrrev_b32_e32 v0, 24, v25
	v_bfrev_b32_e32 v37, 1
	s_mov_b32 s44, exec_lo
	s_delay_alu instid0(VALU_DEP_2)
	v_cmpx_ne_u32_e32 0x80, v0
	s_cbranch_execz .LBB6_4973
; %bb.4968:                             ;   in Loop: Header=BB6_4246 Depth=3
	v_bfe_u32 v24, v25, 24, 7
	v_mov_b32_e32 v37, 0x7f800001
	s_mov_b32 s45, exec_lo
	s_delay_alu instid0(VALU_DEP_2)
	v_cmpx_ne_u32_e32 0x7f, v24
	s_cbranch_execz .LBB6_4972
; %bb.4969:                             ;   in Loop: Header=BB6_4246 Depth=3
	v_and_b32_e32 v2, 7, v0
	v_lshrrev_b32_e32 v33, 3, v24
	v_cmp_gt_u32_e32 vcc_lo, 8, v24
	s_delay_alu instid0(VALU_DEP_3)
	v_mov_b64_e32 v[24:25], v[2:3]
	s_and_saveexec_b32 s74, vcc_lo
; %bb.4970:                             ;   in Loop: Header=BB6_4246 Depth=3
	v_clz_i32_u32_e32 v24, v2
	s_delay_alu instid0(VALU_DEP_1) | instskip(NEXT) | instid1(VALU_DEP_1)
	v_min_u32_e32 v33, 32, v24
	v_subrev_nc_u32_e32 v24, 28, v33
	s_delay_alu instid0(VALU_DEP_1) | instskip(NEXT) | instid1(VALU_DEP_1)
	v_lshlrev_b64_e32 v[24:25], v24, v[2:3]
	v_dual_sub_nc_u32 v33, 29, v33 :: v_dual_bitop2_b32 v24, 7, v24 bitop3:0x40
; %bb.4971:                             ;   in Loop: Header=BB6_4246 Depth=3
	s_or_b32 exec_lo, exec_lo, s74
	v_lshlrev_b32_e32 v0, 24, v0
	s_delay_alu instid0(VALU_DEP_2) | instskip(NEXT) | instid1(VALU_DEP_3)
	v_lshlrev_b32_e32 v2, 20, v24
	v_lshl_add_u32 v24, v33, 23, 0x3c000000
	s_delay_alu instid0(VALU_DEP_3) | instskip(NEXT) | instid1(VALU_DEP_1)
	v_and_b32_e32 v0, 0x80000000, v0
	v_or3_b32 v37, v2, v0, v24
.LBB6_4972:                             ;   in Loop: Header=BB6_4246 Depth=3
	s_or_b32 exec_lo, exec_lo, s45
.LBB6_4973:                             ;   in Loop: Header=BB6_4246 Depth=3
	s_delay_alu instid0(SALU_CYCLE_1)
	s_or_b32 exec_lo, exec_lo, s44
.LBB6_4974:                             ;   in Loop: Header=BB6_4246 Depth=3
	s_delay_alu instid0(SALU_CYCLE_1) | instskip(NEXT) | instid1(VALU_DEP_1)
	s_or_b32 exec_lo, exec_lo, s13
	v_add_f32_e32 v0, v32, v37
                                        ; implicit-def: $vgpr37
	s_mov_b32 s13, exec_lo
	s_delay_alu instid0(VALU_DEP_1) | instskip(SKIP_1) | instid1(VALU_DEP_2)
	v_and_b32_e32 v2, 0x7f800000, v0
	v_lshrrev_b32_e32 v24, 24, v0
	v_cmpx_ne_u64_e32 0x7f800000, v[2:3]
	s_xor_b32 s44, exec_lo, s13
	s_cbranch_execz .LBB6_4988
; %bb.4975:                             ;   in Loop: Header=BB6_4246 Depth=3
	v_and_b32_e32 v2, 0x7fffffff, v0
	v_and_b32_e32 v38, 0x80, v24
                                        ; implicit-def: $vgpr37
	s_mov_b32 s13, exec_lo
	s_delay_alu instid0(VALU_DEP_2)
	v_cmpx_gt_u64_e32 0x43e00001, v[2:3]
	s_xor_b32 s45, exec_lo, s13
	s_cbranch_execz .LBB6_4985
; %bb.4976:                             ;   in Loop: Header=BB6_4246 Depth=3
	v_mov_b32_e32 v37, 0
	s_mov_b32 s74, exec_lo
	v_cmpx_ne_u32_e32 0, v0
	s_cbranch_execz .LBB6_4984
; %bb.4977:                             ;   in Loop: Header=BB6_4246 Depth=3
	v_bfe_u32 v37, v0, 23, 8
	v_and_b32_e32 v2, 0x7fffff, v0
	s_delay_alu instid0(VALU_DEP_2) | instskip(SKIP_2) | instid1(VALU_DEP_4)
	v_cmp_gt_u32_e64 s13, 0x7a, v37
	v_sub_nc_u32_e32 v0, 0x79, v37
	v_cmp_eq_u32_e32 vcc_lo, 0, v37
	v_or_b32_e32 v24, 0x800000, v2
	s_delay_alu instid0(VALU_DEP_1) | instskip(NEXT) | instid1(VALU_DEP_1)
	v_dual_cndmask_b32 v0, 0, v0, s13 :: v_dual_cndmask_b32 v2, v24, v2, vcc_lo
	v_cndmask_b32_e64 v0, v0, 0x78, vcc_lo
	s_delay_alu instid0(VALU_DEP_1) | instskip(NEXT) | instid1(VALU_DEP_1)
	v_dual_add_nc_u32 v24, 20, v0 :: v_dual_add_nc_u32 v32, 19, v0
	v_lshlrev_b64_e64 v[24:25], v24, -1
	s_delay_alu instid0(VALU_DEP_2) | instskip(NEXT) | instid1(VALU_DEP_2)
	v_lshlrev_b64_e64 v[32:33], v32, 1
	v_bfi_b32 v25, v25, 0, 0
	s_delay_alu instid0(VALU_DEP_3) | instskip(NEXT) | instid1(VALU_DEP_1)
	v_bfi_b32 v24, v24, 0, v2
	v_cmp_eq_u64_e64 s13, v[24:25], v[32:33]
	v_lshrrev_b64 v[24:25], v0, v[2:3]
	s_delay_alu instid0(VALU_DEP_1)
	v_mov_b64_e32 v[32:33], v[24:25]
	s_and_saveexec_b32 s75, s13
; %bb.4978:                             ;   in Loop: Header=BB6_4246 Depth=3
	v_bfe_u32 v2, v24, 20, 1
	s_delay_alu instid0(VALU_DEP_1) | instskip(NEXT) | instid1(VALU_DEP_1)
	v_add_nc_u64_e32 v[32:33], v[24:25], v[2:3]
	v_add_nc_u64_e32 v[32:33], -1, v[32:33]
; %bb.4979:                             ;   in Loop: Header=BB6_4246 Depth=3
	s_or_b32 exec_lo, exec_lo, s75
	v_add_nc_u32_e32 v2, 0xffffff81, v37
	v_lshrrev_b32_e32 v25, 23, v24
	s_mov_b32 s13, exec_lo
	s_delay_alu instid0(VALU_DEP_2) | instskip(NEXT) | instid1(VALU_DEP_1)
	v_cndmask_b32_e64 v2, v2, 0xffffff82, vcc_lo
	v_add3_u32 v33, v0, v2, v25
	v_and_b32_e32 v0, 0xfffff, v32
	s_delay_alu instid0(VALU_DEP_1) | instskip(NEXT) | instid1(VALU_DEP_1)
	v_dual_add_nc_u32 v32, 6, v33 :: v_dual_add_nc_u32 v2, v0, v24
                                        ; implicit-def: $vgpr24_vgpr25
                                        ; implicit-def: $vgpr0
	v_cmpx_ne_u32_e32 0, v32
	s_xor_b32 s13, exec_lo, s13
; %bb.4980:                             ;   in Loop: Header=BB6_4246 Depth=3
	s_delay_alu instid0(VALU_DEP_2) | instskip(SKIP_2) | instid1(VALU_DEP_2)
	v_cmp_lt_u64_e32 vcc_lo, 0xffffff, v[2:3]
	v_add_nc_u32_e32 v0, 7, v33
	v_cndmask_b32_e64 v24, 0, 1, vcc_lo
	v_cndmask_b32_e32 v0, v32, v0, vcc_lo
	s_delay_alu instid0(VALU_DEP_2)
	v_lshrrev_b64 v[24:25], v24, v[2:3]
; %bb.4981:                             ;   in Loop: Header=BB6_4246 Depth=3
	s_and_not1_saveexec_b32 s13, s13
; %bb.4982:                             ;   in Loop: Header=BB6_4246 Depth=3
	v_mov_b64_e32 v[24:25], v[2:3]
	v_bfe_u32 v0, v2, 23, 1
; %bb.4983:                             ;   in Loop: Header=BB6_4246 Depth=3
	s_or_b32 exec_lo, exec_lo, s13
	s_delay_alu instid0(VALU_DEP_2) | instskip(NEXT) | instid1(VALU_DEP_2)
	v_lshrrev_b64 v[24:25], 20, v[24:25]
	v_cmp_gt_i32_e32 vcc_lo, 16, v0
	v_min_i32_e32 v2, 15, v0
	v_cmp_eq_u32_e64 s13, 0, v0
	s_delay_alu instid0(VALU_DEP_2) | instskip(SKIP_1) | instid1(VALU_DEP_2)
	v_dual_cndmask_b32 v25, 0, v25 :: v_dual_lshlrev_b32 v2, 3, v2
	v_cndmask_b32_e32 v24, 7, v24, vcc_lo
	v_and_b32_e32 v2, 0xf8, v2
	s_delay_alu instid0(VALU_DEP_2) | instskip(NEXT) | instid1(VALU_DEP_2)
	v_cmp_eq_u64_e32 vcc_lo, 0, v[24:25]
	v_and_or_b32 v0, v24, 7, v2
	s_and_b32 s13, s13, vcc_lo
	s_delay_alu instid0(VALU_DEP_1) | instid1(SALU_CYCLE_1)
	v_cndmask_b32_e64 v0, v0, 0, s13
	s_delay_alu instid0(VALU_DEP_1)
	v_or_b32_e32 v37, v0, v38
.LBB6_4984:                             ;   in Loop: Header=BB6_4246 Depth=3
	s_or_b32 exec_lo, exec_lo, s74
                                        ; implicit-def: $vgpr38
.LBB6_4985:                             ;   in Loop: Header=BB6_4246 Depth=3
	s_and_not1_saveexec_b32 s13, s45
; %bb.4986:                             ;   in Loop: Header=BB6_4246 Depth=3
	v_or_b32_e32 v37, 0x7e, v38
; %bb.4987:                             ;   in Loop: Header=BB6_4246 Depth=3
	s_or_b32 exec_lo, exec_lo, s13
                                        ; implicit-def: $vgpr24
.LBB6_4988:                             ;   in Loop: Header=BB6_4246 Depth=3
	s_and_not1_saveexec_b32 s13, s44
; %bb.4989:                             ;   in Loop: Header=BB6_4246 Depth=3
	v_or_b32_e32 v37, 0x7f, v24
; %bb.4990:                             ;   in Loop: Header=BB6_4246 Depth=3
	s_or_b32 exec_lo, exec_lo, s13
	v_and_b32_e32 v0, 0xff, v34
	v_dual_mov_b32 v2, 0 :: v_dual_mov_b32 v24, 0
	s_mov_b32 s13, exec_lo
	s_delay_alu instid0(VALU_DEP_2)
	v_cmpx_ne_u16_e32 0, v0
	s_cbranch_execz .LBB6_4996
; %bb.4991:                             ;   in Loop: Header=BB6_4246 Depth=3
	v_bfrev_b32_e32 v24, 1
	s_mov_b32 s44, exec_lo
	v_cmpx_ne_u16_e32 0x80, v0
	s_cbranch_execz .LBB6_4995
; %bb.4992:                             ;   in Loop: Header=BB6_4246 Depth=3
	v_and_b32_e32 v0, 0x7f, v34
	v_mov_b32_e32 v24, 0x7f800001
	s_mov_b32 s45, exec_lo
	s_delay_alu instid0(VALU_DEP_2)
	v_cmpx_ne_u32_e32 0x7f, v0
	s_cbranch_execz .LBB6_4994
; %bb.4993:                             ;   in Loop: Header=BB6_4246 Depth=3
	v_dual_lshrrev_b32 v25, 3, v0 :: v_dual_bitop2_b32 v24, 7, v34 bitop3:0x40
	v_cmp_gt_u32_e32 vcc_lo, 8, v0
	s_delay_alu instid0(VALU_DEP_2) | instskip(NEXT) | instid1(VALU_DEP_1)
	v_clz_i32_u32_e32 v0, v24
	v_min_u32_e32 v0, 32, v0
	s_delay_alu instid0(VALU_DEP_1) | instskip(SKIP_1) | instid1(VALU_DEP_2)
	v_subrev_nc_u32_e32 v24, 28, v0
	v_sub_nc_u32_e32 v0, 29, v0
	v_cndmask_b32_e32 v24, 0, v24, vcc_lo
	s_delay_alu instid0(VALU_DEP_2) | instskip(NEXT) | instid1(VALU_DEP_2)
	v_cndmask_b32_e32 v0, v25, v0, vcc_lo
	v_lshlrev_b64_e32 v[24:25], v24, v[34:35]
	v_lshlrev_b32_e32 v25, 24, v34
	s_delay_alu instid0(VALU_DEP_3) | instskip(NEXT) | instid1(VALU_DEP_2)
	v_lshl_add_u32 v0, v0, 23, 0x3c000000
	v_and_b32_e32 v25, 0x80000000, v25
	s_delay_alu instid0(VALU_DEP_4) | instskip(NEXT) | instid1(VALU_DEP_1)
	v_lshlrev_b32_e32 v24, 20, v24
	v_and_b32_e32 v24, 0x700000, v24
	s_delay_alu instid0(VALU_DEP_1)
	v_or3_b32 v24, v24, v25, v0
.LBB6_4994:                             ;   in Loop: Header=BB6_4246 Depth=3
	s_or_b32 exec_lo, exec_lo, s45
.LBB6_4995:                             ;   in Loop: Header=BB6_4246 Depth=3
	s_delay_alu instid0(SALU_CYCLE_1)
	s_or_b32 exec_lo, exec_lo, s44
.LBB6_4996:                             ;   in Loop: Header=BB6_4246 Depth=3
	s_delay_alu instid0(SALU_CYCLE_1) | instskip(SKIP_2) | instid1(VALU_DEP_1)
	s_or_b32 exec_lo, exec_lo, s13
	v_and_b32_e32 v0, 0xff, v26
	s_mov_b32 s13, exec_lo
	v_cmpx_ne_u16_e32 0, v0
	s_cbranch_execz .LBB6_5002
; %bb.4997:                             ;   in Loop: Header=BB6_4246 Depth=3
	v_bfrev_b32_e32 v2, 1
	s_mov_b32 s44, exec_lo
	v_cmpx_ne_u16_e32 0x80, v0
	s_cbranch_execz .LBB6_5001
; %bb.4998:                             ;   in Loop: Header=BB6_4246 Depth=3
	v_and_b32_e32 v0, 0x7f, v26
	v_mov_b32_e32 v2, 0x7f800001
	s_mov_b32 s45, exec_lo
	s_delay_alu instid0(VALU_DEP_2)
	v_cmpx_ne_u32_e32 0x7f, v0
	s_cbranch_execz .LBB6_5000
; %bb.4999:                             ;   in Loop: Header=BB6_4246 Depth=3
	v_dual_lshrrev_b32 v25, 3, v0 :: v_dual_bitop2_b32 v2, 7, v26 bitop3:0x40
	v_cmp_gt_u32_e32 vcc_lo, 8, v0
	s_delay_alu instid0(VALU_DEP_2) | instskip(NEXT) | instid1(VALU_DEP_1)
	v_clz_i32_u32_e32 v0, v2
	v_min_u32_e32 v0, 32, v0
	s_delay_alu instid0(VALU_DEP_1) | instskip(NEXT) | instid1(VALU_DEP_1)
	v_subrev_nc_u32_e32 v2, 28, v0
	v_dual_sub_nc_u32 v0, 29, v0 :: v_dual_cndmask_b32 v2, 0, v2, vcc_lo
	s_delay_alu instid0(VALU_DEP_1) | instskip(NEXT) | instid1(VALU_DEP_2)
	v_dual_cndmask_b32 v0, v25, v0 :: v_dual_lshlrev_b32 v25, 24, v26
	v_lshlrev_b64_e32 v[32:33], v2, v[26:27]
	s_delay_alu instid0(VALU_DEP_2) | instskip(NEXT) | instid1(VALU_DEP_3)
	v_lshl_add_u32 v0, v0, 23, 0x3c000000
	v_and_b32_e32 v25, 0x80000000, v25
	s_delay_alu instid0(VALU_DEP_3) | instskip(NEXT) | instid1(VALU_DEP_1)
	v_lshlrev_b32_e32 v2, 20, v32
	v_and_b32_e32 v2, 0x700000, v2
	s_delay_alu instid0(VALU_DEP_1)
	v_or3_b32 v2, v2, v25, v0
.LBB6_5000:                             ;   in Loop: Header=BB6_4246 Depth=3
	s_or_b32 exec_lo, exec_lo, s45
.LBB6_5001:                             ;   in Loop: Header=BB6_4246 Depth=3
	s_delay_alu instid0(SALU_CYCLE_1)
	s_or_b32 exec_lo, exec_lo, s44
.LBB6_5002:                             ;   in Loop: Header=BB6_4246 Depth=3
	s_delay_alu instid0(SALU_CYCLE_1) | instskip(NEXT) | instid1(VALU_DEP_1)
	s_or_b32 exec_lo, exec_lo, s13
	v_add_f32_e32 v0, v24, v2
                                        ; implicit-def: $vgpr38
	s_mov_b32 s13, exec_lo
	s_delay_alu instid0(VALU_DEP_1) | instskip(SKIP_1) | instid1(VALU_DEP_2)
	v_and_b32_e32 v2, 0x7f800000, v0
	v_lshrrev_b32_e32 v24, 24, v0
	v_cmpx_ne_u64_e32 0x7f800000, v[2:3]
	s_xor_b32 s44, exec_lo, s13
	s_cbranch_execz .LBB6_5016
; %bb.5003:                             ;   in Loop: Header=BB6_4246 Depth=3
	v_and_b32_e32 v2, 0x7fffffff, v0
	v_and_b32_e32 v39, 0x80, v24
                                        ; implicit-def: $vgpr38
	s_mov_b32 s13, exec_lo
	s_delay_alu instid0(VALU_DEP_2)
	v_cmpx_gt_u64_e32 0x43e00001, v[2:3]
	s_xor_b32 s45, exec_lo, s13
	s_cbranch_execz .LBB6_5013
; %bb.5004:                             ;   in Loop: Header=BB6_4246 Depth=3
	v_mov_b32_e32 v38, 0
	s_mov_b32 s74, exec_lo
	v_cmpx_ne_u32_e32 0, v0
	s_cbranch_execz .LBB6_5012
; %bb.5005:                             ;   in Loop: Header=BB6_4246 Depth=3
	v_bfe_u32 v38, v0, 23, 8
	v_and_b32_e32 v2, 0x7fffff, v0
	s_delay_alu instid0(VALU_DEP_2) | instskip(SKIP_2) | instid1(VALU_DEP_4)
	v_cmp_gt_u32_e64 s13, 0x7a, v38
	v_sub_nc_u32_e32 v0, 0x79, v38
	v_cmp_eq_u32_e32 vcc_lo, 0, v38
	v_or_b32_e32 v24, 0x800000, v2
	s_delay_alu instid0(VALU_DEP_1) | instskip(NEXT) | instid1(VALU_DEP_1)
	v_dual_cndmask_b32 v0, 0, v0, s13 :: v_dual_cndmask_b32 v2, v24, v2, vcc_lo
	v_cndmask_b32_e64 v0, v0, 0x78, vcc_lo
	s_delay_alu instid0(VALU_DEP_1) | instskip(NEXT) | instid1(VALU_DEP_1)
	v_dual_add_nc_u32 v24, 20, v0 :: v_dual_add_nc_u32 v32, 19, v0
	v_lshlrev_b64_e64 v[24:25], v24, -1
	s_delay_alu instid0(VALU_DEP_2) | instskip(NEXT) | instid1(VALU_DEP_2)
	v_lshlrev_b64_e64 v[32:33], v32, 1
	v_bfi_b32 v25, v25, 0, 0
	s_delay_alu instid0(VALU_DEP_3) | instskip(NEXT) | instid1(VALU_DEP_1)
	v_bfi_b32 v24, v24, 0, v2
	v_cmp_eq_u64_e64 s13, v[24:25], v[32:33]
	v_lshrrev_b64 v[24:25], v0, v[2:3]
	s_delay_alu instid0(VALU_DEP_1)
	v_mov_b64_e32 v[32:33], v[24:25]
	s_and_saveexec_b32 s75, s13
; %bb.5006:                             ;   in Loop: Header=BB6_4246 Depth=3
	v_bfe_u32 v2, v24, 20, 1
	s_delay_alu instid0(VALU_DEP_1) | instskip(NEXT) | instid1(VALU_DEP_1)
	v_add_nc_u64_e32 v[32:33], v[24:25], v[2:3]
	v_add_nc_u64_e32 v[32:33], -1, v[32:33]
; %bb.5007:                             ;   in Loop: Header=BB6_4246 Depth=3
	s_or_b32 exec_lo, exec_lo, s75
	v_add_nc_u32_e32 v2, 0xffffff81, v38
	v_lshrrev_b32_e32 v25, 23, v24
	s_mov_b32 s13, exec_lo
	s_delay_alu instid0(VALU_DEP_2) | instskip(NEXT) | instid1(VALU_DEP_1)
	v_cndmask_b32_e64 v2, v2, 0xffffff82, vcc_lo
	v_add3_u32 v33, v0, v2, v25
	v_and_b32_e32 v0, 0xfffff, v32
	s_delay_alu instid0(VALU_DEP_1) | instskip(NEXT) | instid1(VALU_DEP_1)
	v_dual_add_nc_u32 v32, 6, v33 :: v_dual_add_nc_u32 v2, v0, v24
                                        ; implicit-def: $vgpr24_vgpr25
                                        ; implicit-def: $vgpr0
	v_cmpx_ne_u32_e32 0, v32
	s_xor_b32 s13, exec_lo, s13
; %bb.5008:                             ;   in Loop: Header=BB6_4246 Depth=3
	s_delay_alu instid0(VALU_DEP_2) | instskip(SKIP_2) | instid1(VALU_DEP_2)
	v_cmp_lt_u64_e32 vcc_lo, 0xffffff, v[2:3]
	v_add_nc_u32_e32 v0, 7, v33
	v_cndmask_b32_e64 v24, 0, 1, vcc_lo
	v_cndmask_b32_e32 v0, v32, v0, vcc_lo
	s_delay_alu instid0(VALU_DEP_2)
	v_lshrrev_b64 v[24:25], v24, v[2:3]
; %bb.5009:                             ;   in Loop: Header=BB6_4246 Depth=3
	s_and_not1_saveexec_b32 s13, s13
; %bb.5010:                             ;   in Loop: Header=BB6_4246 Depth=3
	v_mov_b64_e32 v[24:25], v[2:3]
	v_bfe_u32 v0, v2, 23, 1
; %bb.5011:                             ;   in Loop: Header=BB6_4246 Depth=3
	s_or_b32 exec_lo, exec_lo, s13
	s_delay_alu instid0(VALU_DEP_2) | instskip(NEXT) | instid1(VALU_DEP_2)
	v_lshrrev_b64 v[24:25], 20, v[24:25]
	v_cmp_gt_i32_e32 vcc_lo, 16, v0
	v_min_i32_e32 v2, 15, v0
	v_cmp_eq_u32_e64 s13, 0, v0
	s_delay_alu instid0(VALU_DEP_2) | instskip(SKIP_1) | instid1(VALU_DEP_2)
	v_dual_cndmask_b32 v25, 0, v25 :: v_dual_lshlrev_b32 v2, 3, v2
	v_cndmask_b32_e32 v24, 7, v24, vcc_lo
	v_and_b32_e32 v2, 0xf8, v2
	s_delay_alu instid0(VALU_DEP_2) | instskip(NEXT) | instid1(VALU_DEP_2)
	v_cmp_eq_u64_e32 vcc_lo, 0, v[24:25]
	v_and_or_b32 v0, v24, 7, v2
	s_and_b32 s13, s13, vcc_lo
	s_delay_alu instid0(VALU_DEP_1) | instid1(SALU_CYCLE_1)
	v_cndmask_b32_e64 v0, v0, 0, s13
	s_delay_alu instid0(VALU_DEP_1)
	v_or_b32_e32 v38, v0, v39
.LBB6_5012:                             ;   in Loop: Header=BB6_4246 Depth=3
	s_or_b32 exec_lo, exec_lo, s74
                                        ; implicit-def: $vgpr39
.LBB6_5013:                             ;   in Loop: Header=BB6_4246 Depth=3
	s_and_not1_saveexec_b32 s13, s45
; %bb.5014:                             ;   in Loop: Header=BB6_4246 Depth=3
	v_or_b32_e32 v38, 0x7e, v39
; %bb.5015:                             ;   in Loop: Header=BB6_4246 Depth=3
	s_or_b32 exec_lo, exec_lo, s13
                                        ; implicit-def: $vgpr24
.LBB6_5016:                             ;   in Loop: Header=BB6_4246 Depth=3
	s_and_not1_saveexec_b32 s13, s44
; %bb.5017:                             ;   in Loop: Header=BB6_4246 Depth=3
	v_or_b32_e32 v38, 0x7f, v24
; %bb.5018:                             ;   in Loop: Header=BB6_4246 Depth=3
	s_or_b32 exec_lo, exec_lo, s13
	v_lshrrev_b16 v0, 8, v34
	v_dual_mov_b32 v32, 0 :: v_dual_mov_b32 v33, 0
	s_mov_b32 s13, exec_lo
	s_delay_alu instid0(VALU_DEP_2)
	v_cmpx_ne_u16_e32 0, v0
	s_cbranch_execz .LBB6_5026
; %bb.5019:                             ;   in Loop: Header=BB6_4246 Depth=3
	v_bfrev_b32_e32 v33, 1
	s_mov_b32 s44, exec_lo
	v_cmpx_ne_u16_e32 0x80, v0
	s_cbranch_execz .LBB6_5025
; %bb.5020:                             ;   in Loop: Header=BB6_4246 Depth=3
	v_and_b32_e32 v0, 0xffff, v0
	v_mov_b32_e32 v33, 0x7f800001
	s_mov_b32 s45, exec_lo
	s_delay_alu instid0(VALU_DEP_2) | instskip(NEXT) | instid1(VALU_DEP_1)
	v_and_b32_e32 v24, 0x7f, v0
	v_cmpx_ne_u32_e32 0x7f, v24
	s_cbranch_execz .LBB6_5024
; %bb.5021:                             ;   in Loop: Header=BB6_4246 Depth=3
	v_and_b32_e32 v2, 7, v0
	v_lshrrev_b32_e32 v0, 3, v24
	v_cmp_gt_u32_e32 vcc_lo, 8, v24
	s_delay_alu instid0(VALU_DEP_3)
	v_mov_b64_e32 v[24:25], v[2:3]
	s_and_saveexec_b32 s74, vcc_lo
; %bb.5022:                             ;   in Loop: Header=BB6_4246 Depth=3
	v_clz_i32_u32_e32 v0, v2
	s_delay_alu instid0(VALU_DEP_1) | instskip(NEXT) | instid1(VALU_DEP_1)
	v_min_u32_e32 v0, 32, v0
	v_subrev_nc_u32_e32 v24, 28, v0
	v_sub_nc_u32_e32 v0, 29, v0
	s_delay_alu instid0(VALU_DEP_2) | instskip(NEXT) | instid1(VALU_DEP_1)
	v_lshlrev_b64_e32 v[24:25], v24, v[2:3]
	v_and_b32_e32 v24, 7, v24
; %bb.5023:                             ;   in Loop: Header=BB6_4246 Depth=3
	s_or_b32 exec_lo, exec_lo, s74
	s_delay_alu instid0(VALU_DEP_1) | instskip(SKIP_1) | instid1(VALU_DEP_2)
	v_dual_lshlrev_b32 v2, 16, v34 :: v_dual_lshlrev_b32 v24, 20, v24
	v_lshl_add_u32 v0, v0, 23, 0x3c000000
	v_and_b32_e32 v2, 0x80000000, v2
	s_delay_alu instid0(VALU_DEP_1)
	v_or3_b32 v33, v24, v2, v0
.LBB6_5024:                             ;   in Loop: Header=BB6_4246 Depth=3
	s_or_b32 exec_lo, exec_lo, s45
.LBB6_5025:                             ;   in Loop: Header=BB6_4246 Depth=3
	s_delay_alu instid0(SALU_CYCLE_1)
	s_or_b32 exec_lo, exec_lo, s44
.LBB6_5026:                             ;   in Loop: Header=BB6_4246 Depth=3
	s_delay_alu instid0(SALU_CYCLE_1) | instskip(SKIP_2) | instid1(VALU_DEP_1)
	s_or_b32 exec_lo, exec_lo, s13
	v_lshrrev_b16 v0, 8, v26
	s_mov_b32 s13, exec_lo
	v_cmpx_ne_u16_e32 0, v0
	s_cbranch_execz .LBB6_5034
; %bb.5027:                             ;   in Loop: Header=BB6_4246 Depth=3
	v_bfrev_b32_e32 v32, 1
	s_mov_b32 s44, exec_lo
	v_cmpx_ne_u16_e32 0x80, v0
	s_cbranch_execz .LBB6_5033
; %bb.5028:                             ;   in Loop: Header=BB6_4246 Depth=3
	v_and_b32_e32 v0, 0xffff, v0
	v_mov_b32_e32 v32, 0x7f800001
	s_mov_b32 s45, exec_lo
	s_delay_alu instid0(VALU_DEP_2) | instskip(NEXT) | instid1(VALU_DEP_1)
	v_and_b32_e32 v24, 0x7f, v0
	v_cmpx_ne_u32_e32 0x7f, v24
	s_cbranch_execz .LBB6_5032
; %bb.5029:                             ;   in Loop: Header=BB6_4246 Depth=3
	v_and_b32_e32 v2, 7, v0
	v_lshrrev_b32_e32 v0, 3, v24
	v_cmp_gt_u32_e32 vcc_lo, 8, v24
	s_delay_alu instid0(VALU_DEP_3)
	v_mov_b64_e32 v[24:25], v[2:3]
	s_and_saveexec_b32 s74, vcc_lo
; %bb.5030:                             ;   in Loop: Header=BB6_4246 Depth=3
	v_clz_i32_u32_e32 v0, v2
	s_delay_alu instid0(VALU_DEP_1) | instskip(NEXT) | instid1(VALU_DEP_1)
	v_min_u32_e32 v0, 32, v0
	v_subrev_nc_u32_e32 v24, 28, v0
	v_sub_nc_u32_e32 v0, 29, v0
	s_delay_alu instid0(VALU_DEP_2) | instskip(NEXT) | instid1(VALU_DEP_1)
	v_lshlrev_b64_e32 v[24:25], v24, v[2:3]
	v_and_b32_e32 v24, 7, v24
; %bb.5031:                             ;   in Loop: Header=BB6_4246 Depth=3
	s_or_b32 exec_lo, exec_lo, s74
	s_delay_alu instid0(VALU_DEP_1) | instskip(SKIP_1) | instid1(VALU_DEP_2)
	v_dual_lshlrev_b32 v2, 16, v26 :: v_dual_lshlrev_b32 v24, 20, v24
	v_lshl_add_u32 v0, v0, 23, 0x3c000000
	v_and_b32_e32 v2, 0x80000000, v2
	s_delay_alu instid0(VALU_DEP_1)
	v_or3_b32 v32, v24, v2, v0
.LBB6_5032:                             ;   in Loop: Header=BB6_4246 Depth=3
	s_or_b32 exec_lo, exec_lo, s45
.LBB6_5033:                             ;   in Loop: Header=BB6_4246 Depth=3
	s_delay_alu instid0(SALU_CYCLE_1)
	s_or_b32 exec_lo, exec_lo, s44
.LBB6_5034:                             ;   in Loop: Header=BB6_4246 Depth=3
	s_delay_alu instid0(SALU_CYCLE_1) | instskip(NEXT) | instid1(VALU_DEP_1)
	s_or_b32 exec_lo, exec_lo, s13
	v_add_f32_e32 v0, v33, v32
                                        ; implicit-def: $vgpr39
	s_mov_b32 s13, exec_lo
	s_delay_alu instid0(VALU_DEP_1) | instskip(SKIP_1) | instid1(VALU_DEP_2)
	v_and_b32_e32 v2, 0x7f800000, v0
	v_lshrrev_b32_e32 v24, 24, v0
	v_cmpx_ne_u64_e32 0x7f800000, v[2:3]
	s_xor_b32 s44, exec_lo, s13
	s_cbranch_execz .LBB6_5048
; %bb.5035:                             ;   in Loop: Header=BB6_4246 Depth=3
	v_and_b32_e32 v2, 0x7fffffff, v0
	v_and_b32_e32 v53, 0x80, v24
                                        ; implicit-def: $vgpr39
	s_mov_b32 s13, exec_lo
	s_delay_alu instid0(VALU_DEP_2)
	v_cmpx_gt_u64_e32 0x43e00001, v[2:3]
	s_xor_b32 s45, exec_lo, s13
	s_cbranch_execz .LBB6_5045
; %bb.5036:                             ;   in Loop: Header=BB6_4246 Depth=3
	v_mov_b32_e32 v39, 0
	s_mov_b32 s74, exec_lo
	v_cmpx_ne_u32_e32 0, v0
	s_cbranch_execz .LBB6_5044
; %bb.5037:                             ;   in Loop: Header=BB6_4246 Depth=3
	v_bfe_u32 v39, v0, 23, 8
	v_and_b32_e32 v2, 0x7fffff, v0
	s_delay_alu instid0(VALU_DEP_2) | instskip(SKIP_2) | instid1(VALU_DEP_4)
	v_cmp_gt_u32_e64 s13, 0x7a, v39
	v_sub_nc_u32_e32 v0, 0x79, v39
	v_cmp_eq_u32_e32 vcc_lo, 0, v39
	v_or_b32_e32 v24, 0x800000, v2
	s_delay_alu instid0(VALU_DEP_1) | instskip(NEXT) | instid1(VALU_DEP_1)
	v_dual_cndmask_b32 v0, 0, v0, s13 :: v_dual_cndmask_b32 v2, v24, v2, vcc_lo
	v_cndmask_b32_e64 v0, v0, 0x78, vcc_lo
	s_delay_alu instid0(VALU_DEP_1) | instskip(NEXT) | instid1(VALU_DEP_1)
	v_dual_add_nc_u32 v24, 20, v0 :: v_dual_add_nc_u32 v32, 19, v0
	v_lshlrev_b64_e64 v[24:25], v24, -1
	s_delay_alu instid0(VALU_DEP_2) | instskip(NEXT) | instid1(VALU_DEP_2)
	v_lshlrev_b64_e64 v[32:33], v32, 1
	v_bfi_b32 v25, v25, 0, 0
	s_delay_alu instid0(VALU_DEP_3) | instskip(NEXT) | instid1(VALU_DEP_1)
	v_bfi_b32 v24, v24, 0, v2
	v_cmp_eq_u64_e64 s13, v[24:25], v[32:33]
	v_lshrrev_b64 v[24:25], v0, v[2:3]
	s_delay_alu instid0(VALU_DEP_1)
	v_mov_b64_e32 v[32:33], v[24:25]
	s_and_saveexec_b32 s75, s13
; %bb.5038:                             ;   in Loop: Header=BB6_4246 Depth=3
	v_bfe_u32 v2, v24, 20, 1
	s_delay_alu instid0(VALU_DEP_1) | instskip(NEXT) | instid1(VALU_DEP_1)
	v_add_nc_u64_e32 v[32:33], v[24:25], v[2:3]
	v_add_nc_u64_e32 v[32:33], -1, v[32:33]
; %bb.5039:                             ;   in Loop: Header=BB6_4246 Depth=3
	s_or_b32 exec_lo, exec_lo, s75
	v_add_nc_u32_e32 v2, 0xffffff81, v39
	v_lshrrev_b32_e32 v25, 23, v24
	s_mov_b32 s13, exec_lo
	s_delay_alu instid0(VALU_DEP_2) | instskip(NEXT) | instid1(VALU_DEP_1)
	v_cndmask_b32_e64 v2, v2, 0xffffff82, vcc_lo
	v_add3_u32 v33, v0, v2, v25
	v_and_b32_e32 v0, 0xfffff, v32
	s_delay_alu instid0(VALU_DEP_1) | instskip(NEXT) | instid1(VALU_DEP_1)
	v_dual_add_nc_u32 v32, 6, v33 :: v_dual_add_nc_u32 v2, v0, v24
                                        ; implicit-def: $vgpr24_vgpr25
                                        ; implicit-def: $vgpr0
	v_cmpx_ne_u32_e32 0, v32
	s_xor_b32 s13, exec_lo, s13
; %bb.5040:                             ;   in Loop: Header=BB6_4246 Depth=3
	s_delay_alu instid0(VALU_DEP_2) | instskip(SKIP_2) | instid1(VALU_DEP_2)
	v_cmp_lt_u64_e32 vcc_lo, 0xffffff, v[2:3]
	v_add_nc_u32_e32 v0, 7, v33
	v_cndmask_b32_e64 v24, 0, 1, vcc_lo
	v_cndmask_b32_e32 v0, v32, v0, vcc_lo
	s_delay_alu instid0(VALU_DEP_2)
	v_lshrrev_b64 v[24:25], v24, v[2:3]
; %bb.5041:                             ;   in Loop: Header=BB6_4246 Depth=3
	s_and_not1_saveexec_b32 s13, s13
; %bb.5042:                             ;   in Loop: Header=BB6_4246 Depth=3
	v_mov_b64_e32 v[24:25], v[2:3]
	v_bfe_u32 v0, v2, 23, 1
; %bb.5043:                             ;   in Loop: Header=BB6_4246 Depth=3
	s_or_b32 exec_lo, exec_lo, s13
	s_delay_alu instid0(VALU_DEP_2) | instskip(NEXT) | instid1(VALU_DEP_2)
	v_lshrrev_b64 v[24:25], 20, v[24:25]
	v_cmp_gt_i32_e32 vcc_lo, 16, v0
	v_min_i32_e32 v2, 15, v0
	v_cmp_eq_u32_e64 s13, 0, v0
	s_delay_alu instid0(VALU_DEP_2) | instskip(SKIP_1) | instid1(VALU_DEP_2)
	v_dual_cndmask_b32 v25, 0, v25 :: v_dual_lshlrev_b32 v2, 3, v2
	v_cndmask_b32_e32 v24, 7, v24, vcc_lo
	v_and_b32_e32 v2, 0xf8, v2
	s_delay_alu instid0(VALU_DEP_2) | instskip(NEXT) | instid1(VALU_DEP_2)
	v_cmp_eq_u64_e32 vcc_lo, 0, v[24:25]
	v_and_or_b32 v0, v24, 7, v2
	s_and_b32 s13, s13, vcc_lo
	s_delay_alu instid0(VALU_DEP_1) | instid1(SALU_CYCLE_1)
	v_cndmask_b32_e64 v0, v0, 0, s13
	s_delay_alu instid0(VALU_DEP_1)
	v_or_b32_e32 v39, v0, v53
.LBB6_5044:                             ;   in Loop: Header=BB6_4246 Depth=3
	s_or_b32 exec_lo, exec_lo, s74
                                        ; implicit-def: $vgpr53
.LBB6_5045:                             ;   in Loop: Header=BB6_4246 Depth=3
	s_and_not1_saveexec_b32 s13, s45
; %bb.5046:                             ;   in Loop: Header=BB6_4246 Depth=3
	v_or_b32_e32 v39, 0x7e, v53
; %bb.5047:                             ;   in Loop: Header=BB6_4246 Depth=3
	s_or_b32 exec_lo, exec_lo, s13
                                        ; implicit-def: $vgpr24
.LBB6_5048:                             ;   in Loop: Header=BB6_4246 Depth=3
	s_and_not1_saveexec_b32 s13, s44
; %bb.5049:                             ;   in Loop: Header=BB6_4246 Depth=3
	v_or_b32_e32 v39, 0x7f, v24
; %bb.5050:                             ;   in Loop: Header=BB6_4246 Depth=3
	s_or_b32 exec_lo, exec_lo, s13
	v_dual_lshrrev_b32 v0, 16, v34 :: v_dual_mov_b32 v32, 0
	v_mov_b32_e32 v33, 0
	s_mov_b32 s13, exec_lo
	s_delay_alu instid0(VALU_DEP_2) | instskip(NEXT) | instid1(VALU_DEP_1)
	v_and_b32_e32 v2, 0xff, v0
	v_cmpx_ne_u16_e32 0, v2
	s_cbranch_execz .LBB6_5058
; %bb.5051:                             ;   in Loop: Header=BB6_4246 Depth=3
	v_bfrev_b32_e32 v33, 1
	s_mov_b32 s44, exec_lo
	v_cmpx_ne_u16_e32 0x80, v2
	s_cbranch_execz .LBB6_5057
; %bb.5052:                             ;   in Loop: Header=BB6_4246 Depth=3
	v_bfe_u32 v24, v34, 16, 7
	v_mov_b32_e32 v33, 0x7f800001
	s_mov_b32 s45, exec_lo
	s_delay_alu instid0(VALU_DEP_2)
	v_cmpx_ne_u32_e32 0x7f, v24
	s_cbranch_execz .LBB6_5056
; %bb.5053:                             ;   in Loop: Header=BB6_4246 Depth=3
	v_and_b32_e32 v2, 7, v0
	v_lshrrev_b32_e32 v33, 3, v24
	v_cmp_gt_u32_e32 vcc_lo, 8, v24
	s_delay_alu instid0(VALU_DEP_3)
	v_mov_b64_e32 v[24:25], v[2:3]
	s_and_saveexec_b32 s74, vcc_lo
; %bb.5054:                             ;   in Loop: Header=BB6_4246 Depth=3
	v_clz_i32_u32_e32 v24, v2
	s_delay_alu instid0(VALU_DEP_1) | instskip(NEXT) | instid1(VALU_DEP_1)
	v_min_u32_e32 v33, 32, v24
	v_subrev_nc_u32_e32 v24, 28, v33
	s_delay_alu instid0(VALU_DEP_1) | instskip(NEXT) | instid1(VALU_DEP_1)
	v_lshlrev_b64_e32 v[24:25], v24, v[2:3]
	v_dual_sub_nc_u32 v33, 29, v33 :: v_dual_bitop2_b32 v24, 7, v24 bitop3:0x40
; %bb.5055:                             ;   in Loop: Header=BB6_4246 Depth=3
	s_or_b32 exec_lo, exec_lo, s74
	v_lshlrev_b32_e32 v0, 24, v0
	s_delay_alu instid0(VALU_DEP_2) | instskip(NEXT) | instid1(VALU_DEP_3)
	v_lshlrev_b32_e32 v2, 20, v24
	v_lshl_add_u32 v24, v33, 23, 0x3c000000
	s_delay_alu instid0(VALU_DEP_3) | instskip(NEXT) | instid1(VALU_DEP_1)
	v_and_b32_e32 v0, 0x80000000, v0
	v_or3_b32 v33, v2, v0, v24
.LBB6_5056:                             ;   in Loop: Header=BB6_4246 Depth=3
	s_or_b32 exec_lo, exec_lo, s45
.LBB6_5057:                             ;   in Loop: Header=BB6_4246 Depth=3
	s_delay_alu instid0(SALU_CYCLE_1)
	s_or_b32 exec_lo, exec_lo, s44
.LBB6_5058:                             ;   in Loop: Header=BB6_4246 Depth=3
	s_delay_alu instid0(SALU_CYCLE_1) | instskip(SKIP_2) | instid1(VALU_DEP_1)
	s_or_b32 exec_lo, exec_lo, s13
	v_lshrrev_b32_e32 v0, 16, v26
	s_mov_b32 s13, exec_lo
	v_and_b32_e32 v2, 0xff, v0
	s_delay_alu instid0(VALU_DEP_1)
	v_cmpx_ne_u16_e32 0, v2
	s_cbranch_execz .LBB6_5066
; %bb.5059:                             ;   in Loop: Header=BB6_4246 Depth=3
	v_bfrev_b32_e32 v32, 1
	s_mov_b32 s44, exec_lo
	v_cmpx_ne_u16_e32 0x80, v2
	s_cbranch_execz .LBB6_5065
; %bb.5060:                             ;   in Loop: Header=BB6_4246 Depth=3
	v_bfe_u32 v24, v26, 16, 7
	v_mov_b32_e32 v32, 0x7f800001
	s_mov_b32 s45, exec_lo
	s_delay_alu instid0(VALU_DEP_2)
	v_cmpx_ne_u32_e32 0x7f, v24
	s_cbranch_execz .LBB6_5064
; %bb.5061:                             ;   in Loop: Header=BB6_4246 Depth=3
	v_and_b32_e32 v2, 7, v0
	v_lshrrev_b32_e32 v0, 3, v24
	v_cmp_gt_u32_e32 vcc_lo, 8, v24
	s_delay_alu instid0(VALU_DEP_3)
	v_mov_b64_e32 v[24:25], v[2:3]
	s_and_saveexec_b32 s74, vcc_lo
; %bb.5062:                             ;   in Loop: Header=BB6_4246 Depth=3
	v_clz_i32_u32_e32 v0, v2
	s_delay_alu instid0(VALU_DEP_1) | instskip(NEXT) | instid1(VALU_DEP_1)
	v_min_u32_e32 v0, 32, v0
	v_subrev_nc_u32_e32 v24, 28, v0
	v_sub_nc_u32_e32 v0, 29, v0
	s_delay_alu instid0(VALU_DEP_2) | instskip(NEXT) | instid1(VALU_DEP_1)
	v_lshlrev_b64_e32 v[24:25], v24, v[2:3]
	v_and_b32_e32 v24, 7, v24
; %bb.5063:                             ;   in Loop: Header=BB6_4246 Depth=3
	s_or_b32 exec_lo, exec_lo, s74
	s_delay_alu instid0(VALU_DEP_1) | instskip(SKIP_1) | instid1(VALU_DEP_2)
	v_dual_lshlrev_b32 v2, 8, v26 :: v_dual_lshlrev_b32 v24, 20, v24
	v_lshl_add_u32 v0, v0, 23, 0x3c000000
	v_and_b32_e32 v2, 0x80000000, v2
	s_delay_alu instid0(VALU_DEP_1)
	v_or3_b32 v32, v24, v2, v0
.LBB6_5064:                             ;   in Loop: Header=BB6_4246 Depth=3
	s_or_b32 exec_lo, exec_lo, s45
.LBB6_5065:                             ;   in Loop: Header=BB6_4246 Depth=3
	s_delay_alu instid0(SALU_CYCLE_1)
	s_or_b32 exec_lo, exec_lo, s44
.LBB6_5066:                             ;   in Loop: Header=BB6_4246 Depth=3
	s_delay_alu instid0(SALU_CYCLE_1) | instskip(NEXT) | instid1(VALU_DEP_1)
	s_or_b32 exec_lo, exec_lo, s13
	v_add_f32_e32 v0, v33, v32
                                        ; implicit-def: $vgpr78
	s_mov_b32 s13, exec_lo
	s_delay_alu instid0(VALU_DEP_1) | instskip(SKIP_1) | instid1(VALU_DEP_2)
	v_and_b32_e32 v2, 0x7f800000, v0
	v_lshrrev_b32_e32 v24, 24, v0
	v_cmpx_ne_u64_e32 0x7f800000, v[2:3]
	s_xor_b32 s44, exec_lo, s13
	s_cbranch_execz .LBB6_5080
; %bb.5067:                             ;   in Loop: Header=BB6_4246 Depth=3
	v_and_b32_e32 v2, 0x7fffffff, v0
	v_and_b32_e32 v53, 0x80, v24
                                        ; implicit-def: $vgpr78
	s_mov_b32 s13, exec_lo
	s_delay_alu instid0(VALU_DEP_2)
	v_cmpx_gt_u64_e32 0x43e00001, v[2:3]
	s_xor_b32 s45, exec_lo, s13
	s_cbranch_execz .LBB6_5077
; %bb.5068:                             ;   in Loop: Header=BB6_4246 Depth=3
	v_mov_b32_e32 v78, 0
	s_mov_b32 s74, exec_lo
	v_cmpx_ne_u32_e32 0, v0
	s_cbranch_execz .LBB6_5076
; %bb.5069:                             ;   in Loop: Header=BB6_4246 Depth=3
	v_bfe_u32 v66, v0, 23, 8
	v_and_b32_e32 v2, 0x7fffff, v0
	s_delay_alu instid0(VALU_DEP_2) | instskip(SKIP_2) | instid1(VALU_DEP_4)
	v_cmp_gt_u32_e64 s13, 0x7a, v66
	v_sub_nc_u32_e32 v0, 0x79, v66
	v_cmp_eq_u32_e32 vcc_lo, 0, v66
	v_or_b32_e32 v24, 0x800000, v2
	s_delay_alu instid0(VALU_DEP_1) | instskip(NEXT) | instid1(VALU_DEP_1)
	v_dual_cndmask_b32 v0, 0, v0, s13 :: v_dual_cndmask_b32 v2, v24, v2, vcc_lo
	v_cndmask_b32_e64 v0, v0, 0x78, vcc_lo
	s_delay_alu instid0(VALU_DEP_1) | instskip(NEXT) | instid1(VALU_DEP_1)
	v_dual_add_nc_u32 v24, 20, v0 :: v_dual_add_nc_u32 v32, 19, v0
	v_lshlrev_b64_e64 v[24:25], v24, -1
	s_delay_alu instid0(VALU_DEP_2) | instskip(NEXT) | instid1(VALU_DEP_2)
	v_lshlrev_b64_e64 v[32:33], v32, 1
	v_bfi_b32 v25, v25, 0, 0
	s_delay_alu instid0(VALU_DEP_3) | instskip(NEXT) | instid1(VALU_DEP_1)
	v_bfi_b32 v24, v24, 0, v2
	v_cmp_eq_u64_e64 s13, v[24:25], v[32:33]
	v_lshrrev_b64 v[24:25], v0, v[2:3]
	s_delay_alu instid0(VALU_DEP_1)
	v_mov_b64_e32 v[32:33], v[24:25]
	s_and_saveexec_b32 s75, s13
; %bb.5070:                             ;   in Loop: Header=BB6_4246 Depth=3
	v_bfe_u32 v2, v24, 20, 1
	s_delay_alu instid0(VALU_DEP_1) | instskip(NEXT) | instid1(VALU_DEP_1)
	v_add_nc_u64_e32 v[32:33], v[24:25], v[2:3]
	v_add_nc_u64_e32 v[32:33], -1, v[32:33]
; %bb.5071:                             ;   in Loop: Header=BB6_4246 Depth=3
	s_or_b32 exec_lo, exec_lo, s75
	v_add_nc_u32_e32 v2, 0xffffff81, v66
	v_lshrrev_b32_e32 v25, 23, v24
	s_mov_b32 s13, exec_lo
	s_delay_alu instid0(VALU_DEP_2) | instskip(NEXT) | instid1(VALU_DEP_1)
	v_cndmask_b32_e64 v2, v2, 0xffffff82, vcc_lo
	v_add3_u32 v33, v0, v2, v25
	v_and_b32_e32 v0, 0xfffff, v32
	s_delay_alu instid0(VALU_DEP_1) | instskip(NEXT) | instid1(VALU_DEP_1)
	v_dual_add_nc_u32 v32, 6, v33 :: v_dual_add_nc_u32 v2, v0, v24
                                        ; implicit-def: $vgpr24_vgpr25
                                        ; implicit-def: $vgpr0
	v_cmpx_ne_u32_e32 0, v32
	s_xor_b32 s13, exec_lo, s13
; %bb.5072:                             ;   in Loop: Header=BB6_4246 Depth=3
	s_delay_alu instid0(VALU_DEP_2) | instskip(SKIP_2) | instid1(VALU_DEP_2)
	v_cmp_lt_u64_e32 vcc_lo, 0xffffff, v[2:3]
	v_add_nc_u32_e32 v0, 7, v33
	v_cndmask_b32_e64 v24, 0, 1, vcc_lo
	v_cndmask_b32_e32 v0, v32, v0, vcc_lo
	s_delay_alu instid0(VALU_DEP_2)
	v_lshrrev_b64 v[24:25], v24, v[2:3]
; %bb.5073:                             ;   in Loop: Header=BB6_4246 Depth=3
	s_and_not1_saveexec_b32 s13, s13
; %bb.5074:                             ;   in Loop: Header=BB6_4246 Depth=3
	v_mov_b64_e32 v[24:25], v[2:3]
	v_bfe_u32 v0, v2, 23, 1
; %bb.5075:                             ;   in Loop: Header=BB6_4246 Depth=3
	s_or_b32 exec_lo, exec_lo, s13
	s_delay_alu instid0(VALU_DEP_2) | instskip(NEXT) | instid1(VALU_DEP_2)
	v_lshrrev_b64 v[24:25], 20, v[24:25]
	v_cmp_gt_i32_e32 vcc_lo, 16, v0
	v_min_i32_e32 v2, 15, v0
	v_cmp_eq_u32_e64 s13, 0, v0
	s_delay_alu instid0(VALU_DEP_2) | instskip(SKIP_1) | instid1(VALU_DEP_2)
	v_dual_cndmask_b32 v25, 0, v25 :: v_dual_lshlrev_b32 v2, 3, v2
	v_cndmask_b32_e32 v24, 7, v24, vcc_lo
	v_and_b32_e32 v2, 0xf8, v2
	s_delay_alu instid0(VALU_DEP_2) | instskip(NEXT) | instid1(VALU_DEP_2)
	v_cmp_eq_u64_e32 vcc_lo, 0, v[24:25]
	v_and_or_b32 v0, v24, 7, v2
	s_and_b32 s13, s13, vcc_lo
	s_delay_alu instid0(VALU_DEP_1) | instid1(SALU_CYCLE_1)
	v_cndmask_b32_e64 v0, v0, 0, s13
	s_delay_alu instid0(VALU_DEP_1)
	v_or_b32_e32 v78, v0, v53
.LBB6_5076:                             ;   in Loop: Header=BB6_4246 Depth=3
	s_or_b32 exec_lo, exec_lo, s74
                                        ; implicit-def: $vgpr53
.LBB6_5077:                             ;   in Loop: Header=BB6_4246 Depth=3
	s_and_not1_saveexec_b32 s13, s45
; %bb.5078:                             ;   in Loop: Header=BB6_4246 Depth=3
	v_or_b32_e32 v78, 0x7e, v53
; %bb.5079:                             ;   in Loop: Header=BB6_4246 Depth=3
	s_or_b32 exec_lo, exec_lo, s13
                                        ; implicit-def: $vgpr24
.LBB6_5080:                             ;   in Loop: Header=BB6_4246 Depth=3
	s_and_not1_saveexec_b32 s13, s44
; %bb.5081:                             ;   in Loop: Header=BB6_4246 Depth=3
	v_or_b32_e32 v78, 0x7f, v24
; %bb.5082:                             ;   in Loop: Header=BB6_4246 Depth=3
	s_or_b32 exec_lo, exec_lo, s13
	v_dual_mov_b32 v32, 0 :: v_dual_mov_b32 v33, 0
	s_mov_b32 s13, exec_lo
	v_cmpx_lt_u32_e32 0xffffff, v34
	s_cbranch_execz .LBB6_5090
; %bb.5083:                             ;   in Loop: Header=BB6_4246 Depth=3
	v_lshrrev_b32_e32 v0, 24, v34
	v_bfrev_b32_e32 v33, 1
	s_mov_b32 s44, exec_lo
	s_delay_alu instid0(VALU_DEP_2)
	v_cmpx_ne_u32_e32 0x80, v0
	s_cbranch_execz .LBB6_5089
; %bb.5084:                             ;   in Loop: Header=BB6_4246 Depth=3
	v_bfe_u32 v24, v34, 24, 7
	v_mov_b32_e32 v33, 0x7f800001
	s_mov_b32 s45, exec_lo
	s_delay_alu instid0(VALU_DEP_2)
	v_cmpx_ne_u32_e32 0x7f, v24
	s_cbranch_execz .LBB6_5088
; %bb.5085:                             ;   in Loop: Header=BB6_4246 Depth=3
	v_and_b32_e32 v2, 7, v0
	v_lshrrev_b32_e32 v33, 3, v24
	v_cmp_gt_u32_e32 vcc_lo, 8, v24
	s_delay_alu instid0(VALU_DEP_3)
	v_mov_b64_e32 v[24:25], v[2:3]
	s_and_saveexec_b32 s74, vcc_lo
; %bb.5086:                             ;   in Loop: Header=BB6_4246 Depth=3
	v_clz_i32_u32_e32 v24, v2
	s_delay_alu instid0(VALU_DEP_1) | instskip(NEXT) | instid1(VALU_DEP_1)
	v_min_u32_e32 v33, 32, v24
	v_subrev_nc_u32_e32 v24, 28, v33
	s_delay_alu instid0(VALU_DEP_1) | instskip(NEXT) | instid1(VALU_DEP_1)
	v_lshlrev_b64_e32 v[24:25], v24, v[2:3]
	v_dual_sub_nc_u32 v33, 29, v33 :: v_dual_bitop2_b32 v24, 7, v24 bitop3:0x40
; %bb.5087:                             ;   in Loop: Header=BB6_4246 Depth=3
	s_or_b32 exec_lo, exec_lo, s74
	v_lshlrev_b32_e32 v0, 24, v0
	s_delay_alu instid0(VALU_DEP_2) | instskip(NEXT) | instid1(VALU_DEP_3)
	v_lshlrev_b32_e32 v2, 20, v24
	v_lshl_add_u32 v24, v33, 23, 0x3c000000
	s_delay_alu instid0(VALU_DEP_3) | instskip(NEXT) | instid1(VALU_DEP_1)
	v_and_b32_e32 v0, 0x80000000, v0
	v_or3_b32 v33, v2, v0, v24
.LBB6_5088:                             ;   in Loop: Header=BB6_4246 Depth=3
	s_or_b32 exec_lo, exec_lo, s45
.LBB6_5089:                             ;   in Loop: Header=BB6_4246 Depth=3
	s_delay_alu instid0(SALU_CYCLE_1)
	s_or_b32 exec_lo, exec_lo, s44
.LBB6_5090:                             ;   in Loop: Header=BB6_4246 Depth=3
	s_delay_alu instid0(SALU_CYCLE_1) | instskip(NEXT) | instid1(SALU_CYCLE_1)
	s_or_b32 exec_lo, exec_lo, s13
	s_mov_b32 s13, exec_lo
	v_cmpx_lt_u32_e32 0xffffff, v26
	s_cbranch_execz .LBB6_5098
; %bb.5091:                             ;   in Loop: Header=BB6_4246 Depth=3
	v_lshrrev_b32_e32 v0, 24, v26
	v_bfrev_b32_e32 v32, 1
	s_mov_b32 s44, exec_lo
	s_delay_alu instid0(VALU_DEP_2)
	v_cmpx_ne_u32_e32 0x80, v0
	s_cbranch_execz .LBB6_5097
; %bb.5092:                             ;   in Loop: Header=BB6_4246 Depth=3
	v_bfe_u32 v24, v26, 24, 7
	v_mov_b32_e32 v32, 0x7f800001
	s_mov_b32 s45, exec_lo
	s_delay_alu instid0(VALU_DEP_2)
	v_cmpx_ne_u32_e32 0x7f, v24
	s_cbranch_execz .LBB6_5096
; %bb.5093:                             ;   in Loop: Header=BB6_4246 Depth=3
	v_and_b32_e32 v2, 7, v0
	v_lshrrev_b32_e32 v32, 3, v24
	v_cmp_gt_u32_e32 vcc_lo, 8, v24
	s_delay_alu instid0(VALU_DEP_3)
	v_mov_b64_e32 v[24:25], v[2:3]
	s_and_saveexec_b32 s74, vcc_lo
; %bb.5094:                             ;   in Loop: Header=BB6_4246 Depth=3
	v_clz_i32_u32_e32 v24, v2
	s_delay_alu instid0(VALU_DEP_1) | instskip(NEXT) | instid1(VALU_DEP_1)
	v_min_u32_e32 v32, 32, v24
	v_subrev_nc_u32_e32 v24, 28, v32
	v_sub_nc_u32_e32 v32, 29, v32
	s_delay_alu instid0(VALU_DEP_2) | instskip(NEXT) | instid1(VALU_DEP_1)
	v_lshlrev_b64_e32 v[24:25], v24, v[2:3]
	v_and_b32_e32 v24, 7, v24
; %bb.5095:                             ;   in Loop: Header=BB6_4246 Depth=3
	s_or_b32 exec_lo, exec_lo, s74
	v_lshlrev_b32_e32 v0, 24, v0
	s_delay_alu instid0(VALU_DEP_2) | instskip(SKIP_1) | instid1(VALU_DEP_3)
	v_lshlrev_b32_e32 v2, 20, v24
	v_lshl_add_u32 v24, v32, 23, 0x3c000000
	v_and_b32_e32 v0, 0x80000000, v0
	s_delay_alu instid0(VALU_DEP_1)
	v_or3_b32 v32, v2, v0, v24
.LBB6_5096:                             ;   in Loop: Header=BB6_4246 Depth=3
	s_or_b32 exec_lo, exec_lo, s45
.LBB6_5097:                             ;   in Loop: Header=BB6_4246 Depth=3
	s_delay_alu instid0(SALU_CYCLE_1)
	s_or_b32 exec_lo, exec_lo, s44
.LBB6_5098:                             ;   in Loop: Header=BB6_4246 Depth=3
	s_delay_alu instid0(SALU_CYCLE_1) | instskip(NEXT) | instid1(VALU_DEP_1)
	s_or_b32 exec_lo, exec_lo, s13
	v_add_f32_e32 v0, v33, v32
                                        ; implicit-def: $vgpr79
	s_mov_b32 s13, exec_lo
	s_delay_alu instid0(VALU_DEP_1) | instskip(SKIP_1) | instid1(VALU_DEP_2)
	v_and_b32_e32 v2, 0x7f800000, v0
	v_lshrrev_b32_e32 v24, 24, v0
	v_cmpx_ne_u64_e32 0x7f800000, v[2:3]
	s_xor_b32 s44, exec_lo, s13
	s_cbranch_execz .LBB6_5112
; %bb.5099:                             ;   in Loop: Header=BB6_4246 Depth=3
	v_and_b32_e32 v2, 0x7fffffff, v0
	v_and_b32_e32 v53, 0x80, v24
                                        ; implicit-def: $vgpr79
	s_mov_b32 s13, exec_lo
	s_delay_alu instid0(VALU_DEP_2)
	v_cmpx_gt_u64_e32 0x43e00001, v[2:3]
	s_xor_b32 s45, exec_lo, s13
	s_cbranch_execz .LBB6_5109
; %bb.5100:                             ;   in Loop: Header=BB6_4246 Depth=3
	v_mov_b32_e32 v79, 0
	s_mov_b32 s74, exec_lo
	v_cmpx_ne_u32_e32 0, v0
	s_cbranch_execz .LBB6_5108
; %bb.5101:                             ;   in Loop: Header=BB6_4246 Depth=3
	v_bfe_u32 v66, v0, 23, 8
	v_and_b32_e32 v2, 0x7fffff, v0
	s_delay_alu instid0(VALU_DEP_2) | instskip(SKIP_2) | instid1(VALU_DEP_4)
	v_cmp_gt_u32_e64 s13, 0x7a, v66
	v_sub_nc_u32_e32 v0, 0x79, v66
	v_cmp_eq_u32_e32 vcc_lo, 0, v66
	v_or_b32_e32 v24, 0x800000, v2
	s_delay_alu instid0(VALU_DEP_1) | instskip(NEXT) | instid1(VALU_DEP_1)
	v_dual_cndmask_b32 v0, 0, v0, s13 :: v_dual_cndmask_b32 v2, v24, v2, vcc_lo
	v_cndmask_b32_e64 v0, v0, 0x78, vcc_lo
	s_delay_alu instid0(VALU_DEP_1) | instskip(NEXT) | instid1(VALU_DEP_1)
	v_dual_add_nc_u32 v24, 20, v0 :: v_dual_add_nc_u32 v32, 19, v0
	v_lshlrev_b64_e64 v[24:25], v24, -1
	s_delay_alu instid0(VALU_DEP_2) | instskip(NEXT) | instid1(VALU_DEP_2)
	v_lshlrev_b64_e64 v[32:33], v32, 1
	v_bfi_b32 v25, v25, 0, 0
	s_delay_alu instid0(VALU_DEP_3) | instskip(NEXT) | instid1(VALU_DEP_1)
	v_bfi_b32 v24, v24, 0, v2
	v_cmp_eq_u64_e64 s13, v[24:25], v[32:33]
	v_lshrrev_b64 v[24:25], v0, v[2:3]
	s_delay_alu instid0(VALU_DEP_1)
	v_mov_b64_e32 v[32:33], v[24:25]
	s_and_saveexec_b32 s75, s13
; %bb.5102:                             ;   in Loop: Header=BB6_4246 Depth=3
	v_bfe_u32 v2, v24, 20, 1
	s_delay_alu instid0(VALU_DEP_1) | instskip(NEXT) | instid1(VALU_DEP_1)
	v_add_nc_u64_e32 v[32:33], v[24:25], v[2:3]
	v_add_nc_u64_e32 v[32:33], -1, v[32:33]
; %bb.5103:                             ;   in Loop: Header=BB6_4246 Depth=3
	s_or_b32 exec_lo, exec_lo, s75
	v_add_nc_u32_e32 v2, 0xffffff81, v66
	v_lshrrev_b32_e32 v25, 23, v24
	s_mov_b32 s13, exec_lo
	s_delay_alu instid0(VALU_DEP_2) | instskip(NEXT) | instid1(VALU_DEP_1)
	v_cndmask_b32_e64 v2, v2, 0xffffff82, vcc_lo
	v_add3_u32 v33, v0, v2, v25
	v_and_b32_e32 v0, 0xfffff, v32
	s_delay_alu instid0(VALU_DEP_1) | instskip(NEXT) | instid1(VALU_DEP_1)
	v_dual_add_nc_u32 v32, 6, v33 :: v_dual_add_nc_u32 v2, v0, v24
                                        ; implicit-def: $vgpr24_vgpr25
                                        ; implicit-def: $vgpr0
	v_cmpx_ne_u32_e32 0, v32
	s_xor_b32 s13, exec_lo, s13
; %bb.5104:                             ;   in Loop: Header=BB6_4246 Depth=3
	s_delay_alu instid0(VALU_DEP_2) | instskip(SKIP_2) | instid1(VALU_DEP_2)
	v_cmp_lt_u64_e32 vcc_lo, 0xffffff, v[2:3]
	v_add_nc_u32_e32 v0, 7, v33
	v_cndmask_b32_e64 v24, 0, 1, vcc_lo
	v_cndmask_b32_e32 v0, v32, v0, vcc_lo
	s_delay_alu instid0(VALU_DEP_2)
	v_lshrrev_b64 v[24:25], v24, v[2:3]
; %bb.5105:                             ;   in Loop: Header=BB6_4246 Depth=3
	s_and_not1_saveexec_b32 s13, s13
; %bb.5106:                             ;   in Loop: Header=BB6_4246 Depth=3
	v_mov_b64_e32 v[24:25], v[2:3]
	v_bfe_u32 v0, v2, 23, 1
; %bb.5107:                             ;   in Loop: Header=BB6_4246 Depth=3
	s_or_b32 exec_lo, exec_lo, s13
	s_delay_alu instid0(VALU_DEP_2) | instskip(NEXT) | instid1(VALU_DEP_2)
	v_lshrrev_b64 v[24:25], 20, v[24:25]
	v_cmp_gt_i32_e32 vcc_lo, 16, v0
	v_min_i32_e32 v2, 15, v0
	v_cmp_eq_u32_e64 s13, 0, v0
	s_delay_alu instid0(VALU_DEP_2) | instskip(SKIP_1) | instid1(VALU_DEP_2)
	v_dual_cndmask_b32 v25, 0, v25 :: v_dual_lshlrev_b32 v2, 3, v2
	v_cndmask_b32_e32 v24, 7, v24, vcc_lo
	v_and_b32_e32 v2, 0xf8, v2
	s_delay_alu instid0(VALU_DEP_2) | instskip(NEXT) | instid1(VALU_DEP_2)
	v_cmp_eq_u64_e32 vcc_lo, 0, v[24:25]
	v_and_or_b32 v0, v24, 7, v2
	s_and_b32 s13, s13, vcc_lo
	s_delay_alu instid0(VALU_DEP_1) | instid1(SALU_CYCLE_1)
	v_cndmask_b32_e64 v0, v0, 0, s13
	s_delay_alu instid0(VALU_DEP_1)
	v_or_b32_e32 v79, v0, v53
.LBB6_5108:                             ;   in Loop: Header=BB6_4246 Depth=3
	s_or_b32 exec_lo, exec_lo, s74
                                        ; implicit-def: $vgpr53
.LBB6_5109:                             ;   in Loop: Header=BB6_4246 Depth=3
	s_and_not1_saveexec_b32 s13, s45
; %bb.5110:                             ;   in Loop: Header=BB6_4246 Depth=3
	v_or_b32_e32 v79, 0x7e, v53
; %bb.5111:                             ;   in Loop: Header=BB6_4246 Depth=3
	s_or_b32 exec_lo, exec_lo, s13
                                        ; implicit-def: $vgpr24
.LBB6_5112:                             ;   in Loop: Header=BB6_4246 Depth=3
	s_and_not1_saveexec_b32 s13, s44
; %bb.5113:                             ;   in Loop: Header=BB6_4246 Depth=3
	v_or_b32_e32 v79, 0x7f, v24
; %bb.5114:                             ;   in Loop: Header=BB6_4246 Depth=3
	s_or_b32 exec_lo, exec_lo, s13
	v_and_b32_e32 v0, 0xff, v35
	v_dual_mov_b32 v2, v35 :: v_dual_mov_b32 v24, 0
	v_mov_b32_e32 v25, 0
	s_mov_b32 s13, exec_lo
	s_delay_alu instid0(VALU_DEP_3)
	v_cmpx_ne_u16_e32 0, v0
	s_cbranch_execz .LBB6_5120
; %bb.5115:                             ;   in Loop: Header=BB6_4246 Depth=3
	v_bfrev_b32_e32 v25, 1
	s_mov_b32 s44, exec_lo
	v_cmpx_ne_u16_e32 0x80, v0
	s_cbranch_execz .LBB6_5119
; %bb.5116:                             ;   in Loop: Header=BB6_4246 Depth=3
	v_and_b32_e32 v0, 0x7f, v35
	v_mov_b32_e32 v25, 0x7f800001
	s_mov_b32 s45, exec_lo
	s_delay_alu instid0(VALU_DEP_2)
	v_cmpx_ne_u32_e32 0x7f, v0
	s_cbranch_execz .LBB6_5118
; %bb.5117:                             ;   in Loop: Header=BB6_4246 Depth=3
	v_dual_lshrrev_b32 v32, 3, v0 :: v_dual_bitop2_b32 v25, 7, v35 bitop3:0x40
	v_cmp_gt_u32_e32 vcc_lo, 8, v0
	s_delay_alu instid0(VALU_DEP_2) | instskip(NEXT) | instid1(VALU_DEP_1)
	v_clz_i32_u32_e32 v0, v25
	v_min_u32_e32 v0, 32, v0
	s_delay_alu instid0(VALU_DEP_1) | instskip(NEXT) | instid1(VALU_DEP_1)
	v_subrev_nc_u32_e32 v25, 28, v0
	v_dual_cndmask_b32 v25, 0, v25 :: v_dual_sub_nc_u32 v0, 29, v0
	s_delay_alu instid0(VALU_DEP_1) | instskip(NEXT) | instid1(VALU_DEP_2)
	v_cndmask_b32_e32 v0, v32, v0, vcc_lo
	v_lshlrev_b64_e32 v[32:33], v25, v[2:3]
	s_delay_alu instid0(VALU_DEP_1) | instskip(NEXT) | instid1(VALU_DEP_3)
	v_dual_lshlrev_b32 v25, 20, v32 :: v_dual_lshlrev_b32 v32, 24, v2
	v_lshl_add_u32 v0, v0, 23, 0x3c000000
	s_delay_alu instid0(VALU_DEP_2) | instskip(NEXT) | instid1(VALU_DEP_3)
	v_and_b32_e32 v25, 0x700000, v25
	v_and_b32_e32 v32, 0x80000000, v32
	s_delay_alu instid0(VALU_DEP_1)
	v_or3_b32 v25, v25, v32, v0
.LBB6_5118:                             ;   in Loop: Header=BB6_4246 Depth=3
	s_or_b32 exec_lo, exec_lo, s45
.LBB6_5119:                             ;   in Loop: Header=BB6_4246 Depth=3
	s_delay_alu instid0(SALU_CYCLE_1)
	s_or_b32 exec_lo, exec_lo, s44
.LBB6_5120:                             ;   in Loop: Header=BB6_4246 Depth=3
	s_delay_alu instid0(SALU_CYCLE_1) | instskip(SKIP_2) | instid1(VALU_DEP_1)
	s_or_b32 exec_lo, exec_lo, s13
	v_and_b32_e32 v0, 0xff, v27
	s_mov_b32 s13, exec_lo
	v_cmpx_ne_u16_e32 0, v0
	s_cbranch_execz .LBB6_5126
; %bb.5121:                             ;   in Loop: Header=BB6_4246 Depth=3
	v_bfrev_b32_e32 v24, 1
	s_mov_b32 s44, exec_lo
	v_cmpx_ne_u16_e32 0x80, v0
	s_cbranch_execz .LBB6_5125
; %bb.5122:                             ;   in Loop: Header=BB6_4246 Depth=3
	v_and_b32_e32 v0, 0x7f, v27
	v_mov_b32_e32 v24, 0x7f800001
	s_mov_b32 s45, exec_lo
	s_delay_alu instid0(VALU_DEP_2)
	v_cmpx_ne_u32_e32 0x7f, v0
	s_cbranch_execz .LBB6_5124
; %bb.5123:                             ;   in Loop: Header=BB6_4246 Depth=3
	v_dual_lshrrev_b32 v52, 3, v0 :: v_dual_bitop2_b32 v24, 7, v27 bitop3:0x40
	v_cmp_gt_u32_e32 vcc_lo, 8, v0
	v_mov_b32_e32 v32, v27
	s_delay_alu instid0(VALU_DEP_3) | instskip(NEXT) | instid1(VALU_DEP_1)
	v_clz_i32_u32_e32 v24, v24
	v_min_u32_e32 v24, 32, v24
	s_delay_alu instid0(VALU_DEP_1) | instskip(SKIP_1) | instid1(VALU_DEP_1)
	v_subrev_nc_u32_e32 v0, 28, v24
	v_dual_sub_nc_u32 v53, 29, v24 :: v_dual_mov_b32 v33, v3
	v_dual_cndmask_b32 v0, 0, v0, vcc_lo :: v_dual_cndmask_b32 v24, v52, v53, vcc_lo
	s_delay_alu instid0(VALU_DEP_1) | instskip(SKIP_1) | instid1(VALU_DEP_3)
	v_lshlrev_b64_e32 v[52:53], v0, v[32:33]
	v_lshlrev_b32_e32 v0, 24, v32
	v_lshl_add_u32 v24, v24, 23, 0x3c000000
	s_delay_alu instid0(VALU_DEP_2) | instskip(NEXT) | instid1(VALU_DEP_4)
	v_and_b32_e32 v0, 0x80000000, v0
	v_lshlrev_b32_e32 v32, 20, v52
	s_delay_alu instid0(VALU_DEP_1) | instskip(NEXT) | instid1(VALU_DEP_1)
	v_and_b32_e32 v32, 0x700000, v32
	v_or3_b32 v24, v32, v0, v24
.LBB6_5124:                             ;   in Loop: Header=BB6_4246 Depth=3
	s_or_b32 exec_lo, exec_lo, s45
.LBB6_5125:                             ;   in Loop: Header=BB6_4246 Depth=3
	s_delay_alu instid0(SALU_CYCLE_1)
	s_or_b32 exec_lo, exec_lo, s44
.LBB6_5126:                             ;   in Loop: Header=BB6_4246 Depth=3
	s_delay_alu instid0(SALU_CYCLE_1) | instskip(NEXT) | instid1(VALU_DEP_1)
	s_or_b32 exec_lo, exec_lo, s13
	v_dual_add_f32 v0, v25, v24 :: v_dual_mov_b32 v25, v3
                                        ; implicit-def: $vgpr53
	s_delay_alu instid0(VALU_DEP_1) | instskip(NEXT) | instid1(VALU_DEP_1)
	v_and_b32_e32 v24, 0x7f800000, v0
	v_cmp_ne_u64_e32 vcc_lo, 0x7f800000, v[24:25]
	v_lshrrev_b32_e32 v24, 24, v0
	s_and_saveexec_b32 s13, vcc_lo
	s_delay_alu instid0(SALU_CYCLE_1)
	s_xor_b32 s44, exec_lo, s13
	s_cbranch_execz .LBB6_5140
; %bb.5127:                             ;   in Loop: Header=BB6_4246 Depth=3
	v_and_b32_e32 v32, 0x7fffffff, v0
	v_mov_b32_e32 v33, v3
	v_and_b32_e32 v66, 0x80, v24
                                        ; implicit-def: $vgpr53
	s_mov_b32 s13, exec_lo
	s_delay_alu instid0(VALU_DEP_2)
	v_cmpx_gt_u64_e32 0x43e00001, v[32:33]
	s_xor_b32 s45, exec_lo, s13
	s_cbranch_execz .LBB6_5137
; %bb.5128:                             ;   in Loop: Header=BB6_4246 Depth=3
	v_mov_b32_e32 v53, 0
	s_mov_b32 s74, exec_lo
	v_cmpx_ne_u32_e32 0, v0
	s_cbranch_execz .LBB6_5136
; %bb.5129:                             ;   in Loop: Header=BB6_4246 Depth=3
	v_and_b32_e32 v24, 0x7fffff, v0
	v_bfe_u32 v53, v0, 23, 8
	s_delay_alu instid0(VALU_DEP_2) | instskip(NEXT) | instid1(VALU_DEP_2)
	v_or_b32_e32 v25, 0x800000, v24
	v_cmp_eq_u32_e32 vcc_lo, 0, v53
	v_cmp_gt_u32_e64 s13, 0x7a, v53
	v_sub_nc_u32_e32 v0, 0x79, v53
	s_delay_alu instid0(VALU_DEP_4) | instskip(NEXT) | instid1(VALU_DEP_2)
	v_dual_cndmask_b32 v24, v25, v24 :: v_dual_mov_b32 v25, v3
	v_cndmask_b32_e64 v0, 0, v0, s13
	s_delay_alu instid0(VALU_DEP_1) | instskip(NEXT) | instid1(VALU_DEP_1)
	v_cndmask_b32_e64 v0, v0, 0x78, vcc_lo
	v_dual_add_nc_u32 v32, 20, v0 :: v_dual_add_nc_u32 v52, 19, v0
	s_delay_alu instid0(VALU_DEP_1) | instskip(NEXT) | instid1(VALU_DEP_2)
	v_lshlrev_b64_e64 v[32:33], v32, -1
	v_lshlrev_b64_e64 v[96:97], v52, 1
	s_delay_alu instid0(VALU_DEP_2) | instskip(SKIP_1) | instid1(VALU_DEP_4)
	v_bfi_b32 v32, v32, 0, v24
	v_lshrrev_b64 v[24:25], v0, v[24:25]
	v_bfi_b32 v33, v33, 0, 0
	s_delay_alu instid0(VALU_DEP_1) | instskip(NEXT) | instid1(VALU_DEP_3)
	v_cmp_eq_u64_e64 s13, v[32:33], v[96:97]
	v_mov_b64_e32 v[32:33], v[24:25]
	s_and_saveexec_b32 s75, s13
; %bb.5130:                             ;   in Loop: Header=BB6_4246 Depth=3
	v_bfe_u32 v32, v24, 20, 1
	v_mov_b32_e32 v33, v3
	s_delay_alu instid0(VALU_DEP_1) | instskip(NEXT) | instid1(VALU_DEP_1)
	v_add_nc_u64_e32 v[32:33], v[24:25], v[32:33]
	v_add_nc_u64_e32 v[32:33], -1, v[32:33]
; %bb.5131:                             ;   in Loop: Header=BB6_4246 Depth=3
	s_or_b32 exec_lo, exec_lo, s75
	v_add_nc_u32_e32 v25, 0xffffff81, v53
	v_lshrrev_b32_e32 v33, 23, v24
	s_mov_b32 s13, exec_lo
	s_delay_alu instid0(VALU_DEP_2) | instskip(NEXT) | instid1(VALU_DEP_1)
	v_cndmask_b32_e64 v25, v25, 0xffffff82, vcc_lo
	v_add3_u32 v33, v0, v25, v33
	v_and_b32_e32 v0, 0xfffff, v32
	s_delay_alu instid0(VALU_DEP_2) | instskip(NEXT) | instid1(VALU_DEP_2)
	v_dual_mov_b32 v25, v3 :: v_dual_add_nc_u32 v32, 6, v33
	v_add_nc_u32_e32 v24, v0, v24
                                        ; implicit-def: $vgpr0
	s_delay_alu instid0(VALU_DEP_2)
	v_cmpx_ne_u32_e32 0, v32
	s_xor_b32 s13, exec_lo, s13
; %bb.5132:                             ;   in Loop: Header=BB6_4246 Depth=3
	s_delay_alu instid0(VALU_DEP_2) | instskip(SKIP_1) | instid1(VALU_DEP_1)
	v_cmp_lt_u64_e32 vcc_lo, 0xffffff, v[24:25]
	v_add_nc_u32_e32 v0, 7, v33
	v_cndmask_b32_e32 v0, v32, v0, vcc_lo
	v_cndmask_b32_e64 v32, 0, 1, vcc_lo
	s_delay_alu instid0(VALU_DEP_1)
	v_lshrrev_b64 v[24:25], v32, v[24:25]
; %bb.5133:                             ;   in Loop: Header=BB6_4246 Depth=3
	s_and_not1_saveexec_b32 s13, s13
; %bb.5134:                             ;   in Loop: Header=BB6_4246 Depth=3
	s_delay_alu instid0(VALU_DEP_1)
	v_bfe_u32 v0, v24, 23, 1
; %bb.5135:                             ;   in Loop: Header=BB6_4246 Depth=3
	s_or_b32 exec_lo, exec_lo, s13
	s_delay_alu instid0(VALU_DEP_2) | instskip(NEXT) | instid1(VALU_DEP_2)
	v_lshrrev_b64 v[24:25], 20, v[24:25]
	v_cmp_gt_i32_e32 vcc_lo, 16, v0
	v_min_i32_e32 v32, 15, v0
	v_cmp_eq_u32_e64 s13, 0, v0
	s_delay_alu instid0(VALU_DEP_2) | instskip(SKIP_1) | instid1(VALU_DEP_2)
	v_dual_cndmask_b32 v25, 0, v25 :: v_dual_lshlrev_b32 v32, 3, v32
	v_cndmask_b32_e32 v24, 7, v24, vcc_lo
	v_and_b32_e32 v32, 0xf8, v32
	s_delay_alu instid0(VALU_DEP_2) | instskip(NEXT) | instid1(VALU_DEP_2)
	v_cmp_eq_u64_e32 vcc_lo, 0, v[24:25]
	v_and_or_b32 v0, v24, 7, v32
	s_and_b32 s13, s13, vcc_lo
	s_delay_alu instid0(VALU_DEP_1) | instid1(SALU_CYCLE_1)
	v_cndmask_b32_e64 v0, v0, 0, s13
	s_delay_alu instid0(VALU_DEP_1)
	v_or_b32_e32 v53, v0, v66
.LBB6_5136:                             ;   in Loop: Header=BB6_4246 Depth=3
	s_or_b32 exec_lo, exec_lo, s74
                                        ; implicit-def: $vgpr66
.LBB6_5137:                             ;   in Loop: Header=BB6_4246 Depth=3
	s_and_not1_saveexec_b32 s13, s45
; %bb.5138:                             ;   in Loop: Header=BB6_4246 Depth=3
	v_or_b32_e32 v53, 0x7e, v66
; %bb.5139:                             ;   in Loop: Header=BB6_4246 Depth=3
	s_or_b32 exec_lo, exec_lo, s13
                                        ; implicit-def: $vgpr24
.LBB6_5140:                             ;   in Loop: Header=BB6_4246 Depth=3
	s_and_not1_saveexec_b32 s13, s44
; %bb.5141:                             ;   in Loop: Header=BB6_4246 Depth=3
	v_or_b32_e32 v53, 0x7f, v24
; %bb.5142:                             ;   in Loop: Header=BB6_4246 Depth=3
	s_or_b32 exec_lo, exec_lo, s13
	v_lshrrev_b16 v0, 8, v2
	v_dual_mov_b32 v32, 0 :: v_dual_mov_b32 v33, 0
	s_mov_b32 s13, exec_lo
	s_delay_alu instid0(VALU_DEP_2)
	v_cmpx_ne_u16_e32 0, v0
	s_cbranch_execz .LBB6_5150
; %bb.5143:                             ;   in Loop: Header=BB6_4246 Depth=3
	v_bfrev_b32_e32 v33, 1
	s_mov_b32 s44, exec_lo
	v_cmpx_ne_u16_e32 0x80, v0
	s_cbranch_execz .LBB6_5149
; %bb.5144:                             ;   in Loop: Header=BB6_4246 Depth=3
	v_and_b32_e32 v0, 0xffff, v0
	v_mov_b32_e32 v33, 0x7f800001
	s_mov_b32 s45, exec_lo
	s_delay_alu instid0(VALU_DEP_2) | instskip(NEXT) | instid1(VALU_DEP_1)
	v_and_b32_e32 v52, 0x7f, v0
	v_cmpx_ne_u32_e32 0x7f, v52
	s_cbranch_execz .LBB6_5148
; %bb.5145:                             ;   in Loop: Header=BB6_4246 Depth=3
	v_dual_mov_b32 v25, v3 :: v_dual_bitop2_b32 v24, 7, v0 bitop3:0x40
	v_lshrrev_b32_e32 v0, 3, v52
	s_mov_b32 s74, exec_lo
	v_cmpx_gt_u32_e32 8, v52
; %bb.5146:                             ;   in Loop: Header=BB6_4246 Depth=3
	s_delay_alu instid0(VALU_DEP_3) | instskip(NEXT) | instid1(VALU_DEP_1)
	v_clz_i32_u32_e32 v0, v24
	v_min_u32_e32 v0, 32, v0
	s_delay_alu instid0(VALU_DEP_1) | instskip(SKIP_1) | instid1(VALU_DEP_2)
	v_subrev_nc_u32_e32 v33, 28, v0
	v_sub_nc_u32_e32 v0, 29, v0
	v_lshlrev_b64_e32 v[24:25], v33, v[24:25]
	s_delay_alu instid0(VALU_DEP_1)
	v_and_b32_e32 v24, 7, v24
; %bb.5147:                             ;   in Loop: Header=BB6_4246 Depth=3
	s_or_b32 exec_lo, exec_lo, s74
	s_delay_alu instid0(VALU_DEP_1) | instskip(SKIP_1) | instid1(VALU_DEP_2)
	v_dual_lshlrev_b32 v2, 16, v2 :: v_dual_lshlrev_b32 v24, 20, v24
	v_lshl_add_u32 v0, v0, 23, 0x3c000000
	v_and_b32_e32 v2, 0x80000000, v2
	s_delay_alu instid0(VALU_DEP_1)
	v_or3_b32 v33, v24, v2, v0
.LBB6_5148:                             ;   in Loop: Header=BB6_4246 Depth=3
	s_or_b32 exec_lo, exec_lo, s45
.LBB6_5149:                             ;   in Loop: Header=BB6_4246 Depth=3
	s_delay_alu instid0(SALU_CYCLE_1)
	s_or_b32 exec_lo, exec_lo, s44
.LBB6_5150:                             ;   in Loop: Header=BB6_4246 Depth=3
	s_delay_alu instid0(SALU_CYCLE_1) | instskip(SKIP_2) | instid1(VALU_DEP_1)
	s_or_b32 exec_lo, exec_lo, s13
	v_lshrrev_b16 v0, 8, v27
	s_mov_b32 s13, exec_lo
	v_cmpx_ne_u16_e32 0, v0
	s_cbranch_execz .LBB6_5158
; %bb.5151:                             ;   in Loop: Header=BB6_4246 Depth=3
	v_bfrev_b32_e32 v32, 1
	s_mov_b32 s44, exec_lo
	v_cmpx_ne_u16_e32 0x80, v0
	s_cbranch_execz .LBB6_5157
; %bb.5152:                             ;   in Loop: Header=BB6_4246 Depth=3
	v_and_b32_e32 v0, 0xffff, v0
	v_mov_b32_e32 v32, 0x7f800001
	s_mov_b32 s45, exec_lo
	s_delay_alu instid0(VALU_DEP_2) | instskip(NEXT) | instid1(VALU_DEP_1)
	v_and_b32_e32 v24, 0x7f, v0
	v_cmpx_ne_u32_e32 0x7f, v24
	s_cbranch_execz .LBB6_5156
; %bb.5153:                             ;   in Loop: Header=BB6_4246 Depth=3
	v_and_b32_e32 v2, 7, v0
	v_lshrrev_b32_e32 v0, 3, v24
	v_cmp_gt_u32_e32 vcc_lo, 8, v24
	s_delay_alu instid0(VALU_DEP_3)
	v_mov_b64_e32 v[24:25], v[2:3]
	s_and_saveexec_b32 s74, vcc_lo
; %bb.5154:                             ;   in Loop: Header=BB6_4246 Depth=3
	v_clz_i32_u32_e32 v0, v2
	s_delay_alu instid0(VALU_DEP_1) | instskip(NEXT) | instid1(VALU_DEP_1)
	v_min_u32_e32 v0, 32, v0
	v_subrev_nc_u32_e32 v24, 28, v0
	v_sub_nc_u32_e32 v0, 29, v0
	s_delay_alu instid0(VALU_DEP_2) | instskip(NEXT) | instid1(VALU_DEP_1)
	v_lshlrev_b64_e32 v[24:25], v24, v[2:3]
	v_and_b32_e32 v24, 7, v24
; %bb.5155:                             ;   in Loop: Header=BB6_4246 Depth=3
	s_or_b32 exec_lo, exec_lo, s74
	s_delay_alu instid0(VALU_DEP_1) | instskip(SKIP_1) | instid1(VALU_DEP_2)
	v_dual_lshlrev_b32 v2, 16, v27 :: v_dual_lshlrev_b32 v24, 20, v24
	v_lshl_add_u32 v0, v0, 23, 0x3c000000
	v_and_b32_e32 v2, 0x80000000, v2
	s_delay_alu instid0(VALU_DEP_1)
	v_or3_b32 v32, v24, v2, v0
.LBB6_5156:                             ;   in Loop: Header=BB6_4246 Depth=3
	s_or_b32 exec_lo, exec_lo, s45
.LBB6_5157:                             ;   in Loop: Header=BB6_4246 Depth=3
	s_delay_alu instid0(SALU_CYCLE_1)
	s_or_b32 exec_lo, exec_lo, s44
.LBB6_5158:                             ;   in Loop: Header=BB6_4246 Depth=3
	s_delay_alu instid0(SALU_CYCLE_1) | instskip(NEXT) | instid1(VALU_DEP_1)
	s_or_b32 exec_lo, exec_lo, s13
	v_add_f32_e32 v0, v33, v32
                                        ; implicit-def: $vgpr90
	s_mov_b32 s13, exec_lo
	s_delay_alu instid0(VALU_DEP_1) | instskip(SKIP_1) | instid1(VALU_DEP_2)
	v_and_b32_e32 v2, 0x7f800000, v0
	v_lshrrev_b32_e32 v24, 24, v0
	v_cmpx_ne_u64_e32 0x7f800000, v[2:3]
	s_xor_b32 s44, exec_lo, s13
	s_cbranch_execz .LBB6_5172
; %bb.5159:                             ;   in Loop: Header=BB6_4246 Depth=3
	v_and_b32_e32 v2, 0x7fffffff, v0
	v_and_b32_e32 v66, 0x80, v24
                                        ; implicit-def: $vgpr90
	s_mov_b32 s13, exec_lo
	s_delay_alu instid0(VALU_DEP_2)
	v_cmpx_gt_u64_e32 0x43e00001, v[2:3]
	s_xor_b32 s45, exec_lo, s13
	s_cbranch_execz .LBB6_5169
; %bb.5160:                             ;   in Loop: Header=BB6_4246 Depth=3
	v_mov_b32_e32 v90, 0
	s_mov_b32 s74, exec_lo
	v_cmpx_ne_u32_e32 0, v0
	s_cbranch_execz .LBB6_5168
; %bb.5161:                             ;   in Loop: Header=BB6_4246 Depth=3
	v_bfe_u32 v67, v0, 23, 8
	v_and_b32_e32 v2, 0x7fffff, v0
	s_delay_alu instid0(VALU_DEP_2) | instskip(SKIP_2) | instid1(VALU_DEP_4)
	v_cmp_gt_u32_e64 s13, 0x7a, v67
	v_sub_nc_u32_e32 v0, 0x79, v67
	v_cmp_eq_u32_e32 vcc_lo, 0, v67
	v_or_b32_e32 v24, 0x800000, v2
	s_delay_alu instid0(VALU_DEP_1) | instskip(NEXT) | instid1(VALU_DEP_1)
	v_dual_cndmask_b32 v0, 0, v0, s13 :: v_dual_cndmask_b32 v2, v24, v2, vcc_lo
	v_cndmask_b32_e64 v0, v0, 0x78, vcc_lo
	s_delay_alu instid0(VALU_DEP_1) | instskip(NEXT) | instid1(VALU_DEP_1)
	v_dual_add_nc_u32 v24, 20, v0 :: v_dual_add_nc_u32 v32, 19, v0
	v_lshlrev_b64_e64 v[24:25], v24, -1
	s_delay_alu instid0(VALU_DEP_2) | instskip(NEXT) | instid1(VALU_DEP_2)
	v_lshlrev_b64_e64 v[32:33], v32, 1
	v_bfi_b32 v25, v25, 0, 0
	s_delay_alu instid0(VALU_DEP_3) | instskip(NEXT) | instid1(VALU_DEP_1)
	v_bfi_b32 v24, v24, 0, v2
	v_cmp_eq_u64_e64 s13, v[24:25], v[32:33]
	v_lshrrev_b64 v[24:25], v0, v[2:3]
	s_delay_alu instid0(VALU_DEP_1)
	v_mov_b64_e32 v[32:33], v[24:25]
	s_and_saveexec_b32 s75, s13
; %bb.5162:                             ;   in Loop: Header=BB6_4246 Depth=3
	v_bfe_u32 v2, v24, 20, 1
	s_delay_alu instid0(VALU_DEP_1) | instskip(NEXT) | instid1(VALU_DEP_1)
	v_add_nc_u64_e32 v[32:33], v[24:25], v[2:3]
	v_add_nc_u64_e32 v[32:33], -1, v[32:33]
; %bb.5163:                             ;   in Loop: Header=BB6_4246 Depth=3
	s_or_b32 exec_lo, exec_lo, s75
	v_add_nc_u32_e32 v2, 0xffffff81, v67
	v_lshrrev_b32_e32 v25, 23, v24
	s_mov_b32 s13, exec_lo
	s_delay_alu instid0(VALU_DEP_2) | instskip(NEXT) | instid1(VALU_DEP_1)
	v_cndmask_b32_e64 v2, v2, 0xffffff82, vcc_lo
	v_add3_u32 v33, v0, v2, v25
	v_and_b32_e32 v0, 0xfffff, v32
	s_delay_alu instid0(VALU_DEP_1) | instskip(NEXT) | instid1(VALU_DEP_1)
	v_dual_add_nc_u32 v32, 6, v33 :: v_dual_add_nc_u32 v2, v0, v24
                                        ; implicit-def: $vgpr24_vgpr25
                                        ; implicit-def: $vgpr0
	v_cmpx_ne_u32_e32 0, v32
	s_xor_b32 s13, exec_lo, s13
; %bb.5164:                             ;   in Loop: Header=BB6_4246 Depth=3
	s_delay_alu instid0(VALU_DEP_2) | instskip(SKIP_2) | instid1(VALU_DEP_2)
	v_cmp_lt_u64_e32 vcc_lo, 0xffffff, v[2:3]
	v_add_nc_u32_e32 v0, 7, v33
	v_cndmask_b32_e64 v24, 0, 1, vcc_lo
	v_cndmask_b32_e32 v0, v32, v0, vcc_lo
	s_delay_alu instid0(VALU_DEP_2)
	v_lshrrev_b64 v[24:25], v24, v[2:3]
; %bb.5165:                             ;   in Loop: Header=BB6_4246 Depth=3
	s_and_not1_saveexec_b32 s13, s13
; %bb.5166:                             ;   in Loop: Header=BB6_4246 Depth=3
	v_mov_b64_e32 v[24:25], v[2:3]
	v_bfe_u32 v0, v2, 23, 1
; %bb.5167:                             ;   in Loop: Header=BB6_4246 Depth=3
	s_or_b32 exec_lo, exec_lo, s13
	s_delay_alu instid0(VALU_DEP_2) | instskip(NEXT) | instid1(VALU_DEP_2)
	v_lshrrev_b64 v[24:25], 20, v[24:25]
	v_cmp_gt_i32_e32 vcc_lo, 16, v0
	v_min_i32_e32 v2, 15, v0
	v_cmp_eq_u32_e64 s13, 0, v0
	s_delay_alu instid0(VALU_DEP_2) | instskip(SKIP_1) | instid1(VALU_DEP_2)
	v_dual_cndmask_b32 v25, 0, v25 :: v_dual_lshlrev_b32 v2, 3, v2
	v_cndmask_b32_e32 v24, 7, v24, vcc_lo
	v_and_b32_e32 v2, 0xf8, v2
	s_delay_alu instid0(VALU_DEP_2) | instskip(NEXT) | instid1(VALU_DEP_2)
	v_cmp_eq_u64_e32 vcc_lo, 0, v[24:25]
	v_and_or_b32 v0, v24, 7, v2
	s_and_b32 s13, s13, vcc_lo
	s_delay_alu instid0(VALU_DEP_1) | instid1(SALU_CYCLE_1)
	v_cndmask_b32_e64 v0, v0, 0, s13
	s_delay_alu instid0(VALU_DEP_1)
	v_or_b32_e32 v90, v0, v66
.LBB6_5168:                             ;   in Loop: Header=BB6_4246 Depth=3
	s_or_b32 exec_lo, exec_lo, s74
                                        ; implicit-def: $vgpr66
.LBB6_5169:                             ;   in Loop: Header=BB6_4246 Depth=3
	s_and_not1_saveexec_b32 s13, s45
; %bb.5170:                             ;   in Loop: Header=BB6_4246 Depth=3
	v_or_b32_e32 v90, 0x7e, v66
; %bb.5171:                             ;   in Loop: Header=BB6_4246 Depth=3
	s_or_b32 exec_lo, exec_lo, s13
                                        ; implicit-def: $vgpr24
.LBB6_5172:                             ;   in Loop: Header=BB6_4246 Depth=3
	s_and_not1_saveexec_b32 s13, s44
; %bb.5173:                             ;   in Loop: Header=BB6_4246 Depth=3
	v_or_b32_e32 v90, 0x7f, v24
; %bb.5174:                             ;   in Loop: Header=BB6_4246 Depth=3
	s_or_b32 exec_lo, exec_lo, s13
	v_dual_lshrrev_b32 v0, 16, v35 :: v_dual_mov_b32 v32, 0
	v_mov_b32_e32 v33, 0
	s_mov_b32 s13, exec_lo
	s_delay_alu instid0(VALU_DEP_2) | instskip(NEXT) | instid1(VALU_DEP_1)
	v_and_b32_e32 v2, 0xff, v0
	v_cmpx_ne_u16_e32 0, v2
	s_cbranch_execz .LBB6_5182
; %bb.5175:                             ;   in Loop: Header=BB6_4246 Depth=3
	v_bfrev_b32_e32 v33, 1
	s_mov_b32 s44, exec_lo
	v_cmpx_ne_u16_e32 0x80, v2
	s_cbranch_execz .LBB6_5181
; %bb.5176:                             ;   in Loop: Header=BB6_4246 Depth=3
	v_bfe_u32 v24, v35, 16, 7
	v_mov_b32_e32 v33, 0x7f800001
	s_mov_b32 s45, exec_lo
	s_delay_alu instid0(VALU_DEP_2)
	v_cmpx_ne_u32_e32 0x7f, v24
	s_cbranch_execz .LBB6_5180
; %bb.5177:                             ;   in Loop: Header=BB6_4246 Depth=3
	v_and_b32_e32 v2, 7, v0
	v_lshrrev_b32_e32 v33, 3, v24
	v_cmp_gt_u32_e32 vcc_lo, 8, v24
	s_delay_alu instid0(VALU_DEP_3)
	v_mov_b64_e32 v[24:25], v[2:3]
	s_and_saveexec_b32 s74, vcc_lo
; %bb.5178:                             ;   in Loop: Header=BB6_4246 Depth=3
	v_clz_i32_u32_e32 v24, v2
	s_delay_alu instid0(VALU_DEP_1) | instskip(NEXT) | instid1(VALU_DEP_1)
	v_min_u32_e32 v33, 32, v24
	v_subrev_nc_u32_e32 v24, 28, v33
	s_delay_alu instid0(VALU_DEP_1) | instskip(NEXT) | instid1(VALU_DEP_1)
	v_lshlrev_b64_e32 v[24:25], v24, v[2:3]
	v_dual_sub_nc_u32 v33, 29, v33 :: v_dual_bitop2_b32 v24, 7, v24 bitop3:0x40
; %bb.5179:                             ;   in Loop: Header=BB6_4246 Depth=3
	s_or_b32 exec_lo, exec_lo, s74
	v_lshlrev_b32_e32 v0, 24, v0
	s_delay_alu instid0(VALU_DEP_2) | instskip(NEXT) | instid1(VALU_DEP_3)
	v_lshlrev_b32_e32 v2, 20, v24
	v_lshl_add_u32 v24, v33, 23, 0x3c000000
	s_delay_alu instid0(VALU_DEP_3) | instskip(NEXT) | instid1(VALU_DEP_1)
	v_and_b32_e32 v0, 0x80000000, v0
	v_or3_b32 v33, v2, v0, v24
.LBB6_5180:                             ;   in Loop: Header=BB6_4246 Depth=3
	s_or_b32 exec_lo, exec_lo, s45
.LBB6_5181:                             ;   in Loop: Header=BB6_4246 Depth=3
	s_delay_alu instid0(SALU_CYCLE_1)
	s_or_b32 exec_lo, exec_lo, s44
.LBB6_5182:                             ;   in Loop: Header=BB6_4246 Depth=3
	s_delay_alu instid0(SALU_CYCLE_1) | instskip(SKIP_2) | instid1(VALU_DEP_1)
	s_or_b32 exec_lo, exec_lo, s13
	v_lshrrev_b32_e32 v0, 16, v27
	s_mov_b32 s13, exec_lo
	v_and_b32_e32 v2, 0xff, v0
	s_delay_alu instid0(VALU_DEP_1)
	v_cmpx_ne_u16_e32 0, v2
	s_cbranch_execz .LBB6_5190
; %bb.5183:                             ;   in Loop: Header=BB6_4246 Depth=3
	v_bfrev_b32_e32 v32, 1
	s_mov_b32 s44, exec_lo
	v_cmpx_ne_u16_e32 0x80, v2
	s_cbranch_execz .LBB6_5189
; %bb.5184:                             ;   in Loop: Header=BB6_4246 Depth=3
	v_bfe_u32 v24, v27, 16, 7
	v_mov_b32_e32 v32, 0x7f800001
	s_mov_b32 s45, exec_lo
	s_delay_alu instid0(VALU_DEP_2)
	v_cmpx_ne_u32_e32 0x7f, v24
	s_cbranch_execz .LBB6_5188
; %bb.5185:                             ;   in Loop: Header=BB6_4246 Depth=3
	v_and_b32_e32 v2, 7, v0
	v_lshrrev_b32_e32 v0, 3, v24
	v_cmp_gt_u32_e32 vcc_lo, 8, v24
	s_delay_alu instid0(VALU_DEP_3)
	v_mov_b64_e32 v[24:25], v[2:3]
	s_and_saveexec_b32 s74, vcc_lo
; %bb.5186:                             ;   in Loop: Header=BB6_4246 Depth=3
	v_clz_i32_u32_e32 v0, v2
	s_delay_alu instid0(VALU_DEP_1) | instskip(NEXT) | instid1(VALU_DEP_1)
	v_min_u32_e32 v0, 32, v0
	v_subrev_nc_u32_e32 v24, 28, v0
	v_sub_nc_u32_e32 v0, 29, v0
	s_delay_alu instid0(VALU_DEP_2) | instskip(NEXT) | instid1(VALU_DEP_1)
	v_lshlrev_b64_e32 v[24:25], v24, v[2:3]
	v_and_b32_e32 v24, 7, v24
; %bb.5187:                             ;   in Loop: Header=BB6_4246 Depth=3
	s_or_b32 exec_lo, exec_lo, s74
	s_delay_alu instid0(VALU_DEP_1) | instskip(SKIP_1) | instid1(VALU_DEP_2)
	v_dual_lshlrev_b32 v2, 8, v27 :: v_dual_lshlrev_b32 v24, 20, v24
	v_lshl_add_u32 v0, v0, 23, 0x3c000000
	v_and_b32_e32 v2, 0x80000000, v2
	s_delay_alu instid0(VALU_DEP_1)
	v_or3_b32 v32, v24, v2, v0
.LBB6_5188:                             ;   in Loop: Header=BB6_4246 Depth=3
	s_or_b32 exec_lo, exec_lo, s45
.LBB6_5189:                             ;   in Loop: Header=BB6_4246 Depth=3
	s_delay_alu instid0(SALU_CYCLE_1)
	s_or_b32 exec_lo, exec_lo, s44
.LBB6_5190:                             ;   in Loop: Header=BB6_4246 Depth=3
	s_delay_alu instid0(SALU_CYCLE_1) | instskip(NEXT) | instid1(VALU_DEP_1)
	s_or_b32 exec_lo, exec_lo, s13
	v_add_f32_e32 v0, v33, v32
                                        ; implicit-def: $vgpr32
	s_mov_b32 s13, exec_lo
	s_delay_alu instid0(VALU_DEP_1) | instskip(SKIP_1) | instid1(VALU_DEP_2)
	v_and_b32_e32 v2, 0x7f800000, v0
	v_lshrrev_b32_e32 v24, 24, v0
	v_cmpx_ne_u64_e32 0x7f800000, v[2:3]
	s_xor_b32 s44, exec_lo, s13
	s_cbranch_execz .LBB6_5204
; %bb.5191:                             ;   in Loop: Header=BB6_4246 Depth=3
	v_and_b32_e32 v2, 0x7fffffff, v0
	v_and_b32_e32 v66, 0x80, v24
                                        ; implicit-def: $vgpr32
	s_mov_b32 s13, exec_lo
	s_delay_alu instid0(VALU_DEP_2)
	v_cmpx_gt_u64_e32 0x43e00001, v[2:3]
	s_xor_b32 s45, exec_lo, s13
	s_cbranch_execz .LBB6_5201
; %bb.5192:                             ;   in Loop: Header=BB6_4246 Depth=3
	v_mov_b32_e32 v32, 0
	s_mov_b32 s74, exec_lo
	v_cmpx_ne_u32_e32 0, v0
	s_cbranch_execz .LBB6_5200
; %bb.5193:                             ;   in Loop: Header=BB6_4246 Depth=3
	v_bfe_u32 v67, v0, 23, 8
	v_and_b32_e32 v2, 0x7fffff, v0
	s_delay_alu instid0(VALU_DEP_2) | instskip(SKIP_2) | instid1(VALU_DEP_4)
	v_cmp_gt_u32_e64 s13, 0x7a, v67
	v_sub_nc_u32_e32 v0, 0x79, v67
	v_cmp_eq_u32_e32 vcc_lo, 0, v67
	v_or_b32_e32 v24, 0x800000, v2
	s_delay_alu instid0(VALU_DEP_1) | instskip(NEXT) | instid1(VALU_DEP_1)
	v_dual_cndmask_b32 v0, 0, v0, s13 :: v_dual_cndmask_b32 v2, v24, v2, vcc_lo
	v_cndmask_b32_e64 v0, v0, 0x78, vcc_lo
	s_delay_alu instid0(VALU_DEP_1) | instskip(NEXT) | instid1(VALU_DEP_1)
	v_dual_add_nc_u32 v24, 20, v0 :: v_dual_add_nc_u32 v32, 19, v0
	v_lshlrev_b64_e64 v[24:25], v24, -1
	s_delay_alu instid0(VALU_DEP_2) | instskip(NEXT) | instid1(VALU_DEP_2)
	v_lshlrev_b64_e64 v[32:33], v32, 1
	v_bfi_b32 v25, v25, 0, 0
	s_delay_alu instid0(VALU_DEP_3) | instskip(NEXT) | instid1(VALU_DEP_1)
	v_bfi_b32 v24, v24, 0, v2
	v_cmp_eq_u64_e64 s13, v[24:25], v[32:33]
	v_lshrrev_b64 v[24:25], v0, v[2:3]
	s_delay_alu instid0(VALU_DEP_1)
	v_mov_b64_e32 v[32:33], v[24:25]
	s_and_saveexec_b32 s75, s13
; %bb.5194:                             ;   in Loop: Header=BB6_4246 Depth=3
	v_bfe_u32 v2, v24, 20, 1
	s_delay_alu instid0(VALU_DEP_1) | instskip(NEXT) | instid1(VALU_DEP_1)
	v_add_nc_u64_e32 v[32:33], v[24:25], v[2:3]
	v_add_nc_u64_e32 v[32:33], -1, v[32:33]
; %bb.5195:                             ;   in Loop: Header=BB6_4246 Depth=3
	s_or_b32 exec_lo, exec_lo, s75
	v_add_nc_u32_e32 v2, 0xffffff81, v67
	v_lshrrev_b32_e32 v25, 23, v24
	s_mov_b32 s13, exec_lo
	s_delay_alu instid0(VALU_DEP_2) | instskip(NEXT) | instid1(VALU_DEP_1)
	v_cndmask_b32_e64 v2, v2, 0xffffff82, vcc_lo
	v_add3_u32 v33, v0, v2, v25
	v_and_b32_e32 v0, 0xfffff, v32
	s_delay_alu instid0(VALU_DEP_1) | instskip(NEXT) | instid1(VALU_DEP_1)
	v_dual_add_nc_u32 v32, 6, v33 :: v_dual_add_nc_u32 v2, v0, v24
                                        ; implicit-def: $vgpr24_vgpr25
                                        ; implicit-def: $vgpr0
	v_cmpx_ne_u32_e32 0, v32
	s_xor_b32 s13, exec_lo, s13
; %bb.5196:                             ;   in Loop: Header=BB6_4246 Depth=3
	s_delay_alu instid0(VALU_DEP_2) | instskip(SKIP_2) | instid1(VALU_DEP_2)
	v_cmp_lt_u64_e32 vcc_lo, 0xffffff, v[2:3]
	v_add_nc_u32_e32 v0, 7, v33
	v_cndmask_b32_e64 v24, 0, 1, vcc_lo
	v_cndmask_b32_e32 v0, v32, v0, vcc_lo
	s_delay_alu instid0(VALU_DEP_2)
	v_lshrrev_b64 v[24:25], v24, v[2:3]
; %bb.5197:                             ;   in Loop: Header=BB6_4246 Depth=3
	s_and_not1_saveexec_b32 s13, s13
; %bb.5198:                             ;   in Loop: Header=BB6_4246 Depth=3
	v_mov_b64_e32 v[24:25], v[2:3]
	v_bfe_u32 v0, v2, 23, 1
; %bb.5199:                             ;   in Loop: Header=BB6_4246 Depth=3
	s_or_b32 exec_lo, exec_lo, s13
	s_delay_alu instid0(VALU_DEP_2) | instskip(NEXT) | instid1(VALU_DEP_2)
	v_lshrrev_b64 v[24:25], 20, v[24:25]
	v_cmp_gt_i32_e32 vcc_lo, 16, v0
	v_min_i32_e32 v2, 15, v0
	v_cmp_eq_u32_e64 s13, 0, v0
	s_delay_alu instid0(VALU_DEP_2) | instskip(SKIP_1) | instid1(VALU_DEP_2)
	v_dual_cndmask_b32 v25, 0, v25 :: v_dual_lshlrev_b32 v2, 3, v2
	v_cndmask_b32_e32 v24, 7, v24, vcc_lo
	v_and_b32_e32 v2, 0xf8, v2
	s_delay_alu instid0(VALU_DEP_2) | instskip(NEXT) | instid1(VALU_DEP_2)
	v_cmp_eq_u64_e32 vcc_lo, 0, v[24:25]
	v_and_or_b32 v0, v24, 7, v2
	s_and_b32 s13, s13, vcc_lo
	s_delay_alu instid0(VALU_DEP_1) | instid1(SALU_CYCLE_1)
	v_cndmask_b32_e64 v0, v0, 0, s13
	s_delay_alu instid0(VALU_DEP_1)
	v_or_b32_e32 v32, v0, v66
.LBB6_5200:                             ;   in Loop: Header=BB6_4246 Depth=3
	s_or_b32 exec_lo, exec_lo, s74
                                        ; implicit-def: $vgpr66
.LBB6_5201:                             ;   in Loop: Header=BB6_4246 Depth=3
	s_and_not1_saveexec_b32 s13, s45
; %bb.5202:                             ;   in Loop: Header=BB6_4246 Depth=3
	v_or_b32_e32 v32, 0x7e, v66
; %bb.5203:                             ;   in Loop: Header=BB6_4246 Depth=3
	s_or_b32 exec_lo, exec_lo, s13
                                        ; implicit-def: $vgpr24
.LBB6_5204:                             ;   in Loop: Header=BB6_4246 Depth=3
	s_and_not1_saveexec_b32 s13, s44
; %bb.5205:                             ;   in Loop: Header=BB6_4246 Depth=3
	v_or_b32_e32 v32, 0x7f, v24
; %bb.5206:                             ;   in Loop: Header=BB6_4246 Depth=3
	s_or_b32 exec_lo, exec_lo, s13
	v_cmp_lt_u64_e32 vcc_lo, s[22:23], v[34:35]
	v_dual_mov_b32 v33, 0 :: v_dual_mov_b32 v34, 0
	s_and_saveexec_b32 s13, vcc_lo
	s_cbranch_execz .LBB6_5214
; %bb.5207:                             ;   in Loop: Header=BB6_4246 Depth=3
	v_lshrrev_b32_e32 v0, 24, v35
	v_bfrev_b32_e32 v34, 1
	s_mov_b32 s44, exec_lo
	s_delay_alu instid0(VALU_DEP_2)
	v_cmpx_ne_u32_e32 0x80, v0
	s_cbranch_execz .LBB6_5213
; %bb.5208:                             ;   in Loop: Header=BB6_4246 Depth=3
	v_bfe_u32 v24, v35, 24, 7
	v_mov_b32_e32 v34, 0x7f800001
	s_mov_b32 s45, exec_lo
	s_delay_alu instid0(VALU_DEP_2)
	v_cmpx_ne_u32_e32 0x7f, v24
	s_cbranch_execz .LBB6_5212
; %bb.5209:                             ;   in Loop: Header=BB6_4246 Depth=3
	v_and_b32_e32 v2, 7, v0
	v_lshrrev_b32_e32 v34, 3, v24
	v_cmp_gt_u32_e32 vcc_lo, 8, v24
	s_delay_alu instid0(VALU_DEP_3)
	v_mov_b64_e32 v[24:25], v[2:3]
	s_and_saveexec_b32 s74, vcc_lo
; %bb.5210:                             ;   in Loop: Header=BB6_4246 Depth=3
	v_clz_i32_u32_e32 v24, v2
	s_delay_alu instid0(VALU_DEP_1) | instskip(NEXT) | instid1(VALU_DEP_1)
	v_min_u32_e32 v34, 32, v24
	v_subrev_nc_u32_e32 v24, 28, v34
	s_delay_alu instid0(VALU_DEP_1) | instskip(NEXT) | instid1(VALU_DEP_1)
	v_lshlrev_b64_e32 v[24:25], v24, v[2:3]
	v_dual_sub_nc_u32 v34, 29, v34 :: v_dual_bitop2_b32 v24, 7, v24 bitop3:0x40
; %bb.5211:                             ;   in Loop: Header=BB6_4246 Depth=3
	s_or_b32 exec_lo, exec_lo, s74
	v_lshlrev_b32_e32 v0, 24, v0
	s_delay_alu instid0(VALU_DEP_2) | instskip(NEXT) | instid1(VALU_DEP_3)
	v_lshlrev_b32_e32 v2, 20, v24
	v_lshl_add_u32 v24, v34, 23, 0x3c000000
	s_delay_alu instid0(VALU_DEP_3) | instskip(NEXT) | instid1(VALU_DEP_1)
	v_and_b32_e32 v0, 0x80000000, v0
	v_or3_b32 v34, v2, v0, v24
.LBB6_5212:                             ;   in Loop: Header=BB6_4246 Depth=3
	s_or_b32 exec_lo, exec_lo, s45
.LBB6_5213:                             ;   in Loop: Header=BB6_4246 Depth=3
	s_delay_alu instid0(SALU_CYCLE_1)
	s_or_b32 exec_lo, exec_lo, s44
.LBB6_5214:                             ;   in Loop: Header=BB6_4246 Depth=3
	s_delay_alu instid0(SALU_CYCLE_1) | instskip(NEXT) | instid1(SALU_CYCLE_1)
	s_or_b32 exec_lo, exec_lo, s13
	s_mov_b32 s13, exec_lo
	v_cmpx_lt_u64_e64 s[22:23], v[26:27]
	s_cbranch_execz .LBB6_5222
; %bb.5215:                             ;   in Loop: Header=BB6_4246 Depth=3
	v_lshrrev_b32_e32 v0, 24, v27
	v_bfrev_b32_e32 v33, 1
	s_mov_b32 s44, exec_lo
	s_delay_alu instid0(VALU_DEP_2)
	v_cmpx_ne_u32_e32 0x80, v0
	s_cbranch_execz .LBB6_5221
; %bb.5216:                             ;   in Loop: Header=BB6_4246 Depth=3
	v_bfe_u32 v24, v27, 24, 7
	v_mov_b32_e32 v33, 0x7f800001
	s_mov_b32 s45, exec_lo
	s_delay_alu instid0(VALU_DEP_2)
	v_cmpx_ne_u32_e32 0x7f, v24
	s_cbranch_execz .LBB6_5220
; %bb.5217:                             ;   in Loop: Header=BB6_4246 Depth=3
	v_and_b32_e32 v2, 7, v0
	v_lshrrev_b32_e32 v26, 3, v24
	v_cmp_gt_u32_e32 vcc_lo, 8, v24
	s_delay_alu instid0(VALU_DEP_3)
	v_mov_b64_e32 v[24:25], v[2:3]
	s_and_saveexec_b32 s74, vcc_lo
; %bb.5218:                             ;   in Loop: Header=BB6_4246 Depth=3
	v_clz_i32_u32_e32 v24, v2
	s_delay_alu instid0(VALU_DEP_1) | instskip(NEXT) | instid1(VALU_DEP_1)
	v_min_u32_e32 v26, 32, v24
	v_subrev_nc_u32_e32 v24, 28, v26
	s_delay_alu instid0(VALU_DEP_1) | instskip(NEXT) | instid1(VALU_DEP_1)
	v_lshlrev_b64_e32 v[24:25], v24, v[2:3]
	v_dual_sub_nc_u32 v26, 29, v26 :: v_dual_bitop2_b32 v24, 7, v24 bitop3:0x40
; %bb.5219:                             ;   in Loop: Header=BB6_4246 Depth=3
	s_or_b32 exec_lo, exec_lo, s74
	v_lshlrev_b32_e32 v0, 24, v0
	s_delay_alu instid0(VALU_DEP_2) | instskip(NEXT) | instid1(VALU_DEP_3)
	v_lshlrev_b32_e32 v2, 20, v24
	v_lshl_add_u32 v24, v26, 23, 0x3c000000
	s_delay_alu instid0(VALU_DEP_3) | instskip(NEXT) | instid1(VALU_DEP_1)
	v_and_b32_e32 v0, 0x80000000, v0
	v_or3_b32 v33, v2, v0, v24
.LBB6_5220:                             ;   in Loop: Header=BB6_4246 Depth=3
	s_or_b32 exec_lo, exec_lo, s45
.LBB6_5221:                             ;   in Loop: Header=BB6_4246 Depth=3
	s_delay_alu instid0(SALU_CYCLE_1)
	s_or_b32 exec_lo, exec_lo, s44
.LBB6_5222:                             ;   in Loop: Header=BB6_4246 Depth=3
	s_delay_alu instid0(SALU_CYCLE_1) | instskip(NEXT) | instid1(VALU_DEP_1)
	s_or_b32 exec_lo, exec_lo, s13
	v_add_f32_e32 v0, v34, v33
                                        ; implicit-def: $vgpr33
	s_mov_b32 s13, exec_lo
	s_delay_alu instid0(VALU_DEP_1) | instskip(SKIP_1) | instid1(VALU_DEP_2)
	v_and_b32_e32 v2, 0x7f800000, v0
	v_lshrrev_b32_e32 v24, 24, v0
	v_cmpx_ne_u64_e32 0x7f800000, v[2:3]
	s_xor_b32 s44, exec_lo, s13
	s_cbranch_execz .LBB6_5236
; %bb.5223:                             ;   in Loop: Header=BB6_4246 Depth=3
	v_and_b32_e32 v2, 0x7fffffff, v0
	v_and_b32_e32 v34, 0x80, v24
                                        ; implicit-def: $vgpr33
	s_mov_b32 s13, exec_lo
	s_delay_alu instid0(VALU_DEP_2)
	v_cmpx_gt_u64_e32 0x43e00001, v[2:3]
	s_xor_b32 s45, exec_lo, s13
	s_cbranch_execz .LBB6_5233
; %bb.5224:                             ;   in Loop: Header=BB6_4246 Depth=3
	v_mov_b32_e32 v33, 0
	s_mov_b32 s74, exec_lo
	v_cmpx_ne_u32_e32 0, v0
	s_cbranch_execz .LBB6_5232
; %bb.5225:                             ;   in Loop: Header=BB6_4246 Depth=3
	v_bfe_u32 v33, v0, 23, 8
	v_and_b32_e32 v2, 0x7fffff, v0
	s_delay_alu instid0(VALU_DEP_2) | instskip(SKIP_2) | instid1(VALU_DEP_4)
	v_cmp_gt_u32_e64 s13, 0x7a, v33
	v_sub_nc_u32_e32 v0, 0x79, v33
	v_cmp_eq_u32_e32 vcc_lo, 0, v33
	v_or_b32_e32 v24, 0x800000, v2
	s_delay_alu instid0(VALU_DEP_1) | instskip(NEXT) | instid1(VALU_DEP_1)
	v_dual_cndmask_b32 v0, 0, v0, s13 :: v_dual_cndmask_b32 v2, v24, v2, vcc_lo
	v_cndmask_b32_e64 v0, v0, 0x78, vcc_lo
	s_delay_alu instid0(VALU_DEP_1) | instskip(NEXT) | instid1(VALU_DEP_1)
	v_dual_add_nc_u32 v24, 20, v0 :: v_dual_add_nc_u32 v26, 19, v0
	v_lshlrev_b64_e64 v[24:25], v24, -1
	s_delay_alu instid0(VALU_DEP_2) | instskip(NEXT) | instid1(VALU_DEP_2)
	v_lshlrev_b64_e64 v[26:27], v26, 1
	v_bfi_b32 v25, v25, 0, 0
	s_delay_alu instid0(VALU_DEP_3) | instskip(NEXT) | instid1(VALU_DEP_1)
	v_bfi_b32 v24, v24, 0, v2
	v_cmp_eq_u64_e64 s13, v[24:25], v[26:27]
	v_lshrrev_b64 v[24:25], v0, v[2:3]
	s_delay_alu instid0(VALU_DEP_1)
	v_mov_b64_e32 v[26:27], v[24:25]
	s_and_saveexec_b32 s75, s13
; %bb.5226:                             ;   in Loop: Header=BB6_4246 Depth=3
	v_bfe_u32 v2, v24, 20, 1
	s_delay_alu instid0(VALU_DEP_1) | instskip(NEXT) | instid1(VALU_DEP_1)
	v_add_nc_u64_e32 v[26:27], v[24:25], v[2:3]
	v_add_nc_u64_e32 v[26:27], -1, v[26:27]
; %bb.5227:                             ;   in Loop: Header=BB6_4246 Depth=3
	s_or_b32 exec_lo, exec_lo, s75
	v_add_nc_u32_e32 v2, 0xffffff81, v33
	v_lshrrev_b32_e32 v25, 23, v24
	s_mov_b32 s13, exec_lo
	s_delay_alu instid0(VALU_DEP_2) | instskip(NEXT) | instid1(VALU_DEP_1)
	v_cndmask_b32_e64 v2, v2, 0xffffff82, vcc_lo
	v_add3_u32 v27, v0, v2, v25
	v_and_b32_e32 v0, 0xfffff, v26
	s_delay_alu instid0(VALU_DEP_1) | instskip(NEXT) | instid1(VALU_DEP_1)
	v_dual_add_nc_u32 v26, 6, v27 :: v_dual_add_nc_u32 v2, v0, v24
                                        ; implicit-def: $vgpr24_vgpr25
                                        ; implicit-def: $vgpr0
	v_cmpx_ne_u32_e32 0, v26
	s_xor_b32 s13, exec_lo, s13
; %bb.5228:                             ;   in Loop: Header=BB6_4246 Depth=3
	s_delay_alu instid0(VALU_DEP_2) | instskip(SKIP_2) | instid1(VALU_DEP_2)
	v_cmp_lt_u64_e32 vcc_lo, 0xffffff, v[2:3]
	v_add_nc_u32_e32 v0, 7, v27
	v_cndmask_b32_e64 v24, 0, 1, vcc_lo
	v_cndmask_b32_e32 v0, v26, v0, vcc_lo
	s_delay_alu instid0(VALU_DEP_2)
	v_lshrrev_b64 v[24:25], v24, v[2:3]
; %bb.5229:                             ;   in Loop: Header=BB6_4246 Depth=3
	s_and_not1_saveexec_b32 s13, s13
; %bb.5230:                             ;   in Loop: Header=BB6_4246 Depth=3
	v_mov_b64_e32 v[24:25], v[2:3]
	v_bfe_u32 v0, v2, 23, 1
; %bb.5231:                             ;   in Loop: Header=BB6_4246 Depth=3
	s_or_b32 exec_lo, exec_lo, s13
	s_delay_alu instid0(VALU_DEP_2) | instskip(NEXT) | instid1(VALU_DEP_2)
	v_lshrrev_b64 v[24:25], 20, v[24:25]
	v_cmp_gt_i32_e32 vcc_lo, 16, v0
	v_min_i32_e32 v2, 15, v0
	v_cmp_eq_u32_e64 s13, 0, v0
	s_delay_alu instid0(VALU_DEP_2) | instskip(SKIP_1) | instid1(VALU_DEP_2)
	v_dual_cndmask_b32 v25, 0, v25 :: v_dual_lshlrev_b32 v2, 3, v2
	v_cndmask_b32_e32 v24, 7, v24, vcc_lo
	v_and_b32_e32 v2, 0xf8, v2
	s_delay_alu instid0(VALU_DEP_2) | instskip(NEXT) | instid1(VALU_DEP_2)
	v_cmp_eq_u64_e32 vcc_lo, 0, v[24:25]
	v_and_or_b32 v0, v24, 7, v2
	s_and_b32 s13, s13, vcc_lo
	s_delay_alu instid0(VALU_DEP_1) | instid1(SALU_CYCLE_1)
	v_cndmask_b32_e64 v0, v0, 0, s13
	s_delay_alu instid0(VALU_DEP_1)
	v_or_b32_e32 v33, v0, v34
.LBB6_5232:                             ;   in Loop: Header=BB6_4246 Depth=3
	s_or_b32 exec_lo, exec_lo, s74
                                        ; implicit-def: $vgpr34
.LBB6_5233:                             ;   in Loop: Header=BB6_4246 Depth=3
	s_and_not1_saveexec_b32 s13, s45
; %bb.5234:                             ;   in Loop: Header=BB6_4246 Depth=3
	v_or_b32_e32 v33, 0x7e, v34
; %bb.5235:                             ;   in Loop: Header=BB6_4246 Depth=3
	s_or_b32 exec_lo, exec_lo, s13
                                        ; implicit-def: $vgpr24
.LBB6_5236:                             ;   in Loop: Header=BB6_4246 Depth=3
	s_and_not1_saveexec_b32 s13, s44
; %bb.5237:                             ;   in Loop: Header=BB6_4246 Depth=3
	v_or_b32_e32 v33, 0x7f, v24
; %bb.5238:                             ;   in Loop: Header=BB6_4246 Depth=3
	s_or_b32 exec_lo, exec_lo, s13
	v_and_b32_e32 v0, 0xff, v20
	v_dual_mov_b32 v2, 0 :: v_dual_mov_b32 v24, 0
	s_mov_b32 s13, exec_lo
	s_delay_alu instid0(VALU_DEP_2)
	v_cmpx_ne_u16_e32 0, v0
	s_cbranch_execz .LBB6_5244
; %bb.5239:                             ;   in Loop: Header=BB6_4246 Depth=3
	v_bfrev_b32_e32 v24, 1
	s_mov_b32 s44, exec_lo
	v_cmpx_ne_u16_e32 0x80, v0
	s_cbranch_execz .LBB6_5243
; %bb.5240:                             ;   in Loop: Header=BB6_4246 Depth=3
	v_and_b32_e32 v0, 0x7f, v20
	v_mov_b32_e32 v24, 0x7f800001
	s_mov_b32 s45, exec_lo
	s_delay_alu instid0(VALU_DEP_2)
	v_cmpx_ne_u32_e32 0x7f, v0
	s_cbranch_execz .LBB6_5242
; %bb.5241:                             ;   in Loop: Header=BB6_4246 Depth=3
	v_and_b32_e32 v24, 7, v20
	v_lshrrev_b32_e32 v25, 3, v0
	v_cmp_gt_u32_e32 vcc_lo, 8, v0
	s_delay_alu instid0(VALU_DEP_3) | instskip(NEXT) | instid1(VALU_DEP_1)
	v_clz_i32_u32_e32 v0, v24
	v_min_u32_e32 v0, 32, v0
	s_delay_alu instid0(VALU_DEP_1) | instskip(SKIP_1) | instid1(VALU_DEP_2)
	v_subrev_nc_u32_e32 v24, 28, v0
	v_sub_nc_u32_e32 v0, 29, v0
	v_cndmask_b32_e32 v24, 0, v24, vcc_lo
	s_delay_alu instid0(VALU_DEP_2) | instskip(NEXT) | instid1(VALU_DEP_2)
	v_cndmask_b32_e32 v0, v25, v0, vcc_lo
	v_lshlrev_b64_e32 v[24:25], v24, v[20:21]
	v_lshlrev_b32_e32 v25, 24, v20
	s_delay_alu instid0(VALU_DEP_3) | instskip(NEXT) | instid1(VALU_DEP_2)
	v_lshl_add_u32 v0, v0, 23, 0x3c000000
	v_and_b32_e32 v25, 0x80000000, v25
	s_delay_alu instid0(VALU_DEP_4) | instskip(NEXT) | instid1(VALU_DEP_1)
	v_lshlrev_b32_e32 v24, 20, v24
	v_and_b32_e32 v24, 0x700000, v24
	s_delay_alu instid0(VALU_DEP_1)
	v_or3_b32 v24, v24, v25, v0
.LBB6_5242:                             ;   in Loop: Header=BB6_4246 Depth=3
	s_or_b32 exec_lo, exec_lo, s45
.LBB6_5243:                             ;   in Loop: Header=BB6_4246 Depth=3
	s_delay_alu instid0(SALU_CYCLE_1)
	s_or_b32 exec_lo, exec_lo, s44
.LBB6_5244:                             ;   in Loop: Header=BB6_4246 Depth=3
	s_delay_alu instid0(SALU_CYCLE_1) | instskip(SKIP_3) | instid1(VALU_DEP_1)
	s_or_b32 exec_lo, exec_lo, s13
	s_wait_loadcnt 0x1
	v_and_b32_e32 v0, 0xff, v16
	s_mov_b32 s13, exec_lo
	v_cmpx_ne_u16_e32 0, v0
	s_cbranch_execz .LBB6_5250
; %bb.5245:                             ;   in Loop: Header=BB6_4246 Depth=3
	v_bfrev_b32_e32 v2, 1
	s_mov_b32 s44, exec_lo
	v_cmpx_ne_u16_e32 0x80, v0
	s_cbranch_execz .LBB6_5249
; %bb.5246:                             ;   in Loop: Header=BB6_4246 Depth=3
	v_and_b32_e32 v0, 0x7f, v16
	v_mov_b32_e32 v2, 0x7f800001
	s_mov_b32 s45, exec_lo
	s_delay_alu instid0(VALU_DEP_2)
	v_cmpx_ne_u32_e32 0x7f, v0
	s_cbranch_execz .LBB6_5248
; %bb.5247:                             ;   in Loop: Header=BB6_4246 Depth=3
	v_and_b32_e32 v2, 7, v16
	v_lshrrev_b32_e32 v25, 3, v0
	v_cmp_gt_u32_e32 vcc_lo, 8, v0
	s_delay_alu instid0(VALU_DEP_3) | instskip(NEXT) | instid1(VALU_DEP_1)
	v_clz_i32_u32_e32 v0, v2
	v_min_u32_e32 v0, 32, v0
	s_delay_alu instid0(VALU_DEP_1) | instskip(NEXT) | instid1(VALU_DEP_1)
	v_subrev_nc_u32_e32 v2, 28, v0
	v_dual_sub_nc_u32 v0, 29, v0 :: v_dual_cndmask_b32 v2, 0, v2, vcc_lo
	s_delay_alu instid0(VALU_DEP_1) | instskip(SKIP_1) | instid1(VALU_DEP_3)
	v_cndmask_b32_e32 v0, v25, v0, vcc_lo
	v_lshlrev_b32_e32 v25, 24, v16
	v_lshlrev_b64_e32 v[26:27], v2, v[16:17]
	s_delay_alu instid0(VALU_DEP_3) | instskip(NEXT) | instid1(VALU_DEP_3)
	v_lshl_add_u32 v0, v0, 23, 0x3c000000
	v_and_b32_e32 v25, 0x80000000, v25
	s_delay_alu instid0(VALU_DEP_3) | instskip(NEXT) | instid1(VALU_DEP_1)
	v_lshlrev_b32_e32 v2, 20, v26
	v_and_b32_e32 v2, 0x700000, v2
	s_delay_alu instid0(VALU_DEP_1)
	v_or3_b32 v2, v2, v25, v0
.LBB6_5248:                             ;   in Loop: Header=BB6_4246 Depth=3
	s_or_b32 exec_lo, exec_lo, s45
.LBB6_5249:                             ;   in Loop: Header=BB6_4246 Depth=3
	s_delay_alu instid0(SALU_CYCLE_1)
	s_or_b32 exec_lo, exec_lo, s44
.LBB6_5250:                             ;   in Loop: Header=BB6_4246 Depth=3
	s_delay_alu instid0(SALU_CYCLE_1) | instskip(NEXT) | instid1(VALU_DEP_1)
	s_or_b32 exec_lo, exec_lo, s13
	v_add_f32_e32 v0, v24, v2
                                        ; implicit-def: $vgpr34
	s_mov_b32 s13, exec_lo
	s_delay_alu instid0(VALU_DEP_1) | instskip(SKIP_1) | instid1(VALU_DEP_2)
	v_and_b32_e32 v2, 0x7f800000, v0
	v_lshrrev_b32_e32 v24, 24, v0
	v_cmpx_ne_u64_e32 0x7f800000, v[2:3]
	s_xor_b32 s44, exec_lo, s13
	s_cbranch_execz .LBB6_5264
; %bb.5251:                             ;   in Loop: Header=BB6_4246 Depth=3
	v_and_b32_e32 v2, 0x7fffffff, v0
	v_and_b32_e32 v35, 0x80, v24
                                        ; implicit-def: $vgpr34
	s_mov_b32 s13, exec_lo
	s_delay_alu instid0(VALU_DEP_2)
	v_cmpx_gt_u64_e32 0x43e00001, v[2:3]
	s_xor_b32 s45, exec_lo, s13
	s_cbranch_execz .LBB6_5261
; %bb.5252:                             ;   in Loop: Header=BB6_4246 Depth=3
	v_mov_b32_e32 v34, 0
	s_mov_b32 s74, exec_lo
	v_cmpx_ne_u32_e32 0, v0
	s_cbranch_execz .LBB6_5260
; %bb.5253:                             ;   in Loop: Header=BB6_4246 Depth=3
	v_bfe_u32 v34, v0, 23, 8
	v_and_b32_e32 v2, 0x7fffff, v0
	s_delay_alu instid0(VALU_DEP_2) | instskip(SKIP_2) | instid1(VALU_DEP_4)
	v_cmp_gt_u32_e64 s13, 0x7a, v34
	v_sub_nc_u32_e32 v0, 0x79, v34
	v_cmp_eq_u32_e32 vcc_lo, 0, v34
	v_or_b32_e32 v24, 0x800000, v2
	s_delay_alu instid0(VALU_DEP_1) | instskip(NEXT) | instid1(VALU_DEP_1)
	v_dual_cndmask_b32 v0, 0, v0, s13 :: v_dual_cndmask_b32 v2, v24, v2, vcc_lo
	v_cndmask_b32_e64 v0, v0, 0x78, vcc_lo
	s_delay_alu instid0(VALU_DEP_1) | instskip(NEXT) | instid1(VALU_DEP_1)
	v_dual_add_nc_u32 v24, 20, v0 :: v_dual_add_nc_u32 v26, 19, v0
	v_lshlrev_b64_e64 v[24:25], v24, -1
	s_delay_alu instid0(VALU_DEP_2) | instskip(NEXT) | instid1(VALU_DEP_2)
	v_lshlrev_b64_e64 v[26:27], v26, 1
	v_bfi_b32 v25, v25, 0, 0
	s_delay_alu instid0(VALU_DEP_3) | instskip(NEXT) | instid1(VALU_DEP_1)
	v_bfi_b32 v24, v24, 0, v2
	v_cmp_eq_u64_e64 s13, v[24:25], v[26:27]
	v_lshrrev_b64 v[24:25], v0, v[2:3]
	s_delay_alu instid0(VALU_DEP_1)
	v_mov_b64_e32 v[26:27], v[24:25]
	s_and_saveexec_b32 s75, s13
; %bb.5254:                             ;   in Loop: Header=BB6_4246 Depth=3
	v_bfe_u32 v2, v24, 20, 1
	s_delay_alu instid0(VALU_DEP_1) | instskip(NEXT) | instid1(VALU_DEP_1)
	v_add_nc_u64_e32 v[26:27], v[24:25], v[2:3]
	v_add_nc_u64_e32 v[26:27], -1, v[26:27]
; %bb.5255:                             ;   in Loop: Header=BB6_4246 Depth=3
	s_or_b32 exec_lo, exec_lo, s75
	v_add_nc_u32_e32 v2, 0xffffff81, v34
	v_lshrrev_b32_e32 v25, 23, v24
	s_mov_b32 s13, exec_lo
	s_delay_alu instid0(VALU_DEP_2) | instskip(NEXT) | instid1(VALU_DEP_1)
	v_cndmask_b32_e64 v2, v2, 0xffffff82, vcc_lo
	v_add3_u32 v27, v0, v2, v25
	v_and_b32_e32 v0, 0xfffff, v26
	s_delay_alu instid0(VALU_DEP_1) | instskip(NEXT) | instid1(VALU_DEP_1)
	v_dual_add_nc_u32 v26, 6, v27 :: v_dual_add_nc_u32 v2, v0, v24
                                        ; implicit-def: $vgpr24_vgpr25
                                        ; implicit-def: $vgpr0
	v_cmpx_ne_u32_e32 0, v26
	s_xor_b32 s13, exec_lo, s13
; %bb.5256:                             ;   in Loop: Header=BB6_4246 Depth=3
	s_delay_alu instid0(VALU_DEP_2) | instskip(SKIP_2) | instid1(VALU_DEP_2)
	v_cmp_lt_u64_e32 vcc_lo, 0xffffff, v[2:3]
	v_add_nc_u32_e32 v0, 7, v27
	v_cndmask_b32_e64 v24, 0, 1, vcc_lo
	v_cndmask_b32_e32 v0, v26, v0, vcc_lo
	s_delay_alu instid0(VALU_DEP_2)
	v_lshrrev_b64 v[24:25], v24, v[2:3]
; %bb.5257:                             ;   in Loop: Header=BB6_4246 Depth=3
	s_and_not1_saveexec_b32 s13, s13
; %bb.5258:                             ;   in Loop: Header=BB6_4246 Depth=3
	v_mov_b64_e32 v[24:25], v[2:3]
	v_bfe_u32 v0, v2, 23, 1
; %bb.5259:                             ;   in Loop: Header=BB6_4246 Depth=3
	s_or_b32 exec_lo, exec_lo, s13
	s_delay_alu instid0(VALU_DEP_2) | instskip(NEXT) | instid1(VALU_DEP_2)
	v_lshrrev_b64 v[24:25], 20, v[24:25]
	v_cmp_gt_i32_e32 vcc_lo, 16, v0
	v_min_i32_e32 v2, 15, v0
	v_cmp_eq_u32_e64 s13, 0, v0
	s_delay_alu instid0(VALU_DEP_2) | instskip(SKIP_1) | instid1(VALU_DEP_2)
	v_dual_cndmask_b32 v25, 0, v25 :: v_dual_lshlrev_b32 v2, 3, v2
	v_cndmask_b32_e32 v24, 7, v24, vcc_lo
	v_and_b32_e32 v2, 0xf8, v2
	s_delay_alu instid0(VALU_DEP_2) | instskip(NEXT) | instid1(VALU_DEP_2)
	v_cmp_eq_u64_e32 vcc_lo, 0, v[24:25]
	v_and_or_b32 v0, v24, 7, v2
	s_and_b32 s13, s13, vcc_lo
	s_delay_alu instid0(VALU_DEP_1) | instid1(SALU_CYCLE_1)
	v_cndmask_b32_e64 v0, v0, 0, s13
	s_delay_alu instid0(VALU_DEP_1)
	v_or_b32_e32 v34, v0, v35
.LBB6_5260:                             ;   in Loop: Header=BB6_4246 Depth=3
	s_or_b32 exec_lo, exec_lo, s74
                                        ; implicit-def: $vgpr35
.LBB6_5261:                             ;   in Loop: Header=BB6_4246 Depth=3
	s_and_not1_saveexec_b32 s13, s45
; %bb.5262:                             ;   in Loop: Header=BB6_4246 Depth=3
	v_or_b32_e32 v34, 0x7e, v35
; %bb.5263:                             ;   in Loop: Header=BB6_4246 Depth=3
	s_or_b32 exec_lo, exec_lo, s13
                                        ; implicit-def: $vgpr24
.LBB6_5264:                             ;   in Loop: Header=BB6_4246 Depth=3
	s_and_not1_saveexec_b32 s13, s44
; %bb.5265:                             ;   in Loop: Header=BB6_4246 Depth=3
	v_or_b32_e32 v34, 0x7f, v24
; %bb.5266:                             ;   in Loop: Header=BB6_4246 Depth=3
	s_or_b32 exec_lo, exec_lo, s13
	v_lshrrev_b16 v0, 8, v20
	v_dual_mov_b32 v26, 0 :: v_dual_mov_b32 v27, 0
	s_mov_b32 s13, exec_lo
	s_delay_alu instid0(VALU_DEP_2)
	v_cmpx_ne_u16_e32 0, v0
	s_cbranch_execz .LBB6_5274
; %bb.5267:                             ;   in Loop: Header=BB6_4246 Depth=3
	v_bfrev_b32_e32 v27, 1
	s_mov_b32 s44, exec_lo
	v_cmpx_ne_u16_e32 0x80, v0
	s_cbranch_execz .LBB6_5273
; %bb.5268:                             ;   in Loop: Header=BB6_4246 Depth=3
	v_and_b32_e32 v0, 0xffff, v0
	v_mov_b32_e32 v27, 0x7f800001
	s_mov_b32 s45, exec_lo
	s_delay_alu instid0(VALU_DEP_2) | instskip(NEXT) | instid1(VALU_DEP_1)
	v_and_b32_e32 v24, 0x7f, v0
	v_cmpx_ne_u32_e32 0x7f, v24
	s_cbranch_execz .LBB6_5272
; %bb.5269:                             ;   in Loop: Header=BB6_4246 Depth=3
	v_and_b32_e32 v2, 7, v0
	v_lshrrev_b32_e32 v0, 3, v24
	v_cmp_gt_u32_e32 vcc_lo, 8, v24
	s_delay_alu instid0(VALU_DEP_3)
	v_mov_b64_e32 v[24:25], v[2:3]
	s_and_saveexec_b32 s74, vcc_lo
; %bb.5270:                             ;   in Loop: Header=BB6_4246 Depth=3
	v_clz_i32_u32_e32 v0, v2
	s_delay_alu instid0(VALU_DEP_1) | instskip(NEXT) | instid1(VALU_DEP_1)
	v_min_u32_e32 v0, 32, v0
	v_subrev_nc_u32_e32 v24, 28, v0
	v_sub_nc_u32_e32 v0, 29, v0
	s_delay_alu instid0(VALU_DEP_2) | instskip(NEXT) | instid1(VALU_DEP_1)
	v_lshlrev_b64_e32 v[24:25], v24, v[2:3]
	v_and_b32_e32 v24, 7, v24
; %bb.5271:                             ;   in Loop: Header=BB6_4246 Depth=3
	s_or_b32 exec_lo, exec_lo, s74
	v_lshlrev_b32_e32 v2, 16, v20
	s_delay_alu instid0(VALU_DEP_2) | instskip(SKIP_1) | instid1(VALU_DEP_3)
	v_lshlrev_b32_e32 v24, 20, v24
	v_lshl_add_u32 v0, v0, 23, 0x3c000000
	v_and_b32_e32 v2, 0x80000000, v2
	s_delay_alu instid0(VALU_DEP_1)
	v_or3_b32 v27, v24, v2, v0
.LBB6_5272:                             ;   in Loop: Header=BB6_4246 Depth=3
	s_or_b32 exec_lo, exec_lo, s45
.LBB6_5273:                             ;   in Loop: Header=BB6_4246 Depth=3
	s_delay_alu instid0(SALU_CYCLE_1)
	s_or_b32 exec_lo, exec_lo, s44
.LBB6_5274:                             ;   in Loop: Header=BB6_4246 Depth=3
	s_delay_alu instid0(SALU_CYCLE_1) | instskip(SKIP_2) | instid1(VALU_DEP_1)
	s_or_b32 exec_lo, exec_lo, s13
	v_lshrrev_b16 v0, 8, v16
	s_mov_b32 s13, exec_lo
	v_cmpx_ne_u16_e32 0, v0
	s_cbranch_execz .LBB6_5282
; %bb.5275:                             ;   in Loop: Header=BB6_4246 Depth=3
	v_bfrev_b32_e32 v26, 1
	s_mov_b32 s44, exec_lo
	v_cmpx_ne_u16_e32 0x80, v0
	s_cbranch_execz .LBB6_5281
; %bb.5276:                             ;   in Loop: Header=BB6_4246 Depth=3
	v_and_b32_e32 v0, 0xffff, v0
	v_mov_b32_e32 v26, 0x7f800001
	s_mov_b32 s45, exec_lo
	s_delay_alu instid0(VALU_DEP_2) | instskip(NEXT) | instid1(VALU_DEP_1)
	v_and_b32_e32 v24, 0x7f, v0
	v_cmpx_ne_u32_e32 0x7f, v24
	s_cbranch_execz .LBB6_5280
; %bb.5277:                             ;   in Loop: Header=BB6_4246 Depth=3
	v_and_b32_e32 v2, 7, v0
	v_lshrrev_b32_e32 v0, 3, v24
	v_cmp_gt_u32_e32 vcc_lo, 8, v24
	s_delay_alu instid0(VALU_DEP_3)
	v_mov_b64_e32 v[24:25], v[2:3]
	s_and_saveexec_b32 s74, vcc_lo
; %bb.5278:                             ;   in Loop: Header=BB6_4246 Depth=3
	v_clz_i32_u32_e32 v0, v2
	s_delay_alu instid0(VALU_DEP_1) | instskip(NEXT) | instid1(VALU_DEP_1)
	v_min_u32_e32 v0, 32, v0
	v_subrev_nc_u32_e32 v24, 28, v0
	v_sub_nc_u32_e32 v0, 29, v0
	s_delay_alu instid0(VALU_DEP_2) | instskip(NEXT) | instid1(VALU_DEP_1)
	v_lshlrev_b64_e32 v[24:25], v24, v[2:3]
	v_and_b32_e32 v24, 7, v24
; %bb.5279:                             ;   in Loop: Header=BB6_4246 Depth=3
	s_or_b32 exec_lo, exec_lo, s74
	v_lshlrev_b32_e32 v2, 16, v16
	s_delay_alu instid0(VALU_DEP_2) | instskip(SKIP_1) | instid1(VALU_DEP_3)
	v_lshlrev_b32_e32 v24, 20, v24
	v_lshl_add_u32 v0, v0, 23, 0x3c000000
	v_and_b32_e32 v2, 0x80000000, v2
	s_delay_alu instid0(VALU_DEP_1)
	v_or3_b32 v26, v24, v2, v0
.LBB6_5280:                             ;   in Loop: Header=BB6_4246 Depth=3
	s_or_b32 exec_lo, exec_lo, s45
.LBB6_5281:                             ;   in Loop: Header=BB6_4246 Depth=3
	s_delay_alu instid0(SALU_CYCLE_1)
	s_or_b32 exec_lo, exec_lo, s44
.LBB6_5282:                             ;   in Loop: Header=BB6_4246 Depth=3
	s_delay_alu instid0(SALU_CYCLE_1) | instskip(NEXT) | instid1(VALU_DEP_1)
	s_or_b32 exec_lo, exec_lo, s13
	v_add_f32_e32 v0, v27, v26
                                        ; implicit-def: $vgpr35
	s_mov_b32 s13, exec_lo
	s_delay_alu instid0(VALU_DEP_1) | instskip(SKIP_1) | instid1(VALU_DEP_2)
	v_and_b32_e32 v2, 0x7f800000, v0
	v_lshrrev_b32_e32 v24, 24, v0
	v_cmpx_ne_u64_e32 0x7f800000, v[2:3]
	s_xor_b32 s44, exec_lo, s13
	s_cbranch_execz .LBB6_5296
; %bb.5283:                             ;   in Loop: Header=BB6_4246 Depth=3
	v_and_b32_e32 v2, 0x7fffffff, v0
	v_and_b32_e32 v66, 0x80, v24
                                        ; implicit-def: $vgpr35
	s_mov_b32 s13, exec_lo
	s_delay_alu instid0(VALU_DEP_2)
	v_cmpx_gt_u64_e32 0x43e00001, v[2:3]
	s_xor_b32 s45, exec_lo, s13
	s_cbranch_execz .LBB6_5293
; %bb.5284:                             ;   in Loop: Header=BB6_4246 Depth=3
	v_mov_b32_e32 v35, 0
	s_mov_b32 s74, exec_lo
	v_cmpx_ne_u32_e32 0, v0
	s_cbranch_execz .LBB6_5292
; %bb.5285:                             ;   in Loop: Header=BB6_4246 Depth=3
	v_bfe_u32 v35, v0, 23, 8
	v_and_b32_e32 v2, 0x7fffff, v0
	s_delay_alu instid0(VALU_DEP_2) | instskip(SKIP_2) | instid1(VALU_DEP_4)
	v_cmp_gt_u32_e64 s13, 0x7a, v35
	v_sub_nc_u32_e32 v0, 0x79, v35
	v_cmp_eq_u32_e32 vcc_lo, 0, v35
	v_or_b32_e32 v24, 0x800000, v2
	s_delay_alu instid0(VALU_DEP_1) | instskip(NEXT) | instid1(VALU_DEP_1)
	v_dual_cndmask_b32 v0, 0, v0, s13 :: v_dual_cndmask_b32 v2, v24, v2, vcc_lo
	v_cndmask_b32_e64 v0, v0, 0x78, vcc_lo
	s_delay_alu instid0(VALU_DEP_1) | instskip(NEXT) | instid1(VALU_DEP_1)
	v_dual_add_nc_u32 v24, 20, v0 :: v_dual_add_nc_u32 v26, 19, v0
	v_lshlrev_b64_e64 v[24:25], v24, -1
	s_delay_alu instid0(VALU_DEP_2) | instskip(NEXT) | instid1(VALU_DEP_2)
	v_lshlrev_b64_e64 v[26:27], v26, 1
	v_bfi_b32 v25, v25, 0, 0
	s_delay_alu instid0(VALU_DEP_3) | instskip(NEXT) | instid1(VALU_DEP_1)
	v_bfi_b32 v24, v24, 0, v2
	v_cmp_eq_u64_e64 s13, v[24:25], v[26:27]
	v_lshrrev_b64 v[24:25], v0, v[2:3]
	s_delay_alu instid0(VALU_DEP_1)
	v_mov_b64_e32 v[26:27], v[24:25]
	s_and_saveexec_b32 s75, s13
; %bb.5286:                             ;   in Loop: Header=BB6_4246 Depth=3
	v_bfe_u32 v2, v24, 20, 1
	s_delay_alu instid0(VALU_DEP_1) | instskip(NEXT) | instid1(VALU_DEP_1)
	v_add_nc_u64_e32 v[26:27], v[24:25], v[2:3]
	v_add_nc_u64_e32 v[26:27], -1, v[26:27]
; %bb.5287:                             ;   in Loop: Header=BB6_4246 Depth=3
	s_or_b32 exec_lo, exec_lo, s75
	v_add_nc_u32_e32 v2, 0xffffff81, v35
	v_lshrrev_b32_e32 v25, 23, v24
	s_mov_b32 s13, exec_lo
	s_delay_alu instid0(VALU_DEP_2) | instskip(NEXT) | instid1(VALU_DEP_1)
	v_cndmask_b32_e64 v2, v2, 0xffffff82, vcc_lo
	v_add3_u32 v27, v0, v2, v25
	v_and_b32_e32 v0, 0xfffff, v26
	s_delay_alu instid0(VALU_DEP_1) | instskip(NEXT) | instid1(VALU_DEP_1)
	v_dual_add_nc_u32 v26, 6, v27 :: v_dual_add_nc_u32 v2, v0, v24
                                        ; implicit-def: $vgpr24_vgpr25
                                        ; implicit-def: $vgpr0
	v_cmpx_ne_u32_e32 0, v26
	s_xor_b32 s13, exec_lo, s13
; %bb.5288:                             ;   in Loop: Header=BB6_4246 Depth=3
	s_delay_alu instid0(VALU_DEP_2) | instskip(SKIP_2) | instid1(VALU_DEP_2)
	v_cmp_lt_u64_e32 vcc_lo, 0xffffff, v[2:3]
	v_add_nc_u32_e32 v0, 7, v27
	v_cndmask_b32_e64 v24, 0, 1, vcc_lo
	v_cndmask_b32_e32 v0, v26, v0, vcc_lo
	s_delay_alu instid0(VALU_DEP_2)
	v_lshrrev_b64 v[24:25], v24, v[2:3]
; %bb.5289:                             ;   in Loop: Header=BB6_4246 Depth=3
	s_and_not1_saveexec_b32 s13, s13
; %bb.5290:                             ;   in Loop: Header=BB6_4246 Depth=3
	v_mov_b64_e32 v[24:25], v[2:3]
	v_bfe_u32 v0, v2, 23, 1
; %bb.5291:                             ;   in Loop: Header=BB6_4246 Depth=3
	s_or_b32 exec_lo, exec_lo, s13
	s_delay_alu instid0(VALU_DEP_2) | instskip(NEXT) | instid1(VALU_DEP_2)
	v_lshrrev_b64 v[24:25], 20, v[24:25]
	v_cmp_gt_i32_e32 vcc_lo, 16, v0
	v_min_i32_e32 v2, 15, v0
	v_cmp_eq_u32_e64 s13, 0, v0
	s_delay_alu instid0(VALU_DEP_2) | instskip(SKIP_1) | instid1(VALU_DEP_2)
	v_dual_cndmask_b32 v25, 0, v25 :: v_dual_lshlrev_b32 v2, 3, v2
	v_cndmask_b32_e32 v24, 7, v24, vcc_lo
	v_and_b32_e32 v2, 0xf8, v2
	s_delay_alu instid0(VALU_DEP_2) | instskip(NEXT) | instid1(VALU_DEP_2)
	v_cmp_eq_u64_e32 vcc_lo, 0, v[24:25]
	v_and_or_b32 v0, v24, 7, v2
	s_and_b32 s13, s13, vcc_lo
	s_delay_alu instid0(VALU_DEP_1) | instid1(SALU_CYCLE_1)
	v_cndmask_b32_e64 v0, v0, 0, s13
	s_delay_alu instid0(VALU_DEP_1)
	v_or_b32_e32 v35, v0, v66
.LBB6_5292:                             ;   in Loop: Header=BB6_4246 Depth=3
	s_or_b32 exec_lo, exec_lo, s74
                                        ; implicit-def: $vgpr66
.LBB6_5293:                             ;   in Loop: Header=BB6_4246 Depth=3
	s_and_not1_saveexec_b32 s13, s45
; %bb.5294:                             ;   in Loop: Header=BB6_4246 Depth=3
	v_or_b32_e32 v35, 0x7e, v66
; %bb.5295:                             ;   in Loop: Header=BB6_4246 Depth=3
	s_or_b32 exec_lo, exec_lo, s13
                                        ; implicit-def: $vgpr24
.LBB6_5296:                             ;   in Loop: Header=BB6_4246 Depth=3
	s_and_not1_saveexec_b32 s13, s44
; %bb.5297:                             ;   in Loop: Header=BB6_4246 Depth=3
	v_or_b32_e32 v35, 0x7f, v24
; %bb.5298:                             ;   in Loop: Header=BB6_4246 Depth=3
	s_or_b32 exec_lo, exec_lo, s13
	v_dual_lshrrev_b32 v0, 16, v20 :: v_dual_mov_b32 v26, 0
	v_mov_b32_e32 v27, 0
	s_mov_b32 s13, exec_lo
	s_delay_alu instid0(VALU_DEP_2) | instskip(NEXT) | instid1(VALU_DEP_1)
	v_and_b32_e32 v2, 0xff, v0
	v_cmpx_ne_u16_e32 0, v2
	s_cbranch_execz .LBB6_5306
; %bb.5299:                             ;   in Loop: Header=BB6_4246 Depth=3
	v_bfrev_b32_e32 v27, 1
	s_mov_b32 s44, exec_lo
	v_cmpx_ne_u16_e32 0x80, v2
	s_cbranch_execz .LBB6_5305
; %bb.5300:                             ;   in Loop: Header=BB6_4246 Depth=3
	v_bfe_u32 v24, v20, 16, 7
	v_mov_b32_e32 v27, 0x7f800001
	s_mov_b32 s45, exec_lo
	s_delay_alu instid0(VALU_DEP_2)
	v_cmpx_ne_u32_e32 0x7f, v24
	s_cbranch_execz .LBB6_5304
; %bb.5301:                             ;   in Loop: Header=BB6_4246 Depth=3
	v_and_b32_e32 v2, 7, v0
	v_lshrrev_b32_e32 v27, 3, v24
	v_cmp_gt_u32_e32 vcc_lo, 8, v24
	s_delay_alu instid0(VALU_DEP_3)
	v_mov_b64_e32 v[24:25], v[2:3]
	s_and_saveexec_b32 s74, vcc_lo
; %bb.5302:                             ;   in Loop: Header=BB6_4246 Depth=3
	v_clz_i32_u32_e32 v24, v2
	s_delay_alu instid0(VALU_DEP_1) | instskip(NEXT) | instid1(VALU_DEP_1)
	v_min_u32_e32 v27, 32, v24
	v_subrev_nc_u32_e32 v24, 28, v27
	s_delay_alu instid0(VALU_DEP_1) | instskip(NEXT) | instid1(VALU_DEP_1)
	v_lshlrev_b64_e32 v[24:25], v24, v[2:3]
	v_dual_sub_nc_u32 v27, 29, v27 :: v_dual_bitop2_b32 v24, 7, v24 bitop3:0x40
; %bb.5303:                             ;   in Loop: Header=BB6_4246 Depth=3
	s_or_b32 exec_lo, exec_lo, s74
	v_lshlrev_b32_e32 v0, 24, v0
	s_delay_alu instid0(VALU_DEP_2) | instskip(NEXT) | instid1(VALU_DEP_3)
	v_lshlrev_b32_e32 v2, 20, v24
	v_lshl_add_u32 v24, v27, 23, 0x3c000000
	s_delay_alu instid0(VALU_DEP_3) | instskip(NEXT) | instid1(VALU_DEP_1)
	v_and_b32_e32 v0, 0x80000000, v0
	v_or3_b32 v27, v2, v0, v24
.LBB6_5304:                             ;   in Loop: Header=BB6_4246 Depth=3
	s_or_b32 exec_lo, exec_lo, s45
.LBB6_5305:                             ;   in Loop: Header=BB6_4246 Depth=3
	s_delay_alu instid0(SALU_CYCLE_1)
	s_or_b32 exec_lo, exec_lo, s44
.LBB6_5306:                             ;   in Loop: Header=BB6_4246 Depth=3
	s_delay_alu instid0(SALU_CYCLE_1) | instskip(SKIP_2) | instid1(VALU_DEP_1)
	s_or_b32 exec_lo, exec_lo, s13
	v_lshrrev_b32_e32 v0, 16, v16
	s_mov_b32 s13, exec_lo
	v_and_b32_e32 v2, 0xff, v0
	s_delay_alu instid0(VALU_DEP_1)
	v_cmpx_ne_u16_e32 0, v2
	s_cbranch_execz .LBB6_5314
; %bb.5307:                             ;   in Loop: Header=BB6_4246 Depth=3
	v_bfrev_b32_e32 v26, 1
	s_mov_b32 s44, exec_lo
	v_cmpx_ne_u16_e32 0x80, v2
	s_cbranch_execz .LBB6_5313
; %bb.5308:                             ;   in Loop: Header=BB6_4246 Depth=3
	v_bfe_u32 v24, v16, 16, 7
	v_mov_b32_e32 v26, 0x7f800001
	s_mov_b32 s45, exec_lo
	s_delay_alu instid0(VALU_DEP_2)
	v_cmpx_ne_u32_e32 0x7f, v24
	s_cbranch_execz .LBB6_5312
; %bb.5309:                             ;   in Loop: Header=BB6_4246 Depth=3
	v_and_b32_e32 v2, 7, v0
	v_lshrrev_b32_e32 v0, 3, v24
	v_cmp_gt_u32_e32 vcc_lo, 8, v24
	s_delay_alu instid0(VALU_DEP_3)
	v_mov_b64_e32 v[24:25], v[2:3]
	s_and_saveexec_b32 s74, vcc_lo
; %bb.5310:                             ;   in Loop: Header=BB6_4246 Depth=3
	v_clz_i32_u32_e32 v0, v2
	s_delay_alu instid0(VALU_DEP_1) | instskip(NEXT) | instid1(VALU_DEP_1)
	v_min_u32_e32 v0, 32, v0
	v_subrev_nc_u32_e32 v24, 28, v0
	v_sub_nc_u32_e32 v0, 29, v0
	s_delay_alu instid0(VALU_DEP_2) | instskip(NEXT) | instid1(VALU_DEP_1)
	v_lshlrev_b64_e32 v[24:25], v24, v[2:3]
	v_and_b32_e32 v24, 7, v24
; %bb.5311:                             ;   in Loop: Header=BB6_4246 Depth=3
	s_or_b32 exec_lo, exec_lo, s74
	v_lshlrev_b32_e32 v2, 8, v16
	s_delay_alu instid0(VALU_DEP_2) | instskip(SKIP_1) | instid1(VALU_DEP_3)
	v_lshlrev_b32_e32 v24, 20, v24
	v_lshl_add_u32 v0, v0, 23, 0x3c000000
	v_and_b32_e32 v2, 0x80000000, v2
	s_delay_alu instid0(VALU_DEP_1)
	v_or3_b32 v26, v24, v2, v0
.LBB6_5312:                             ;   in Loop: Header=BB6_4246 Depth=3
	s_or_b32 exec_lo, exec_lo, s45
.LBB6_5313:                             ;   in Loop: Header=BB6_4246 Depth=3
	s_delay_alu instid0(SALU_CYCLE_1)
	s_or_b32 exec_lo, exec_lo, s44
.LBB6_5314:                             ;   in Loop: Header=BB6_4246 Depth=3
	s_delay_alu instid0(SALU_CYCLE_1) | instskip(NEXT) | instid1(VALU_DEP_1)
	s_or_b32 exec_lo, exec_lo, s13
	v_add_f32_e32 v0, v27, v26
                                        ; implicit-def: $vgpr91
	s_mov_b32 s13, exec_lo
	s_delay_alu instid0(VALU_DEP_1) | instskip(SKIP_1) | instid1(VALU_DEP_2)
	v_and_b32_e32 v2, 0x7f800000, v0
	v_lshrrev_b32_e32 v24, 24, v0
	v_cmpx_ne_u64_e32 0x7f800000, v[2:3]
	s_xor_b32 s44, exec_lo, s13
	s_cbranch_execz .LBB6_5328
; %bb.5315:                             ;   in Loop: Header=BB6_4246 Depth=3
	v_and_b32_e32 v2, 0x7fffffff, v0
	v_and_b32_e32 v66, 0x80, v24
                                        ; implicit-def: $vgpr91
	s_mov_b32 s13, exec_lo
	s_delay_alu instid0(VALU_DEP_2)
	v_cmpx_gt_u64_e32 0x43e00001, v[2:3]
	s_xor_b32 s45, exec_lo, s13
	s_cbranch_execz .LBB6_5325
; %bb.5316:                             ;   in Loop: Header=BB6_4246 Depth=3
	v_mov_b32_e32 v91, 0
	s_mov_b32 s74, exec_lo
	v_cmpx_ne_u32_e32 0, v0
	s_cbranch_execz .LBB6_5324
; %bb.5317:                             ;   in Loop: Header=BB6_4246 Depth=3
	v_bfe_u32 v67, v0, 23, 8
	v_and_b32_e32 v2, 0x7fffff, v0
	s_delay_alu instid0(VALU_DEP_2) | instskip(SKIP_2) | instid1(VALU_DEP_4)
	v_cmp_gt_u32_e64 s13, 0x7a, v67
	v_sub_nc_u32_e32 v0, 0x79, v67
	v_cmp_eq_u32_e32 vcc_lo, 0, v67
	v_or_b32_e32 v24, 0x800000, v2
	s_delay_alu instid0(VALU_DEP_1) | instskip(NEXT) | instid1(VALU_DEP_1)
	v_dual_cndmask_b32 v0, 0, v0, s13 :: v_dual_cndmask_b32 v2, v24, v2, vcc_lo
	v_cndmask_b32_e64 v0, v0, 0x78, vcc_lo
	s_delay_alu instid0(VALU_DEP_1) | instskip(NEXT) | instid1(VALU_DEP_1)
	v_dual_add_nc_u32 v24, 20, v0 :: v_dual_add_nc_u32 v26, 19, v0
	v_lshlrev_b64_e64 v[24:25], v24, -1
	s_delay_alu instid0(VALU_DEP_2) | instskip(NEXT) | instid1(VALU_DEP_2)
	v_lshlrev_b64_e64 v[26:27], v26, 1
	v_bfi_b32 v25, v25, 0, 0
	s_delay_alu instid0(VALU_DEP_3) | instskip(NEXT) | instid1(VALU_DEP_1)
	v_bfi_b32 v24, v24, 0, v2
	v_cmp_eq_u64_e64 s13, v[24:25], v[26:27]
	v_lshrrev_b64 v[24:25], v0, v[2:3]
	s_delay_alu instid0(VALU_DEP_1)
	v_mov_b64_e32 v[26:27], v[24:25]
	s_and_saveexec_b32 s75, s13
; %bb.5318:                             ;   in Loop: Header=BB6_4246 Depth=3
	v_bfe_u32 v2, v24, 20, 1
	s_delay_alu instid0(VALU_DEP_1) | instskip(NEXT) | instid1(VALU_DEP_1)
	v_add_nc_u64_e32 v[26:27], v[24:25], v[2:3]
	v_add_nc_u64_e32 v[26:27], -1, v[26:27]
; %bb.5319:                             ;   in Loop: Header=BB6_4246 Depth=3
	s_or_b32 exec_lo, exec_lo, s75
	v_add_nc_u32_e32 v2, 0xffffff81, v67
	v_lshrrev_b32_e32 v25, 23, v24
	s_mov_b32 s13, exec_lo
	s_delay_alu instid0(VALU_DEP_2) | instskip(NEXT) | instid1(VALU_DEP_1)
	v_cndmask_b32_e64 v2, v2, 0xffffff82, vcc_lo
	v_add3_u32 v27, v0, v2, v25
	v_and_b32_e32 v0, 0xfffff, v26
	s_delay_alu instid0(VALU_DEP_1) | instskip(NEXT) | instid1(VALU_DEP_1)
	v_dual_add_nc_u32 v26, 6, v27 :: v_dual_add_nc_u32 v2, v0, v24
                                        ; implicit-def: $vgpr24_vgpr25
                                        ; implicit-def: $vgpr0
	v_cmpx_ne_u32_e32 0, v26
	s_xor_b32 s13, exec_lo, s13
; %bb.5320:                             ;   in Loop: Header=BB6_4246 Depth=3
	s_delay_alu instid0(VALU_DEP_2) | instskip(SKIP_2) | instid1(VALU_DEP_2)
	v_cmp_lt_u64_e32 vcc_lo, 0xffffff, v[2:3]
	v_add_nc_u32_e32 v0, 7, v27
	v_cndmask_b32_e64 v24, 0, 1, vcc_lo
	v_cndmask_b32_e32 v0, v26, v0, vcc_lo
	s_delay_alu instid0(VALU_DEP_2)
	v_lshrrev_b64 v[24:25], v24, v[2:3]
; %bb.5321:                             ;   in Loop: Header=BB6_4246 Depth=3
	s_and_not1_saveexec_b32 s13, s13
; %bb.5322:                             ;   in Loop: Header=BB6_4246 Depth=3
	v_mov_b64_e32 v[24:25], v[2:3]
	v_bfe_u32 v0, v2, 23, 1
; %bb.5323:                             ;   in Loop: Header=BB6_4246 Depth=3
	s_or_b32 exec_lo, exec_lo, s13
	s_delay_alu instid0(VALU_DEP_2) | instskip(NEXT) | instid1(VALU_DEP_2)
	v_lshrrev_b64 v[24:25], 20, v[24:25]
	v_cmp_gt_i32_e32 vcc_lo, 16, v0
	v_min_i32_e32 v2, 15, v0
	v_cmp_eq_u32_e64 s13, 0, v0
	s_delay_alu instid0(VALU_DEP_2) | instskip(SKIP_1) | instid1(VALU_DEP_2)
	v_dual_cndmask_b32 v25, 0, v25 :: v_dual_lshlrev_b32 v2, 3, v2
	v_cndmask_b32_e32 v24, 7, v24, vcc_lo
	v_and_b32_e32 v2, 0xf8, v2
	s_delay_alu instid0(VALU_DEP_2) | instskip(NEXT) | instid1(VALU_DEP_2)
	v_cmp_eq_u64_e32 vcc_lo, 0, v[24:25]
	v_and_or_b32 v0, v24, 7, v2
	s_and_b32 s13, s13, vcc_lo
	s_delay_alu instid0(VALU_DEP_1) | instid1(SALU_CYCLE_1)
	v_cndmask_b32_e64 v0, v0, 0, s13
	s_delay_alu instid0(VALU_DEP_1)
	v_or_b32_e32 v91, v0, v66
.LBB6_5324:                             ;   in Loop: Header=BB6_4246 Depth=3
	s_or_b32 exec_lo, exec_lo, s74
                                        ; implicit-def: $vgpr66
.LBB6_5325:                             ;   in Loop: Header=BB6_4246 Depth=3
	s_and_not1_saveexec_b32 s13, s45
; %bb.5326:                             ;   in Loop: Header=BB6_4246 Depth=3
	v_or_b32_e32 v91, 0x7e, v66
; %bb.5327:                             ;   in Loop: Header=BB6_4246 Depth=3
	s_or_b32 exec_lo, exec_lo, s13
                                        ; implicit-def: $vgpr24
.LBB6_5328:                             ;   in Loop: Header=BB6_4246 Depth=3
	s_and_not1_saveexec_b32 s13, s44
; %bb.5329:                             ;   in Loop: Header=BB6_4246 Depth=3
	v_or_b32_e32 v91, 0x7f, v24
; %bb.5330:                             ;   in Loop: Header=BB6_4246 Depth=3
	s_or_b32 exec_lo, exec_lo, s13
	v_dual_mov_b32 v26, 0 :: v_dual_mov_b32 v27, 0
	s_mov_b32 s13, exec_lo
	v_cmpx_lt_u32_e32 0xffffff, v20
	s_cbranch_execz .LBB6_5338
; %bb.5331:                             ;   in Loop: Header=BB6_4246 Depth=3
	v_lshrrev_b32_e32 v0, 24, v20
	v_bfrev_b32_e32 v27, 1
	s_mov_b32 s44, exec_lo
	s_delay_alu instid0(VALU_DEP_2)
	v_cmpx_ne_u32_e32 0x80, v0
	s_cbranch_execz .LBB6_5337
; %bb.5332:                             ;   in Loop: Header=BB6_4246 Depth=3
	v_bfe_u32 v24, v20, 24, 7
	v_mov_b32_e32 v27, 0x7f800001
	s_mov_b32 s45, exec_lo
	s_delay_alu instid0(VALU_DEP_2)
	v_cmpx_ne_u32_e32 0x7f, v24
	s_cbranch_execz .LBB6_5336
; %bb.5333:                             ;   in Loop: Header=BB6_4246 Depth=3
	v_and_b32_e32 v2, 7, v0
	v_lshrrev_b32_e32 v27, 3, v24
	v_cmp_gt_u32_e32 vcc_lo, 8, v24
	s_delay_alu instid0(VALU_DEP_3)
	v_mov_b64_e32 v[24:25], v[2:3]
	s_and_saveexec_b32 s74, vcc_lo
; %bb.5334:                             ;   in Loop: Header=BB6_4246 Depth=3
	v_clz_i32_u32_e32 v24, v2
	s_delay_alu instid0(VALU_DEP_1) | instskip(NEXT) | instid1(VALU_DEP_1)
	v_min_u32_e32 v27, 32, v24
	v_subrev_nc_u32_e32 v24, 28, v27
	s_delay_alu instid0(VALU_DEP_1) | instskip(NEXT) | instid1(VALU_DEP_1)
	v_lshlrev_b64_e32 v[24:25], v24, v[2:3]
	v_dual_sub_nc_u32 v27, 29, v27 :: v_dual_bitop2_b32 v24, 7, v24 bitop3:0x40
; %bb.5335:                             ;   in Loop: Header=BB6_4246 Depth=3
	s_or_b32 exec_lo, exec_lo, s74
	v_lshlrev_b32_e32 v0, 24, v0
	s_delay_alu instid0(VALU_DEP_2) | instskip(NEXT) | instid1(VALU_DEP_3)
	v_lshlrev_b32_e32 v2, 20, v24
	v_lshl_add_u32 v24, v27, 23, 0x3c000000
	s_delay_alu instid0(VALU_DEP_3) | instskip(NEXT) | instid1(VALU_DEP_1)
	v_and_b32_e32 v0, 0x80000000, v0
	v_or3_b32 v27, v2, v0, v24
.LBB6_5336:                             ;   in Loop: Header=BB6_4246 Depth=3
	s_or_b32 exec_lo, exec_lo, s45
.LBB6_5337:                             ;   in Loop: Header=BB6_4246 Depth=3
	s_delay_alu instid0(SALU_CYCLE_1)
	s_or_b32 exec_lo, exec_lo, s44
.LBB6_5338:                             ;   in Loop: Header=BB6_4246 Depth=3
	s_delay_alu instid0(SALU_CYCLE_1) | instskip(NEXT) | instid1(SALU_CYCLE_1)
	s_or_b32 exec_lo, exec_lo, s13
	s_mov_b32 s13, exec_lo
	v_cmpx_lt_u32_e32 0xffffff, v16
	s_cbranch_execz .LBB6_5346
; %bb.5339:                             ;   in Loop: Header=BB6_4246 Depth=3
	v_lshrrev_b32_e32 v0, 24, v16
	v_bfrev_b32_e32 v26, 1
	s_mov_b32 s44, exec_lo
	s_delay_alu instid0(VALU_DEP_2)
	v_cmpx_ne_u32_e32 0x80, v0
	s_cbranch_execz .LBB6_5345
; %bb.5340:                             ;   in Loop: Header=BB6_4246 Depth=3
	v_bfe_u32 v24, v16, 24, 7
	v_mov_b32_e32 v26, 0x7f800001
	s_mov_b32 s45, exec_lo
	s_delay_alu instid0(VALU_DEP_2)
	v_cmpx_ne_u32_e32 0x7f, v24
	s_cbranch_execz .LBB6_5344
; %bb.5341:                             ;   in Loop: Header=BB6_4246 Depth=3
	v_and_b32_e32 v2, 7, v0
	v_lshrrev_b32_e32 v26, 3, v24
	v_cmp_gt_u32_e32 vcc_lo, 8, v24
	s_delay_alu instid0(VALU_DEP_3)
	v_mov_b64_e32 v[24:25], v[2:3]
	s_and_saveexec_b32 s74, vcc_lo
; %bb.5342:                             ;   in Loop: Header=BB6_4246 Depth=3
	v_clz_i32_u32_e32 v24, v2
	s_delay_alu instid0(VALU_DEP_1) | instskip(NEXT) | instid1(VALU_DEP_1)
	v_min_u32_e32 v26, 32, v24
	v_subrev_nc_u32_e32 v24, 28, v26
	s_delay_alu instid0(VALU_DEP_1) | instskip(NEXT) | instid1(VALU_DEP_1)
	v_lshlrev_b64_e32 v[24:25], v24, v[2:3]
	v_dual_sub_nc_u32 v26, 29, v26 :: v_dual_bitop2_b32 v24, 7, v24 bitop3:0x40
; %bb.5343:                             ;   in Loop: Header=BB6_4246 Depth=3
	s_or_b32 exec_lo, exec_lo, s74
	v_lshlrev_b32_e32 v0, 24, v0
	s_delay_alu instid0(VALU_DEP_2) | instskip(NEXT) | instid1(VALU_DEP_3)
	v_lshlrev_b32_e32 v2, 20, v24
	v_lshl_add_u32 v24, v26, 23, 0x3c000000
	s_delay_alu instid0(VALU_DEP_3) | instskip(NEXT) | instid1(VALU_DEP_1)
	v_and_b32_e32 v0, 0x80000000, v0
	v_or3_b32 v26, v2, v0, v24
.LBB6_5344:                             ;   in Loop: Header=BB6_4246 Depth=3
	s_or_b32 exec_lo, exec_lo, s45
.LBB6_5345:                             ;   in Loop: Header=BB6_4246 Depth=3
	s_delay_alu instid0(SALU_CYCLE_1)
	s_or_b32 exec_lo, exec_lo, s44
.LBB6_5346:                             ;   in Loop: Header=BB6_4246 Depth=3
	s_delay_alu instid0(SALU_CYCLE_1) | instskip(NEXT) | instid1(VALU_DEP_1)
	s_or_b32 exec_lo, exec_lo, s13
	v_add_f32_e32 v0, v27, v26
                                        ; implicit-def: $vgpr96
	s_mov_b32 s13, exec_lo
	s_delay_alu instid0(VALU_DEP_1) | instskip(SKIP_1) | instid1(VALU_DEP_2)
	v_and_b32_e32 v2, 0x7f800000, v0
	v_lshrrev_b32_e32 v24, 24, v0
	v_cmpx_ne_u64_e32 0x7f800000, v[2:3]
	s_xor_b32 s44, exec_lo, s13
	s_cbranch_execz .LBB6_5360
; %bb.5347:                             ;   in Loop: Header=BB6_4246 Depth=3
	v_and_b32_e32 v2, 0x7fffffff, v0
	v_and_b32_e32 v66, 0x80, v24
                                        ; implicit-def: $vgpr96
	s_mov_b32 s13, exec_lo
	s_delay_alu instid0(VALU_DEP_2)
	v_cmpx_gt_u64_e32 0x43e00001, v[2:3]
	s_xor_b32 s45, exec_lo, s13
	s_cbranch_execz .LBB6_5357
; %bb.5348:                             ;   in Loop: Header=BB6_4246 Depth=3
	v_mov_b32_e32 v96, 0
	s_mov_b32 s74, exec_lo
	v_cmpx_ne_u32_e32 0, v0
	s_cbranch_execz .LBB6_5356
; %bb.5349:                             ;   in Loop: Header=BB6_4246 Depth=3
	v_bfe_u32 v67, v0, 23, 8
	v_and_b32_e32 v2, 0x7fffff, v0
	s_delay_alu instid0(VALU_DEP_2) | instskip(SKIP_2) | instid1(VALU_DEP_4)
	v_cmp_gt_u32_e64 s13, 0x7a, v67
	v_sub_nc_u32_e32 v0, 0x79, v67
	v_cmp_eq_u32_e32 vcc_lo, 0, v67
	v_or_b32_e32 v24, 0x800000, v2
	s_delay_alu instid0(VALU_DEP_1) | instskip(NEXT) | instid1(VALU_DEP_1)
	v_dual_cndmask_b32 v0, 0, v0, s13 :: v_dual_cndmask_b32 v2, v24, v2, vcc_lo
	v_cndmask_b32_e64 v0, v0, 0x78, vcc_lo
	s_delay_alu instid0(VALU_DEP_1) | instskip(NEXT) | instid1(VALU_DEP_1)
	v_dual_add_nc_u32 v24, 20, v0 :: v_dual_add_nc_u32 v26, 19, v0
	v_lshlrev_b64_e64 v[24:25], v24, -1
	s_delay_alu instid0(VALU_DEP_2) | instskip(NEXT) | instid1(VALU_DEP_2)
	v_lshlrev_b64_e64 v[26:27], v26, 1
	v_bfi_b32 v25, v25, 0, 0
	s_delay_alu instid0(VALU_DEP_3) | instskip(NEXT) | instid1(VALU_DEP_1)
	v_bfi_b32 v24, v24, 0, v2
	v_cmp_eq_u64_e64 s13, v[24:25], v[26:27]
	v_lshrrev_b64 v[24:25], v0, v[2:3]
	s_delay_alu instid0(VALU_DEP_1)
	v_mov_b64_e32 v[26:27], v[24:25]
	s_and_saveexec_b32 s75, s13
; %bb.5350:                             ;   in Loop: Header=BB6_4246 Depth=3
	v_bfe_u32 v2, v24, 20, 1
	s_delay_alu instid0(VALU_DEP_1) | instskip(NEXT) | instid1(VALU_DEP_1)
	v_add_nc_u64_e32 v[26:27], v[24:25], v[2:3]
	v_add_nc_u64_e32 v[26:27], -1, v[26:27]
; %bb.5351:                             ;   in Loop: Header=BB6_4246 Depth=3
	s_or_b32 exec_lo, exec_lo, s75
	v_add_nc_u32_e32 v2, 0xffffff81, v67
	v_lshrrev_b32_e32 v25, 23, v24
	s_mov_b32 s13, exec_lo
	s_delay_alu instid0(VALU_DEP_2) | instskip(NEXT) | instid1(VALU_DEP_1)
	v_cndmask_b32_e64 v2, v2, 0xffffff82, vcc_lo
	v_add3_u32 v27, v0, v2, v25
	v_and_b32_e32 v0, 0xfffff, v26
	s_delay_alu instid0(VALU_DEP_1) | instskip(NEXT) | instid1(VALU_DEP_1)
	v_dual_add_nc_u32 v26, 6, v27 :: v_dual_add_nc_u32 v2, v0, v24
                                        ; implicit-def: $vgpr24_vgpr25
                                        ; implicit-def: $vgpr0
	v_cmpx_ne_u32_e32 0, v26
	s_xor_b32 s13, exec_lo, s13
; %bb.5352:                             ;   in Loop: Header=BB6_4246 Depth=3
	s_delay_alu instid0(VALU_DEP_2) | instskip(SKIP_2) | instid1(VALU_DEP_2)
	v_cmp_lt_u64_e32 vcc_lo, 0xffffff, v[2:3]
	v_add_nc_u32_e32 v0, 7, v27
	v_cndmask_b32_e64 v24, 0, 1, vcc_lo
	v_cndmask_b32_e32 v0, v26, v0, vcc_lo
	s_delay_alu instid0(VALU_DEP_2)
	v_lshrrev_b64 v[24:25], v24, v[2:3]
; %bb.5353:                             ;   in Loop: Header=BB6_4246 Depth=3
	s_and_not1_saveexec_b32 s13, s13
; %bb.5354:                             ;   in Loop: Header=BB6_4246 Depth=3
	v_mov_b64_e32 v[24:25], v[2:3]
	v_bfe_u32 v0, v2, 23, 1
; %bb.5355:                             ;   in Loop: Header=BB6_4246 Depth=3
	s_or_b32 exec_lo, exec_lo, s13
	s_delay_alu instid0(VALU_DEP_2) | instskip(NEXT) | instid1(VALU_DEP_2)
	v_lshrrev_b64 v[24:25], 20, v[24:25]
	v_cmp_gt_i32_e32 vcc_lo, 16, v0
	v_min_i32_e32 v2, 15, v0
	v_cmp_eq_u32_e64 s13, 0, v0
	s_delay_alu instid0(VALU_DEP_2) | instskip(SKIP_1) | instid1(VALU_DEP_2)
	v_dual_cndmask_b32 v25, 0, v25 :: v_dual_lshlrev_b32 v2, 3, v2
	v_cndmask_b32_e32 v24, 7, v24, vcc_lo
	v_and_b32_e32 v2, 0xf8, v2
	s_delay_alu instid0(VALU_DEP_2) | instskip(NEXT) | instid1(VALU_DEP_2)
	v_cmp_eq_u64_e32 vcc_lo, 0, v[24:25]
	v_and_or_b32 v0, v24, 7, v2
	s_and_b32 s13, s13, vcc_lo
	s_delay_alu instid0(VALU_DEP_1) | instid1(SALU_CYCLE_1)
	v_cndmask_b32_e64 v0, v0, 0, s13
	s_delay_alu instid0(VALU_DEP_1)
	v_or_b32_e32 v96, v0, v66
.LBB6_5356:                             ;   in Loop: Header=BB6_4246 Depth=3
	s_or_b32 exec_lo, exec_lo, s74
                                        ; implicit-def: $vgpr66
.LBB6_5357:                             ;   in Loop: Header=BB6_4246 Depth=3
	s_and_not1_saveexec_b32 s13, s45
; %bb.5358:                             ;   in Loop: Header=BB6_4246 Depth=3
	v_or_b32_e32 v96, 0x7e, v66
; %bb.5359:                             ;   in Loop: Header=BB6_4246 Depth=3
	s_or_b32 exec_lo, exec_lo, s13
                                        ; implicit-def: $vgpr24
.LBB6_5360:                             ;   in Loop: Header=BB6_4246 Depth=3
	s_and_not1_saveexec_b32 s13, s44
; %bb.5361:                             ;   in Loop: Header=BB6_4246 Depth=3
	v_or_b32_e32 v96, 0x7f, v24
; %bb.5362:                             ;   in Loop: Header=BB6_4246 Depth=3
	s_or_b32 exec_lo, exec_lo, s13
	v_and_b32_e32 v0, 0xff, v21
	v_dual_mov_b32 v2, v21 :: v_dual_mov_b32 v24, 0
	v_mov_b32_e32 v25, 0
	s_mov_b32 s13, exec_lo
	s_delay_alu instid0(VALU_DEP_3)
	v_cmpx_ne_u16_e32 0, v0
	s_cbranch_execz .LBB6_5368
; %bb.5363:                             ;   in Loop: Header=BB6_4246 Depth=3
	v_bfrev_b32_e32 v25, 1
	s_mov_b32 s44, exec_lo
	v_cmpx_ne_u16_e32 0x80, v0
	s_cbranch_execz .LBB6_5367
; %bb.5364:                             ;   in Loop: Header=BB6_4246 Depth=3
	v_and_b32_e32 v0, 0x7f, v21
	v_mov_b32_e32 v25, 0x7f800001
	s_mov_b32 s45, exec_lo
	s_delay_alu instid0(VALU_DEP_2)
	v_cmpx_ne_u32_e32 0x7f, v0
	s_cbranch_execz .LBB6_5366
; %bb.5365:                             ;   in Loop: Header=BB6_4246 Depth=3
	v_dual_lshrrev_b32 v26, 3, v0 :: v_dual_bitop2_b32 v25, 7, v21 bitop3:0x40
	v_cmp_gt_u32_e32 vcc_lo, 8, v0
	s_delay_alu instid0(VALU_DEP_2) | instskip(NEXT) | instid1(VALU_DEP_1)
	v_clz_i32_u32_e32 v0, v25
	v_min_u32_e32 v0, 32, v0
	s_delay_alu instid0(VALU_DEP_1) | instskip(NEXT) | instid1(VALU_DEP_1)
	v_subrev_nc_u32_e32 v25, 28, v0
	v_dual_cndmask_b32 v25, 0, v25 :: v_dual_sub_nc_u32 v0, 29, v0
	s_delay_alu instid0(VALU_DEP_1) | instskip(NEXT) | instid1(VALU_DEP_2)
	v_cndmask_b32_e32 v0, v26, v0, vcc_lo
	v_lshlrev_b64_e32 v[26:27], v25, v[2:3]
	s_delay_alu instid0(VALU_DEP_1) | instskip(SKIP_1) | instid1(VALU_DEP_4)
	v_lshlrev_b32_e32 v25, 20, v26
	v_lshlrev_b32_e32 v26, 24, v2
	v_lshl_add_u32 v0, v0, 23, 0x3c000000
	s_delay_alu instid0(VALU_DEP_3) | instskip(NEXT) | instid1(VALU_DEP_3)
	v_and_b32_e32 v25, 0x700000, v25
	v_and_b32_e32 v26, 0x80000000, v26
	s_delay_alu instid0(VALU_DEP_1)
	v_or3_b32 v25, v25, v26, v0
.LBB6_5366:                             ;   in Loop: Header=BB6_4246 Depth=3
	s_or_b32 exec_lo, exec_lo, s45
.LBB6_5367:                             ;   in Loop: Header=BB6_4246 Depth=3
	s_delay_alu instid0(SALU_CYCLE_1)
	s_or_b32 exec_lo, exec_lo, s44
.LBB6_5368:                             ;   in Loop: Header=BB6_4246 Depth=3
	s_delay_alu instid0(SALU_CYCLE_1) | instskip(SKIP_2) | instid1(VALU_DEP_1)
	s_or_b32 exec_lo, exec_lo, s13
	v_and_b32_e32 v0, 0xff, v17
	s_mov_b32 s13, exec_lo
	v_cmpx_ne_u16_e32 0, v0
	s_cbranch_execz .LBB6_5374
; %bb.5369:                             ;   in Loop: Header=BB6_4246 Depth=3
	v_bfrev_b32_e32 v24, 1
	s_mov_b32 s44, exec_lo
	v_cmpx_ne_u16_e32 0x80, v0
	s_cbranch_execz .LBB6_5373
; %bb.5370:                             ;   in Loop: Header=BB6_4246 Depth=3
	v_and_b32_e32 v0, 0x7f, v17
	v_mov_b32_e32 v24, 0x7f800001
	s_mov_b32 s45, exec_lo
	s_delay_alu instid0(VALU_DEP_2)
	v_cmpx_ne_u32_e32 0x7f, v0
	s_cbranch_execz .LBB6_5372
; %bb.5371:                             ;   in Loop: Header=BB6_4246 Depth=3
	v_dual_lshrrev_b32 v52, 3, v0 :: v_dual_bitop2_b32 v24, 7, v17 bitop3:0x40
	v_cmp_gt_u32_e32 vcc_lo, 8, v0
	v_mov_b32_e32 v26, v17
	s_delay_alu instid0(VALU_DEP_3) | instskip(NEXT) | instid1(VALU_DEP_1)
	v_clz_i32_u32_e32 v24, v24
	v_min_u32_e32 v24, 32, v24
	s_delay_alu instid0(VALU_DEP_1) | instskip(SKIP_1) | instid1(VALU_DEP_1)
	v_subrev_nc_u32_e32 v0, 28, v24
	v_dual_mov_b32 v27, v3 :: v_dual_sub_nc_u32 v66, 29, v24
	v_dual_cndmask_b32 v0, 0, v0, vcc_lo :: v_dual_cndmask_b32 v24, v52, v66, vcc_lo
	s_delay_alu instid0(VALU_DEP_1) | instskip(SKIP_1) | instid1(VALU_DEP_3)
	v_lshlrev_b64_e32 v[66:67], v0, v[26:27]
	v_lshlrev_b32_e32 v0, 24, v26
	v_lshl_add_u32 v24, v24, 23, 0x3c000000
	s_delay_alu instid0(VALU_DEP_2) | instskip(NEXT) | instid1(VALU_DEP_4)
	v_and_b32_e32 v0, 0x80000000, v0
	v_lshlrev_b32_e32 v26, 20, v66
	s_delay_alu instid0(VALU_DEP_1) | instskip(NEXT) | instid1(VALU_DEP_1)
	v_and_b32_e32 v26, 0x700000, v26
	v_or3_b32 v24, v26, v0, v24
.LBB6_5372:                             ;   in Loop: Header=BB6_4246 Depth=3
	s_or_b32 exec_lo, exec_lo, s45
.LBB6_5373:                             ;   in Loop: Header=BB6_4246 Depth=3
	s_delay_alu instid0(SALU_CYCLE_1)
	s_or_b32 exec_lo, exec_lo, s44
.LBB6_5374:                             ;   in Loop: Header=BB6_4246 Depth=3
	s_delay_alu instid0(SALU_CYCLE_1) | instskip(NEXT) | instid1(VALU_DEP_1)
	s_or_b32 exec_lo, exec_lo, s13
	v_dual_add_f32 v0, v25, v24 :: v_dual_mov_b32 v25, v3
                                        ; implicit-def: $vgpr97
	s_delay_alu instid0(VALU_DEP_1) | instskip(NEXT) | instid1(VALU_DEP_1)
	v_and_b32_e32 v24, 0x7f800000, v0
	v_cmp_ne_u64_e32 vcc_lo, 0x7f800000, v[24:25]
	v_lshrrev_b32_e32 v24, 24, v0
	s_and_saveexec_b32 s13, vcc_lo
	s_delay_alu instid0(SALU_CYCLE_1)
	s_xor_b32 s44, exec_lo, s13
	s_cbranch_execz .LBB6_5388
; %bb.5375:                             ;   in Loop: Header=BB6_4246 Depth=3
	v_and_b32_e32 v26, 0x7fffffff, v0
	v_mov_b32_e32 v27, v3
	v_and_b32_e32 v66, 0x80, v24
                                        ; implicit-def: $vgpr97
	s_mov_b32 s13, exec_lo
	s_delay_alu instid0(VALU_DEP_2)
	v_cmpx_gt_u64_e32 0x43e00001, v[26:27]
	s_xor_b32 s45, exec_lo, s13
	s_cbranch_execz .LBB6_5385
; %bb.5376:                             ;   in Loop: Header=BB6_4246 Depth=3
	v_mov_b32_e32 v97, 0
	s_mov_b32 s74, exec_lo
	v_cmpx_ne_u32_e32 0, v0
	s_cbranch_execz .LBB6_5384
; %bb.5377:                             ;   in Loop: Header=BB6_4246 Depth=3
	v_and_b32_e32 v24, 0x7fffff, v0
	v_bfe_u32 v67, v0, 23, 8
	s_delay_alu instid0(VALU_DEP_2) | instskip(NEXT) | instid1(VALU_DEP_2)
	v_or_b32_e32 v25, 0x800000, v24
	v_cmp_eq_u32_e32 vcc_lo, 0, v67
	v_cmp_gt_u32_e64 s13, 0x7a, v67
	v_sub_nc_u32_e32 v0, 0x79, v67
	s_delay_alu instid0(VALU_DEP_4) | instskip(NEXT) | instid1(VALU_DEP_2)
	v_dual_cndmask_b32 v24, v25, v24 :: v_dual_mov_b32 v25, v3
	v_cndmask_b32_e64 v0, 0, v0, s13
	s_delay_alu instid0(VALU_DEP_1) | instskip(NEXT) | instid1(VALU_DEP_1)
	v_cndmask_b32_e64 v0, v0, 0x78, vcc_lo
	v_dual_add_nc_u32 v26, 20, v0 :: v_dual_add_nc_u32 v52, 19, v0
	s_delay_alu instid0(VALU_DEP_1) | instskip(NEXT) | instid1(VALU_DEP_2)
	v_lshlrev_b64_e64 v[26:27], v26, -1
	v_lshlrev_b64_e64 v[42:43], v52, 1
	s_delay_alu instid0(VALU_DEP_2) | instskip(SKIP_1) | instid1(VALU_DEP_4)
	v_bfi_b32 v26, v26, 0, v24
	v_lshrrev_b64 v[24:25], v0, v[24:25]
	v_bfi_b32 v27, v27, 0, 0
	s_delay_alu instid0(VALU_DEP_1) | instskip(NEXT) | instid1(VALU_DEP_3)
	v_cmp_eq_u64_e64 s13, v[26:27], v[42:43]
	v_mov_b64_e32 v[26:27], v[24:25]
	s_and_saveexec_b32 s75, s13
; %bb.5378:                             ;   in Loop: Header=BB6_4246 Depth=3
	v_bfe_u32 v26, v24, 20, 1
	v_mov_b32_e32 v27, v3
	s_delay_alu instid0(VALU_DEP_1) | instskip(NEXT) | instid1(VALU_DEP_1)
	v_add_nc_u64_e32 v[26:27], v[24:25], v[26:27]
	v_add_nc_u64_e32 v[26:27], -1, v[26:27]
; %bb.5379:                             ;   in Loop: Header=BB6_4246 Depth=3
	s_or_b32 exec_lo, exec_lo, s75
	v_add_nc_u32_e32 v25, 0xffffff81, v67
	v_lshrrev_b32_e32 v27, 23, v24
	s_mov_b32 s13, exec_lo
	s_delay_alu instid0(VALU_DEP_2) | instskip(NEXT) | instid1(VALU_DEP_1)
	v_cndmask_b32_e64 v25, v25, 0xffffff82, vcc_lo
	v_add3_u32 v27, v0, v25, v27
	v_and_b32_e32 v0, 0xfffff, v26
	s_delay_alu instid0(VALU_DEP_2) | instskip(NEXT) | instid1(VALU_DEP_2)
	v_dual_mov_b32 v25, v3 :: v_dual_add_nc_u32 v26, 6, v27
	v_add_nc_u32_e32 v24, v0, v24
                                        ; implicit-def: $vgpr0
	s_delay_alu instid0(VALU_DEP_2)
	v_cmpx_ne_u32_e32 0, v26
	s_xor_b32 s13, exec_lo, s13
; %bb.5380:                             ;   in Loop: Header=BB6_4246 Depth=3
	s_delay_alu instid0(VALU_DEP_2) | instskip(SKIP_1) | instid1(VALU_DEP_1)
	v_cmp_lt_u64_e32 vcc_lo, 0xffffff, v[24:25]
	v_add_nc_u32_e32 v0, 7, v27
	v_cndmask_b32_e32 v0, v26, v0, vcc_lo
	v_cndmask_b32_e64 v26, 0, 1, vcc_lo
	s_delay_alu instid0(VALU_DEP_1)
	v_lshrrev_b64 v[24:25], v26, v[24:25]
; %bb.5381:                             ;   in Loop: Header=BB6_4246 Depth=3
	s_and_not1_saveexec_b32 s13, s13
; %bb.5382:                             ;   in Loop: Header=BB6_4246 Depth=3
	s_delay_alu instid0(VALU_DEP_1)
	v_bfe_u32 v0, v24, 23, 1
; %bb.5383:                             ;   in Loop: Header=BB6_4246 Depth=3
	s_or_b32 exec_lo, exec_lo, s13
	s_delay_alu instid0(VALU_DEP_2) | instskip(NEXT) | instid1(VALU_DEP_2)
	v_lshrrev_b64 v[24:25], 20, v[24:25]
	v_cmp_gt_i32_e32 vcc_lo, 16, v0
	v_min_i32_e32 v26, 15, v0
	v_cmp_eq_u32_e64 s13, 0, v0
	s_delay_alu instid0(VALU_DEP_2) | instskip(SKIP_1) | instid1(VALU_DEP_2)
	v_dual_cndmask_b32 v25, 0, v25 :: v_dual_lshlrev_b32 v26, 3, v26
	v_cndmask_b32_e32 v24, 7, v24, vcc_lo
	v_and_b32_e32 v26, 0xf8, v26
	s_delay_alu instid0(VALU_DEP_2) | instskip(NEXT) | instid1(VALU_DEP_2)
	v_cmp_eq_u64_e32 vcc_lo, 0, v[24:25]
	v_and_or_b32 v0, v24, 7, v26
	s_and_b32 s13, s13, vcc_lo
	s_delay_alu instid0(VALU_DEP_1) | instid1(SALU_CYCLE_1)
	v_cndmask_b32_e64 v0, v0, 0, s13
	s_delay_alu instid0(VALU_DEP_1)
	v_or_b32_e32 v97, v0, v66
.LBB6_5384:                             ;   in Loop: Header=BB6_4246 Depth=3
	s_or_b32 exec_lo, exec_lo, s74
                                        ; implicit-def: $vgpr66
.LBB6_5385:                             ;   in Loop: Header=BB6_4246 Depth=3
	s_and_not1_saveexec_b32 s13, s45
; %bb.5386:                             ;   in Loop: Header=BB6_4246 Depth=3
	v_or_b32_e32 v97, 0x7e, v66
; %bb.5387:                             ;   in Loop: Header=BB6_4246 Depth=3
	s_or_b32 exec_lo, exec_lo, s13
                                        ; implicit-def: $vgpr24
.LBB6_5388:                             ;   in Loop: Header=BB6_4246 Depth=3
	s_and_not1_saveexec_b32 s13, s44
; %bb.5389:                             ;   in Loop: Header=BB6_4246 Depth=3
	v_or_b32_e32 v97, 0x7f, v24
; %bb.5390:                             ;   in Loop: Header=BB6_4246 Depth=3
	s_or_b32 exec_lo, exec_lo, s13
	v_lshrrev_b16 v0, 8, v2
	v_dual_mov_b32 v26, 0 :: v_dual_mov_b32 v27, 0
	s_mov_b32 s13, exec_lo
	s_delay_alu instid0(VALU_DEP_2)
	v_cmpx_ne_u16_e32 0, v0
	s_cbranch_execz .LBB6_5398
; %bb.5391:                             ;   in Loop: Header=BB6_4246 Depth=3
	v_bfrev_b32_e32 v27, 1
	s_mov_b32 s44, exec_lo
	v_cmpx_ne_u16_e32 0x80, v0
	s_cbranch_execz .LBB6_5397
; %bb.5392:                             ;   in Loop: Header=BB6_4246 Depth=3
	v_and_b32_e32 v0, 0xffff, v0
	v_mov_b32_e32 v27, 0x7f800001
	s_mov_b32 s45, exec_lo
	s_delay_alu instid0(VALU_DEP_2) | instskip(NEXT) | instid1(VALU_DEP_1)
	v_and_b32_e32 v52, 0x7f, v0
	v_cmpx_ne_u32_e32 0x7f, v52
	s_cbranch_execz .LBB6_5396
; %bb.5393:                             ;   in Loop: Header=BB6_4246 Depth=3
	v_dual_mov_b32 v25, v3 :: v_dual_bitop2_b32 v24, 7, v0 bitop3:0x40
	v_lshrrev_b32_e32 v0, 3, v52
	s_mov_b32 s74, exec_lo
	v_cmpx_gt_u32_e32 8, v52
; %bb.5394:                             ;   in Loop: Header=BB6_4246 Depth=3
	s_delay_alu instid0(VALU_DEP_3) | instskip(NEXT) | instid1(VALU_DEP_1)
	v_clz_i32_u32_e32 v0, v24
	v_min_u32_e32 v0, 32, v0
	s_delay_alu instid0(VALU_DEP_1) | instskip(SKIP_1) | instid1(VALU_DEP_2)
	v_subrev_nc_u32_e32 v27, 28, v0
	v_sub_nc_u32_e32 v0, 29, v0
	v_lshlrev_b64_e32 v[24:25], v27, v[24:25]
	s_delay_alu instid0(VALU_DEP_1)
	v_and_b32_e32 v24, 7, v24
; %bb.5395:                             ;   in Loop: Header=BB6_4246 Depth=3
	s_or_b32 exec_lo, exec_lo, s74
	s_delay_alu instid0(VALU_DEP_1) | instskip(SKIP_1) | instid1(VALU_DEP_2)
	v_dual_lshlrev_b32 v2, 16, v2 :: v_dual_lshlrev_b32 v24, 20, v24
	v_lshl_add_u32 v0, v0, 23, 0x3c000000
	v_and_b32_e32 v2, 0x80000000, v2
	s_delay_alu instid0(VALU_DEP_1)
	v_or3_b32 v27, v24, v2, v0
.LBB6_5396:                             ;   in Loop: Header=BB6_4246 Depth=3
	s_or_b32 exec_lo, exec_lo, s45
.LBB6_5397:                             ;   in Loop: Header=BB6_4246 Depth=3
	s_delay_alu instid0(SALU_CYCLE_1)
	s_or_b32 exec_lo, exec_lo, s44
.LBB6_5398:                             ;   in Loop: Header=BB6_4246 Depth=3
	s_delay_alu instid0(SALU_CYCLE_1) | instskip(SKIP_2) | instid1(VALU_DEP_1)
	s_or_b32 exec_lo, exec_lo, s13
	v_lshrrev_b16 v0, 8, v17
	s_mov_b32 s13, exec_lo
	v_cmpx_ne_u16_e32 0, v0
	s_cbranch_execz .LBB6_5406
; %bb.5399:                             ;   in Loop: Header=BB6_4246 Depth=3
	v_bfrev_b32_e32 v26, 1
	s_mov_b32 s44, exec_lo
	v_cmpx_ne_u16_e32 0x80, v0
	s_cbranch_execz .LBB6_5405
; %bb.5400:                             ;   in Loop: Header=BB6_4246 Depth=3
	v_and_b32_e32 v0, 0xffff, v0
	v_mov_b32_e32 v26, 0x7f800001
	s_mov_b32 s45, exec_lo
	s_delay_alu instid0(VALU_DEP_2) | instskip(NEXT) | instid1(VALU_DEP_1)
	v_and_b32_e32 v24, 0x7f, v0
	v_cmpx_ne_u32_e32 0x7f, v24
	s_cbranch_execz .LBB6_5404
; %bb.5401:                             ;   in Loop: Header=BB6_4246 Depth=3
	v_and_b32_e32 v2, 7, v0
	v_lshrrev_b32_e32 v0, 3, v24
	v_cmp_gt_u32_e32 vcc_lo, 8, v24
	s_delay_alu instid0(VALU_DEP_3)
	v_mov_b64_e32 v[24:25], v[2:3]
	s_and_saveexec_b32 s74, vcc_lo
; %bb.5402:                             ;   in Loop: Header=BB6_4246 Depth=3
	v_clz_i32_u32_e32 v0, v2
	s_delay_alu instid0(VALU_DEP_1) | instskip(NEXT) | instid1(VALU_DEP_1)
	v_min_u32_e32 v0, 32, v0
	v_subrev_nc_u32_e32 v24, 28, v0
	v_sub_nc_u32_e32 v0, 29, v0
	s_delay_alu instid0(VALU_DEP_2) | instskip(NEXT) | instid1(VALU_DEP_1)
	v_lshlrev_b64_e32 v[24:25], v24, v[2:3]
	v_and_b32_e32 v24, 7, v24
; %bb.5403:                             ;   in Loop: Header=BB6_4246 Depth=3
	s_or_b32 exec_lo, exec_lo, s74
	s_delay_alu instid0(VALU_DEP_1) | instskip(SKIP_1) | instid1(VALU_DEP_2)
	v_dual_lshlrev_b32 v2, 16, v17 :: v_dual_lshlrev_b32 v24, 20, v24
	v_lshl_add_u32 v0, v0, 23, 0x3c000000
	v_and_b32_e32 v2, 0x80000000, v2
	s_delay_alu instid0(VALU_DEP_1)
	v_or3_b32 v26, v24, v2, v0
.LBB6_5404:                             ;   in Loop: Header=BB6_4246 Depth=3
	s_or_b32 exec_lo, exec_lo, s45
.LBB6_5405:                             ;   in Loop: Header=BB6_4246 Depth=3
	s_delay_alu instid0(SALU_CYCLE_1)
	s_or_b32 exec_lo, exec_lo, s44
.LBB6_5406:                             ;   in Loop: Header=BB6_4246 Depth=3
	s_delay_alu instid0(SALU_CYCLE_1) | instskip(NEXT) | instid1(VALU_DEP_1)
	s_or_b32 exec_lo, exec_lo, s13
	v_add_f32_e32 v0, v27, v26
                                        ; implicit-def: $vgpr58
	s_mov_b32 s13, exec_lo
	s_delay_alu instid0(VALU_DEP_1) | instskip(SKIP_1) | instid1(VALU_DEP_2)
	v_and_b32_e32 v2, 0x7f800000, v0
	v_lshrrev_b32_e32 v24, 24, v0
	v_cmpx_ne_u64_e32 0x7f800000, v[2:3]
	s_xor_b32 s44, exec_lo, s13
	s_cbranch_execz .LBB6_5420
; %bb.5407:                             ;   in Loop: Header=BB6_4246 Depth=3
	v_and_b32_e32 v2, 0x7fffffff, v0
	v_and_b32_e32 v66, 0x80, v24
                                        ; implicit-def: $vgpr58
	s_mov_b32 s13, exec_lo
	s_delay_alu instid0(VALU_DEP_2)
	v_cmpx_gt_u64_e32 0x43e00001, v[2:3]
	s_xor_b32 s45, exec_lo, s13
	s_cbranch_execz .LBB6_5417
; %bb.5408:                             ;   in Loop: Header=BB6_4246 Depth=3
	v_mov_b32_e32 v58, 0
	s_mov_b32 s74, exec_lo
	v_cmpx_ne_u32_e32 0, v0
	s_cbranch_execz .LBB6_5416
; %bb.5409:                             ;   in Loop: Header=BB6_4246 Depth=3
	v_bfe_u32 v67, v0, 23, 8
	v_and_b32_e32 v2, 0x7fffff, v0
	s_delay_alu instid0(VALU_DEP_2) | instskip(SKIP_2) | instid1(VALU_DEP_4)
	v_cmp_gt_u32_e64 s13, 0x7a, v67
	v_sub_nc_u32_e32 v0, 0x79, v67
	v_cmp_eq_u32_e32 vcc_lo, 0, v67
	v_or_b32_e32 v24, 0x800000, v2
	s_delay_alu instid0(VALU_DEP_1) | instskip(NEXT) | instid1(VALU_DEP_1)
	v_dual_cndmask_b32 v0, 0, v0, s13 :: v_dual_cndmask_b32 v2, v24, v2, vcc_lo
	v_cndmask_b32_e64 v0, v0, 0x78, vcc_lo
	s_delay_alu instid0(VALU_DEP_1) | instskip(NEXT) | instid1(VALU_DEP_1)
	v_dual_add_nc_u32 v24, 20, v0 :: v_dual_add_nc_u32 v26, 19, v0
	v_lshlrev_b64_e64 v[24:25], v24, -1
	s_delay_alu instid0(VALU_DEP_2) | instskip(NEXT) | instid1(VALU_DEP_2)
	v_lshlrev_b64_e64 v[26:27], v26, 1
	v_bfi_b32 v25, v25, 0, 0
	s_delay_alu instid0(VALU_DEP_3) | instskip(NEXT) | instid1(VALU_DEP_1)
	v_bfi_b32 v24, v24, 0, v2
	v_cmp_eq_u64_e64 s13, v[24:25], v[26:27]
	v_lshrrev_b64 v[24:25], v0, v[2:3]
	s_delay_alu instid0(VALU_DEP_1)
	v_mov_b64_e32 v[26:27], v[24:25]
	s_and_saveexec_b32 s75, s13
; %bb.5410:                             ;   in Loop: Header=BB6_4246 Depth=3
	v_bfe_u32 v2, v24, 20, 1
	s_delay_alu instid0(VALU_DEP_1) | instskip(NEXT) | instid1(VALU_DEP_1)
	v_add_nc_u64_e32 v[26:27], v[24:25], v[2:3]
	v_add_nc_u64_e32 v[26:27], -1, v[26:27]
; %bb.5411:                             ;   in Loop: Header=BB6_4246 Depth=3
	s_or_b32 exec_lo, exec_lo, s75
	v_add_nc_u32_e32 v2, 0xffffff81, v67
	v_lshrrev_b32_e32 v25, 23, v24
	s_mov_b32 s13, exec_lo
	s_delay_alu instid0(VALU_DEP_2) | instskip(NEXT) | instid1(VALU_DEP_1)
	v_cndmask_b32_e64 v2, v2, 0xffffff82, vcc_lo
	v_add3_u32 v27, v0, v2, v25
	v_and_b32_e32 v0, 0xfffff, v26
	s_delay_alu instid0(VALU_DEP_1) | instskip(NEXT) | instid1(VALU_DEP_1)
	v_dual_add_nc_u32 v26, 6, v27 :: v_dual_add_nc_u32 v2, v0, v24
                                        ; implicit-def: $vgpr24_vgpr25
                                        ; implicit-def: $vgpr0
	v_cmpx_ne_u32_e32 0, v26
	s_xor_b32 s13, exec_lo, s13
; %bb.5412:                             ;   in Loop: Header=BB6_4246 Depth=3
	s_delay_alu instid0(VALU_DEP_2) | instskip(SKIP_2) | instid1(VALU_DEP_2)
	v_cmp_lt_u64_e32 vcc_lo, 0xffffff, v[2:3]
	v_add_nc_u32_e32 v0, 7, v27
	v_cndmask_b32_e64 v24, 0, 1, vcc_lo
	v_cndmask_b32_e32 v0, v26, v0, vcc_lo
	s_delay_alu instid0(VALU_DEP_2)
	v_lshrrev_b64 v[24:25], v24, v[2:3]
; %bb.5413:                             ;   in Loop: Header=BB6_4246 Depth=3
	s_and_not1_saveexec_b32 s13, s13
; %bb.5414:                             ;   in Loop: Header=BB6_4246 Depth=3
	v_mov_b64_e32 v[24:25], v[2:3]
	v_bfe_u32 v0, v2, 23, 1
; %bb.5415:                             ;   in Loop: Header=BB6_4246 Depth=3
	s_or_b32 exec_lo, exec_lo, s13
	s_delay_alu instid0(VALU_DEP_2) | instskip(NEXT) | instid1(VALU_DEP_2)
	v_lshrrev_b64 v[24:25], 20, v[24:25]
	v_cmp_gt_i32_e32 vcc_lo, 16, v0
	v_min_i32_e32 v2, 15, v0
	v_cmp_eq_u32_e64 s13, 0, v0
	s_delay_alu instid0(VALU_DEP_2) | instskip(SKIP_1) | instid1(VALU_DEP_2)
	v_dual_cndmask_b32 v25, 0, v25 :: v_dual_lshlrev_b32 v2, 3, v2
	v_cndmask_b32_e32 v24, 7, v24, vcc_lo
	v_and_b32_e32 v2, 0xf8, v2
	s_delay_alu instid0(VALU_DEP_2) | instskip(NEXT) | instid1(VALU_DEP_2)
	v_cmp_eq_u64_e32 vcc_lo, 0, v[24:25]
	v_and_or_b32 v0, v24, 7, v2
	s_and_b32 s13, s13, vcc_lo
	s_delay_alu instid0(VALU_DEP_1) | instid1(SALU_CYCLE_1)
	v_cndmask_b32_e64 v0, v0, 0, s13
	s_delay_alu instid0(VALU_DEP_1)
	v_or_b32_e32 v58, v0, v66
.LBB6_5416:                             ;   in Loop: Header=BB6_4246 Depth=3
	s_or_b32 exec_lo, exec_lo, s74
                                        ; implicit-def: $vgpr66
.LBB6_5417:                             ;   in Loop: Header=BB6_4246 Depth=3
	s_and_not1_saveexec_b32 s13, s45
; %bb.5418:                             ;   in Loop: Header=BB6_4246 Depth=3
	v_or_b32_e32 v58, 0x7e, v66
; %bb.5419:                             ;   in Loop: Header=BB6_4246 Depth=3
	s_or_b32 exec_lo, exec_lo, s13
                                        ; implicit-def: $vgpr24
.LBB6_5420:                             ;   in Loop: Header=BB6_4246 Depth=3
	s_and_not1_saveexec_b32 s13, s44
; %bb.5421:                             ;   in Loop: Header=BB6_4246 Depth=3
	v_or_b32_e32 v58, 0x7f, v24
; %bb.5422:                             ;   in Loop: Header=BB6_4246 Depth=3
	s_or_b32 exec_lo, exec_lo, s13
	v_dual_lshrrev_b32 v0, 16, v21 :: v_dual_mov_b32 v26, 0
	v_mov_b32_e32 v27, 0
	s_mov_b32 s13, exec_lo
	s_delay_alu instid0(VALU_DEP_2) | instskip(NEXT) | instid1(VALU_DEP_1)
	v_and_b32_e32 v2, 0xff, v0
	v_cmpx_ne_u16_e32 0, v2
	s_cbranch_execz .LBB6_5430
; %bb.5423:                             ;   in Loop: Header=BB6_4246 Depth=3
	v_bfrev_b32_e32 v27, 1
	s_mov_b32 s44, exec_lo
	v_cmpx_ne_u16_e32 0x80, v2
	s_cbranch_execz .LBB6_5429
; %bb.5424:                             ;   in Loop: Header=BB6_4246 Depth=3
	v_bfe_u32 v24, v21, 16, 7
	v_mov_b32_e32 v27, 0x7f800001
	s_mov_b32 s45, exec_lo
	s_delay_alu instid0(VALU_DEP_2)
	v_cmpx_ne_u32_e32 0x7f, v24
	s_cbranch_execz .LBB6_5428
; %bb.5425:                             ;   in Loop: Header=BB6_4246 Depth=3
	v_and_b32_e32 v2, 7, v0
	v_lshrrev_b32_e32 v27, 3, v24
	v_cmp_gt_u32_e32 vcc_lo, 8, v24
	s_delay_alu instid0(VALU_DEP_3)
	v_mov_b64_e32 v[24:25], v[2:3]
	s_and_saveexec_b32 s74, vcc_lo
; %bb.5426:                             ;   in Loop: Header=BB6_4246 Depth=3
	v_clz_i32_u32_e32 v24, v2
	s_delay_alu instid0(VALU_DEP_1) | instskip(NEXT) | instid1(VALU_DEP_1)
	v_min_u32_e32 v27, 32, v24
	v_subrev_nc_u32_e32 v24, 28, v27
	s_delay_alu instid0(VALU_DEP_1) | instskip(NEXT) | instid1(VALU_DEP_1)
	v_lshlrev_b64_e32 v[24:25], v24, v[2:3]
	v_dual_sub_nc_u32 v27, 29, v27 :: v_dual_bitop2_b32 v24, 7, v24 bitop3:0x40
; %bb.5427:                             ;   in Loop: Header=BB6_4246 Depth=3
	s_or_b32 exec_lo, exec_lo, s74
	v_lshlrev_b32_e32 v0, 24, v0
	s_delay_alu instid0(VALU_DEP_2) | instskip(NEXT) | instid1(VALU_DEP_3)
	v_lshlrev_b32_e32 v2, 20, v24
	v_lshl_add_u32 v24, v27, 23, 0x3c000000
	s_delay_alu instid0(VALU_DEP_3) | instskip(NEXT) | instid1(VALU_DEP_1)
	v_and_b32_e32 v0, 0x80000000, v0
	v_or3_b32 v27, v2, v0, v24
.LBB6_5428:                             ;   in Loop: Header=BB6_4246 Depth=3
	s_or_b32 exec_lo, exec_lo, s45
.LBB6_5429:                             ;   in Loop: Header=BB6_4246 Depth=3
	s_delay_alu instid0(SALU_CYCLE_1)
	s_or_b32 exec_lo, exec_lo, s44
.LBB6_5430:                             ;   in Loop: Header=BB6_4246 Depth=3
	s_delay_alu instid0(SALU_CYCLE_1) | instskip(SKIP_2) | instid1(VALU_DEP_1)
	s_or_b32 exec_lo, exec_lo, s13
	v_lshrrev_b32_e32 v0, 16, v17
	s_mov_b32 s13, exec_lo
	v_and_b32_e32 v2, 0xff, v0
	s_delay_alu instid0(VALU_DEP_1)
	v_cmpx_ne_u16_e32 0, v2
	s_cbranch_execz .LBB6_5438
; %bb.5431:                             ;   in Loop: Header=BB6_4246 Depth=3
	v_bfrev_b32_e32 v26, 1
	s_mov_b32 s44, exec_lo
	v_cmpx_ne_u16_e32 0x80, v2
	s_cbranch_execz .LBB6_5437
; %bb.5432:                             ;   in Loop: Header=BB6_4246 Depth=3
	v_bfe_u32 v24, v17, 16, 7
	v_mov_b32_e32 v26, 0x7f800001
	s_mov_b32 s45, exec_lo
	s_delay_alu instid0(VALU_DEP_2)
	v_cmpx_ne_u32_e32 0x7f, v24
	s_cbranch_execz .LBB6_5436
; %bb.5433:                             ;   in Loop: Header=BB6_4246 Depth=3
	v_and_b32_e32 v2, 7, v0
	v_lshrrev_b32_e32 v0, 3, v24
	v_cmp_gt_u32_e32 vcc_lo, 8, v24
	s_delay_alu instid0(VALU_DEP_3)
	v_mov_b64_e32 v[24:25], v[2:3]
	s_and_saveexec_b32 s74, vcc_lo
; %bb.5434:                             ;   in Loop: Header=BB6_4246 Depth=3
	v_clz_i32_u32_e32 v0, v2
	s_delay_alu instid0(VALU_DEP_1) | instskip(NEXT) | instid1(VALU_DEP_1)
	v_min_u32_e32 v0, 32, v0
	v_subrev_nc_u32_e32 v24, 28, v0
	v_sub_nc_u32_e32 v0, 29, v0
	s_delay_alu instid0(VALU_DEP_2) | instskip(NEXT) | instid1(VALU_DEP_1)
	v_lshlrev_b64_e32 v[24:25], v24, v[2:3]
	v_and_b32_e32 v24, 7, v24
; %bb.5435:                             ;   in Loop: Header=BB6_4246 Depth=3
	s_or_b32 exec_lo, exec_lo, s74
	s_delay_alu instid0(VALU_DEP_1) | instskip(SKIP_1) | instid1(VALU_DEP_2)
	v_dual_lshlrev_b32 v2, 8, v17 :: v_dual_lshlrev_b32 v24, 20, v24
	v_lshl_add_u32 v0, v0, 23, 0x3c000000
	v_and_b32_e32 v2, 0x80000000, v2
	s_delay_alu instid0(VALU_DEP_1)
	v_or3_b32 v26, v24, v2, v0
.LBB6_5436:                             ;   in Loop: Header=BB6_4246 Depth=3
	s_or_b32 exec_lo, exec_lo, s45
.LBB6_5437:                             ;   in Loop: Header=BB6_4246 Depth=3
	s_delay_alu instid0(SALU_CYCLE_1)
	s_or_b32 exec_lo, exec_lo, s44
.LBB6_5438:                             ;   in Loop: Header=BB6_4246 Depth=3
	s_delay_alu instid0(SALU_CYCLE_1) | instskip(NEXT) | instid1(VALU_DEP_1)
	s_or_b32 exec_lo, exec_lo, s13
	v_add_f32_e32 v0, v27, v26
                                        ; implicit-def: $vgpr24
	s_mov_b32 s13, exec_lo
	s_delay_alu instid0(VALU_DEP_1) | instskip(SKIP_1) | instid1(VALU_DEP_2)
	v_and_b32_e32 v2, 0x7f800000, v0
	v_lshrrev_b32_e32 v25, 24, v0
	v_cmpx_ne_u64_e32 0x7f800000, v[2:3]
	s_xor_b32 s44, exec_lo, s13
	s_cbranch_execz .LBB6_5452
; %bb.5439:                             ;   in Loop: Header=BB6_4246 Depth=3
	v_and_b32_e32 v2, 0x7fffffff, v0
	v_and_b32_e32 v66, 0x80, v25
                                        ; implicit-def: $vgpr24
	s_mov_b32 s13, exec_lo
	s_delay_alu instid0(VALU_DEP_2)
	v_cmpx_gt_u64_e32 0x43e00001, v[2:3]
	s_xor_b32 s45, exec_lo, s13
	s_cbranch_execz .LBB6_5449
; %bb.5440:                             ;   in Loop: Header=BB6_4246 Depth=3
	v_mov_b32_e32 v24, 0
	s_mov_b32 s74, exec_lo
	v_cmpx_ne_u32_e32 0, v0
	s_cbranch_execz .LBB6_5448
; %bb.5441:                             ;   in Loop: Header=BB6_4246 Depth=3
	v_bfe_u32 v67, v0, 23, 8
	v_and_b32_e32 v2, 0x7fffff, v0
	s_delay_alu instid0(VALU_DEP_2) | instskip(SKIP_2) | instid1(VALU_DEP_4)
	v_cmp_gt_u32_e64 s13, 0x7a, v67
	v_sub_nc_u32_e32 v0, 0x79, v67
	v_cmp_eq_u32_e32 vcc_lo, 0, v67
	v_or_b32_e32 v24, 0x800000, v2
	s_delay_alu instid0(VALU_DEP_1) | instskip(NEXT) | instid1(VALU_DEP_1)
	v_dual_cndmask_b32 v0, 0, v0, s13 :: v_dual_cndmask_b32 v2, v24, v2, vcc_lo
	v_cndmask_b32_e64 v0, v0, 0x78, vcc_lo
	s_delay_alu instid0(VALU_DEP_1) | instskip(NEXT) | instid1(VALU_DEP_1)
	v_dual_add_nc_u32 v24, 20, v0 :: v_dual_add_nc_u32 v26, 19, v0
	v_lshlrev_b64_e64 v[24:25], v24, -1
	s_delay_alu instid0(VALU_DEP_2) | instskip(NEXT) | instid1(VALU_DEP_2)
	v_lshlrev_b64_e64 v[26:27], v26, 1
	v_bfi_b32 v25, v25, 0, 0
	s_delay_alu instid0(VALU_DEP_3) | instskip(NEXT) | instid1(VALU_DEP_1)
	v_bfi_b32 v24, v24, 0, v2
	v_cmp_eq_u64_e64 s13, v[24:25], v[26:27]
	v_lshrrev_b64 v[24:25], v0, v[2:3]
	s_delay_alu instid0(VALU_DEP_1)
	v_mov_b64_e32 v[26:27], v[24:25]
	s_and_saveexec_b32 s75, s13
; %bb.5442:                             ;   in Loop: Header=BB6_4246 Depth=3
	v_bfe_u32 v2, v24, 20, 1
	s_delay_alu instid0(VALU_DEP_1) | instskip(NEXT) | instid1(VALU_DEP_1)
	v_add_nc_u64_e32 v[26:27], v[24:25], v[2:3]
	v_add_nc_u64_e32 v[26:27], -1, v[26:27]
; %bb.5443:                             ;   in Loop: Header=BB6_4246 Depth=3
	s_or_b32 exec_lo, exec_lo, s75
	v_add_nc_u32_e32 v2, 0xffffff81, v67
	v_lshrrev_b32_e32 v25, 23, v24
	s_mov_b32 s13, exec_lo
	s_delay_alu instid0(VALU_DEP_2) | instskip(NEXT) | instid1(VALU_DEP_1)
	v_cndmask_b32_e64 v2, v2, 0xffffff82, vcc_lo
	v_add3_u32 v27, v0, v2, v25
	v_and_b32_e32 v0, 0xfffff, v26
	s_delay_alu instid0(VALU_DEP_1) | instskip(NEXT) | instid1(VALU_DEP_1)
	v_dual_add_nc_u32 v26, 6, v27 :: v_dual_add_nc_u32 v2, v0, v24
                                        ; implicit-def: $vgpr24_vgpr25
                                        ; implicit-def: $vgpr0
	v_cmpx_ne_u32_e32 0, v26
	s_xor_b32 s13, exec_lo, s13
; %bb.5444:                             ;   in Loop: Header=BB6_4246 Depth=3
	s_delay_alu instid0(VALU_DEP_2) | instskip(SKIP_2) | instid1(VALU_DEP_2)
	v_cmp_lt_u64_e32 vcc_lo, 0xffffff, v[2:3]
	v_add_nc_u32_e32 v0, 7, v27
	v_cndmask_b32_e64 v24, 0, 1, vcc_lo
	v_cndmask_b32_e32 v0, v26, v0, vcc_lo
	s_delay_alu instid0(VALU_DEP_2)
	v_lshrrev_b64 v[24:25], v24, v[2:3]
; %bb.5445:                             ;   in Loop: Header=BB6_4246 Depth=3
	s_and_not1_saveexec_b32 s13, s13
; %bb.5446:                             ;   in Loop: Header=BB6_4246 Depth=3
	v_mov_b64_e32 v[24:25], v[2:3]
	v_bfe_u32 v0, v2, 23, 1
; %bb.5447:                             ;   in Loop: Header=BB6_4246 Depth=3
	s_or_b32 exec_lo, exec_lo, s13
	s_delay_alu instid0(VALU_DEP_2) | instskip(NEXT) | instid1(VALU_DEP_2)
	v_lshrrev_b64 v[24:25], 20, v[24:25]
	v_cmp_gt_i32_e32 vcc_lo, 16, v0
	v_min_i32_e32 v2, 15, v0
	v_cmp_eq_u32_e64 s13, 0, v0
	s_delay_alu instid0(VALU_DEP_2) | instskip(SKIP_1) | instid1(VALU_DEP_2)
	v_dual_cndmask_b32 v25, 0, v25 :: v_dual_lshlrev_b32 v2, 3, v2
	v_cndmask_b32_e32 v24, 7, v24, vcc_lo
	v_and_b32_e32 v2, 0xf8, v2
	s_delay_alu instid0(VALU_DEP_2) | instskip(NEXT) | instid1(VALU_DEP_2)
	v_cmp_eq_u64_e32 vcc_lo, 0, v[24:25]
	v_and_or_b32 v0, v24, 7, v2
	s_and_b32 s13, s13, vcc_lo
	s_delay_alu instid0(VALU_DEP_1) | instid1(SALU_CYCLE_1)
	v_cndmask_b32_e64 v0, v0, 0, s13
	s_delay_alu instid0(VALU_DEP_1)
	v_or_b32_e32 v24, v0, v66
.LBB6_5448:                             ;   in Loop: Header=BB6_4246 Depth=3
	s_or_b32 exec_lo, exec_lo, s74
                                        ; implicit-def: $vgpr66
.LBB6_5449:                             ;   in Loop: Header=BB6_4246 Depth=3
	s_and_not1_saveexec_b32 s13, s45
; %bb.5450:                             ;   in Loop: Header=BB6_4246 Depth=3
	v_or_b32_e32 v24, 0x7e, v66
; %bb.5451:                             ;   in Loop: Header=BB6_4246 Depth=3
	s_or_b32 exec_lo, exec_lo, s13
                                        ; implicit-def: $vgpr25
.LBB6_5452:                             ;   in Loop: Header=BB6_4246 Depth=3
	s_and_not1_saveexec_b32 s13, s44
; %bb.5453:                             ;   in Loop: Header=BB6_4246 Depth=3
	v_or_b32_e32 v24, 0x7f, v25
; %bb.5454:                             ;   in Loop: Header=BB6_4246 Depth=3
	s_or_b32 exec_lo, exec_lo, s13
	v_cmp_lt_u64_e32 vcc_lo, s[22:23], v[20:21]
	v_dual_mov_b32 v25, 0 :: v_dual_mov_b32 v20, 0
	s_and_saveexec_b32 s13, vcc_lo
	s_cbranch_execz .LBB6_5462
; %bb.5455:                             ;   in Loop: Header=BB6_4246 Depth=3
	v_lshrrev_b32_e32 v0, 24, v21
	v_bfrev_b32_e32 v20, 1
	s_mov_b32 s44, exec_lo
	s_delay_alu instid0(VALU_DEP_2)
	v_cmpx_ne_u32_e32 0x80, v0
	s_cbranch_execz .LBB6_5461
; %bb.5456:                             ;   in Loop: Header=BB6_4246 Depth=3
	v_bfe_u32 v21, v21, 24, 7
	v_mov_b32_e32 v20, 0x7f800001
	s_mov_b32 s45, exec_lo
	s_delay_alu instid0(VALU_DEP_2)
	v_cmpx_ne_u32_e32 0x7f, v21
	s_cbranch_execz .LBB6_5460
; %bb.5457:                             ;   in Loop: Header=BB6_4246 Depth=3
	v_dual_lshrrev_b32 v26, 3, v21 :: v_dual_bitop2_b32 v2, 7, v0 bitop3:0x40
	v_cmp_gt_u32_e32 vcc_lo, 8, v21
	s_delay_alu instid0(VALU_DEP_2)
	v_mov_b64_e32 v[20:21], v[2:3]
	s_and_saveexec_b32 s74, vcc_lo
; %bb.5458:                             ;   in Loop: Header=BB6_4246 Depth=3
	v_clz_i32_u32_e32 v20, v2
	s_delay_alu instid0(VALU_DEP_1) | instskip(NEXT) | instid1(VALU_DEP_1)
	v_min_u32_e32 v26, 32, v20
	v_subrev_nc_u32_e32 v20, 28, v26
	s_delay_alu instid0(VALU_DEP_1) | instskip(NEXT) | instid1(VALU_DEP_1)
	v_lshlrev_b64_e32 v[20:21], v20, v[2:3]
	v_dual_sub_nc_u32 v26, 29, v26 :: v_dual_bitop2_b32 v20, 7, v20 bitop3:0x40
; %bb.5459:                             ;   in Loop: Header=BB6_4246 Depth=3
	s_or_b32 exec_lo, exec_lo, s74
	v_lshlrev_b32_e32 v0, 24, v0
	s_delay_alu instid0(VALU_DEP_2) | instskip(NEXT) | instid1(VALU_DEP_3)
	v_lshlrev_b32_e32 v2, 20, v20
	v_lshl_add_u32 v20, v26, 23, 0x3c000000
	s_delay_alu instid0(VALU_DEP_3) | instskip(NEXT) | instid1(VALU_DEP_1)
	v_and_b32_e32 v0, 0x80000000, v0
	v_or3_b32 v20, v2, v0, v20
.LBB6_5460:                             ;   in Loop: Header=BB6_4246 Depth=3
	s_or_b32 exec_lo, exec_lo, s45
.LBB6_5461:                             ;   in Loop: Header=BB6_4246 Depth=3
	s_delay_alu instid0(SALU_CYCLE_1)
	s_or_b32 exec_lo, exec_lo, s44
.LBB6_5462:                             ;   in Loop: Header=BB6_4246 Depth=3
	s_delay_alu instid0(SALU_CYCLE_1) | instskip(NEXT) | instid1(SALU_CYCLE_1)
	s_or_b32 exec_lo, exec_lo, s13
	s_mov_b32 s13, exec_lo
	v_cmpx_lt_u64_e64 s[22:23], v[16:17]
	s_cbranch_execz .LBB6_5470
; %bb.5463:                             ;   in Loop: Header=BB6_4246 Depth=3
	v_lshrrev_b32_e32 v0, 24, v17
	v_bfrev_b32_e32 v25, 1
	s_mov_b32 s44, exec_lo
	s_delay_alu instid0(VALU_DEP_2)
	v_cmpx_ne_u32_e32 0x80, v0
	s_cbranch_execz .LBB6_5469
; %bb.5464:                             ;   in Loop: Header=BB6_4246 Depth=3
	v_bfe_u32 v16, v17, 24, 7
	v_mov_b32_e32 v25, 0x7f800001
	s_mov_b32 s45, exec_lo
	s_delay_alu instid0(VALU_DEP_2)
	v_cmpx_ne_u32_e32 0x7f, v16
	s_cbranch_execz .LBB6_5468
; %bb.5465:                             ;   in Loop: Header=BB6_4246 Depth=3
	v_and_b32_e32 v2, 7, v0
	v_lshrrev_b32_e32 v21, 3, v16
	v_cmp_gt_u32_e32 vcc_lo, 8, v16
	s_delay_alu instid0(VALU_DEP_3)
	v_mov_b64_e32 v[16:17], v[2:3]
	s_and_saveexec_b32 s74, vcc_lo
; %bb.5466:                             ;   in Loop: Header=BB6_4246 Depth=3
	v_clz_i32_u32_e32 v16, v2
	s_delay_alu instid0(VALU_DEP_1) | instskip(NEXT) | instid1(VALU_DEP_1)
	v_min_u32_e32 v21, 32, v16
	v_subrev_nc_u32_e32 v16, 28, v21
	s_delay_alu instid0(VALU_DEP_1) | instskip(NEXT) | instid1(VALU_DEP_1)
	v_lshlrev_b64_e32 v[16:17], v16, v[2:3]
	v_dual_sub_nc_u32 v21, 29, v21 :: v_dual_bitop2_b32 v16, 7, v16 bitop3:0x40
; %bb.5467:                             ;   in Loop: Header=BB6_4246 Depth=3
	s_or_b32 exec_lo, exec_lo, s74
	v_lshlrev_b32_e32 v0, 24, v0
	s_delay_alu instid0(VALU_DEP_2) | instskip(NEXT) | instid1(VALU_DEP_3)
	v_lshlrev_b32_e32 v2, 20, v16
	v_lshl_add_u32 v16, v21, 23, 0x3c000000
	s_delay_alu instid0(VALU_DEP_3) | instskip(NEXT) | instid1(VALU_DEP_1)
	v_and_b32_e32 v0, 0x80000000, v0
	v_or3_b32 v25, v2, v0, v16
.LBB6_5468:                             ;   in Loop: Header=BB6_4246 Depth=3
	s_or_b32 exec_lo, exec_lo, s45
.LBB6_5469:                             ;   in Loop: Header=BB6_4246 Depth=3
	s_delay_alu instid0(SALU_CYCLE_1)
	s_or_b32 exec_lo, exec_lo, s44
.LBB6_5470:                             ;   in Loop: Header=BB6_4246 Depth=3
	s_delay_alu instid0(SALU_CYCLE_1) | instskip(NEXT) | instid1(VALU_DEP_1)
	s_or_b32 exec_lo, exec_lo, s13
	v_add_f32_e32 v0, v20, v25
                                        ; implicit-def: $vgpr25
	s_mov_b32 s13, exec_lo
	s_delay_alu instid0(VALU_DEP_1) | instskip(SKIP_1) | instid1(VALU_DEP_2)
	v_and_b32_e32 v2, 0x7f800000, v0
	v_lshrrev_b32_e32 v16, 24, v0
	v_cmpx_ne_u64_e32 0x7f800000, v[2:3]
	s_xor_b32 s44, exec_lo, s13
	s_cbranch_execz .LBB6_5484
; %bb.5471:                             ;   in Loop: Header=BB6_4246 Depth=3
	v_and_b32_e32 v2, 0x7fffffff, v0
	v_and_b32_e32 v26, 0x80, v16
                                        ; implicit-def: $vgpr25
	s_mov_b32 s13, exec_lo
	s_delay_alu instid0(VALU_DEP_2)
	v_cmpx_gt_u64_e32 0x43e00001, v[2:3]
	s_xor_b32 s45, exec_lo, s13
	s_cbranch_execz .LBB6_5481
; %bb.5472:                             ;   in Loop: Header=BB6_4246 Depth=3
	v_mov_b32_e32 v25, 0
	s_mov_b32 s74, exec_lo
	v_cmpx_ne_u32_e32 0, v0
	s_cbranch_execz .LBB6_5480
; %bb.5473:                             ;   in Loop: Header=BB6_4246 Depth=3
	v_bfe_u32 v25, v0, 23, 8
	v_and_b32_e32 v2, 0x7fffff, v0
	s_delay_alu instid0(VALU_DEP_2) | instskip(SKIP_2) | instid1(VALU_DEP_4)
	v_cmp_gt_u32_e64 s13, 0x7a, v25
	v_sub_nc_u32_e32 v0, 0x79, v25
	v_cmp_eq_u32_e32 vcc_lo, 0, v25
	v_or_b32_e32 v16, 0x800000, v2
	s_delay_alu instid0(VALU_DEP_1) | instskip(NEXT) | instid1(VALU_DEP_1)
	v_dual_cndmask_b32 v0, 0, v0, s13 :: v_dual_cndmask_b32 v2, v16, v2, vcc_lo
	v_cndmask_b32_e64 v0, v0, 0x78, vcc_lo
	s_delay_alu instid0(VALU_DEP_1) | instskip(NEXT) | instid1(VALU_DEP_1)
	v_dual_add_nc_u32 v16, 20, v0 :: v_dual_add_nc_u32 v20, 19, v0
	v_lshlrev_b64_e64 v[16:17], v16, -1
	s_delay_alu instid0(VALU_DEP_2) | instskip(NEXT) | instid1(VALU_DEP_2)
	v_lshlrev_b64_e64 v[20:21], v20, 1
	v_bfi_b32 v17, v17, 0, 0
	s_delay_alu instid0(VALU_DEP_3) | instskip(NEXT) | instid1(VALU_DEP_1)
	v_bfi_b32 v16, v16, 0, v2
	v_cmp_eq_u64_e64 s13, v[16:17], v[20:21]
	v_lshrrev_b64 v[16:17], v0, v[2:3]
	s_delay_alu instid0(VALU_DEP_1)
	v_mov_b64_e32 v[20:21], v[16:17]
	s_and_saveexec_b32 s75, s13
; %bb.5474:                             ;   in Loop: Header=BB6_4246 Depth=3
	v_bfe_u32 v2, v16, 20, 1
	s_delay_alu instid0(VALU_DEP_1) | instskip(NEXT) | instid1(VALU_DEP_1)
	v_add_nc_u64_e32 v[20:21], v[16:17], v[2:3]
	v_add_nc_u64_e32 v[20:21], -1, v[20:21]
; %bb.5475:                             ;   in Loop: Header=BB6_4246 Depth=3
	s_or_b32 exec_lo, exec_lo, s75
	v_add_nc_u32_e32 v2, 0xffffff81, v25
	v_lshrrev_b32_e32 v17, 23, v16
	s_mov_b32 s13, exec_lo
	s_delay_alu instid0(VALU_DEP_2) | instskip(NEXT) | instid1(VALU_DEP_1)
	v_cndmask_b32_e64 v2, v2, 0xffffff82, vcc_lo
	v_add3_u32 v21, v0, v2, v17
	v_and_b32_e32 v0, 0xfffff, v20
	s_delay_alu instid0(VALU_DEP_1) | instskip(NEXT) | instid1(VALU_DEP_1)
	v_dual_add_nc_u32 v20, 6, v21 :: v_dual_add_nc_u32 v2, v0, v16
                                        ; implicit-def: $vgpr16_vgpr17
                                        ; implicit-def: $vgpr0
	v_cmpx_ne_u32_e32 0, v20
	s_xor_b32 s13, exec_lo, s13
; %bb.5476:                             ;   in Loop: Header=BB6_4246 Depth=3
	s_delay_alu instid0(VALU_DEP_2) | instskip(SKIP_2) | instid1(VALU_DEP_2)
	v_cmp_lt_u64_e32 vcc_lo, 0xffffff, v[2:3]
	v_add_nc_u32_e32 v0, 7, v21
	v_cndmask_b32_e64 v16, 0, 1, vcc_lo
	v_cndmask_b32_e32 v0, v20, v0, vcc_lo
	s_delay_alu instid0(VALU_DEP_2)
	v_lshrrev_b64 v[16:17], v16, v[2:3]
; %bb.5477:                             ;   in Loop: Header=BB6_4246 Depth=3
	s_and_not1_saveexec_b32 s13, s13
; %bb.5478:                             ;   in Loop: Header=BB6_4246 Depth=3
	v_mov_b64_e32 v[16:17], v[2:3]
	v_bfe_u32 v0, v2, 23, 1
; %bb.5479:                             ;   in Loop: Header=BB6_4246 Depth=3
	s_or_b32 exec_lo, exec_lo, s13
	s_delay_alu instid0(VALU_DEP_2) | instskip(NEXT) | instid1(VALU_DEP_2)
	v_lshrrev_b64 v[16:17], 20, v[16:17]
	v_cmp_gt_i32_e32 vcc_lo, 16, v0
	v_min_i32_e32 v2, 15, v0
	v_cmp_eq_u32_e64 s13, 0, v0
	s_delay_alu instid0(VALU_DEP_2) | instskip(SKIP_1) | instid1(VALU_DEP_2)
	v_dual_cndmask_b32 v17, 0, v17 :: v_dual_lshlrev_b32 v2, 3, v2
	v_cndmask_b32_e32 v16, 7, v16, vcc_lo
	v_and_b32_e32 v2, 0xf8, v2
	s_delay_alu instid0(VALU_DEP_2) | instskip(NEXT) | instid1(VALU_DEP_2)
	v_cmp_eq_u64_e32 vcc_lo, 0, v[16:17]
	v_and_or_b32 v0, v16, 7, v2
	s_and_b32 s13, s13, vcc_lo
	s_delay_alu instid0(VALU_DEP_1) | instid1(SALU_CYCLE_1)
	v_cndmask_b32_e64 v0, v0, 0, s13
	s_delay_alu instid0(VALU_DEP_1)
	v_or_b32_e32 v25, v0, v26
.LBB6_5480:                             ;   in Loop: Header=BB6_4246 Depth=3
	s_or_b32 exec_lo, exec_lo, s74
                                        ; implicit-def: $vgpr26
.LBB6_5481:                             ;   in Loop: Header=BB6_4246 Depth=3
	s_and_not1_saveexec_b32 s13, s45
; %bb.5482:                             ;   in Loop: Header=BB6_4246 Depth=3
	v_or_b32_e32 v25, 0x7e, v26
; %bb.5483:                             ;   in Loop: Header=BB6_4246 Depth=3
	s_or_b32 exec_lo, exec_lo, s13
                                        ; implicit-def: $vgpr16
.LBB6_5484:                             ;   in Loop: Header=BB6_4246 Depth=3
	s_and_not1_saveexec_b32 s13, s44
; %bb.5485:                             ;   in Loop: Header=BB6_4246 Depth=3
	v_or_b32_e32 v25, 0x7f, v16
; %bb.5486:                             ;   in Loop: Header=BB6_4246 Depth=3
	s_or_b32 exec_lo, exec_lo, s13
	v_and_b32_e32 v0, 0xff, v22
	v_dual_mov_b32 v2, 0 :: v_dual_mov_b32 v16, 0
	s_mov_b32 s13, exec_lo
	s_delay_alu instid0(VALU_DEP_2)
	v_cmpx_ne_u16_e32 0, v0
	s_cbranch_execz .LBB6_5492
; %bb.5487:                             ;   in Loop: Header=BB6_4246 Depth=3
	v_bfrev_b32_e32 v16, 1
	s_mov_b32 s44, exec_lo
	v_cmpx_ne_u16_e32 0x80, v0
	s_cbranch_execz .LBB6_5491
; %bb.5488:                             ;   in Loop: Header=BB6_4246 Depth=3
	v_and_b32_e32 v0, 0x7f, v22
	v_mov_b32_e32 v16, 0x7f800001
	s_mov_b32 s45, exec_lo
	s_delay_alu instid0(VALU_DEP_2)
	v_cmpx_ne_u32_e32 0x7f, v0
	s_cbranch_execz .LBB6_5490
; %bb.5489:                             ;   in Loop: Header=BB6_4246 Depth=3
	v_dual_lshrrev_b32 v17, 3, v0 :: v_dual_bitop2_b32 v16, 7, v22 bitop3:0x40
	v_cmp_gt_u32_e32 vcc_lo, 8, v0
	s_delay_alu instid0(VALU_DEP_2) | instskip(NEXT) | instid1(VALU_DEP_1)
	v_clz_i32_u32_e32 v0, v16
	v_min_u32_e32 v0, 32, v0
	s_delay_alu instid0(VALU_DEP_1) | instskip(SKIP_1) | instid1(VALU_DEP_2)
	v_subrev_nc_u32_e32 v16, 28, v0
	v_sub_nc_u32_e32 v0, 29, v0
	v_cndmask_b32_e32 v16, 0, v16, vcc_lo
	s_delay_alu instid0(VALU_DEP_2) | instskip(NEXT) | instid1(VALU_DEP_2)
	v_cndmask_b32_e32 v0, v17, v0, vcc_lo
	v_lshlrev_b64_e32 v[16:17], v16, v[22:23]
	v_lshlrev_b32_e32 v17, 24, v22
	s_delay_alu instid0(VALU_DEP_3) | instskip(NEXT) | instid1(VALU_DEP_2)
	v_lshl_add_u32 v0, v0, 23, 0x3c000000
	v_and_b32_e32 v17, 0x80000000, v17
	s_delay_alu instid0(VALU_DEP_4) | instskip(NEXT) | instid1(VALU_DEP_1)
	v_lshlrev_b32_e32 v16, 20, v16
	v_and_b32_e32 v16, 0x700000, v16
	s_delay_alu instid0(VALU_DEP_1)
	v_or3_b32 v16, v16, v17, v0
.LBB6_5490:                             ;   in Loop: Header=BB6_4246 Depth=3
	s_or_b32 exec_lo, exec_lo, s45
.LBB6_5491:                             ;   in Loop: Header=BB6_4246 Depth=3
	s_delay_alu instid0(SALU_CYCLE_1)
	s_or_b32 exec_lo, exec_lo, s44
.LBB6_5492:                             ;   in Loop: Header=BB6_4246 Depth=3
	s_delay_alu instid0(SALU_CYCLE_1) | instskip(SKIP_2) | instid1(VALU_DEP_1)
	s_or_b32 exec_lo, exec_lo, s13
	v_and_b32_e32 v0, 0xff, v18
	s_mov_b32 s13, exec_lo
	v_cmpx_ne_u16_e32 0, v0
	s_cbranch_execz .LBB6_5498
; %bb.5493:                             ;   in Loop: Header=BB6_4246 Depth=3
	v_bfrev_b32_e32 v2, 1
	s_mov_b32 s44, exec_lo
	v_cmpx_ne_u16_e32 0x80, v0
	s_cbranch_execz .LBB6_5497
; %bb.5494:                             ;   in Loop: Header=BB6_4246 Depth=3
	v_and_b32_e32 v0, 0x7f, v18
	v_mov_b32_e32 v2, 0x7f800001
	s_mov_b32 s45, exec_lo
	s_delay_alu instid0(VALU_DEP_2)
	v_cmpx_ne_u32_e32 0x7f, v0
	s_cbranch_execz .LBB6_5496
; %bb.5495:                             ;   in Loop: Header=BB6_4246 Depth=3
	v_dual_lshrrev_b32 v17, 3, v0 :: v_dual_bitop2_b32 v2, 7, v18 bitop3:0x40
	v_cmp_gt_u32_e32 vcc_lo, 8, v0
	s_delay_alu instid0(VALU_DEP_2) | instskip(NEXT) | instid1(VALU_DEP_1)
	v_clz_i32_u32_e32 v0, v2
	v_min_u32_e32 v0, 32, v0
	s_delay_alu instid0(VALU_DEP_1) | instskip(NEXT) | instid1(VALU_DEP_1)
	v_subrev_nc_u32_e32 v2, 28, v0
	v_dual_sub_nc_u32 v0, 29, v0 :: v_dual_cndmask_b32 v2, 0, v2, vcc_lo
	s_delay_alu instid0(VALU_DEP_1) | instskip(NEXT) | instid1(VALU_DEP_2)
	v_dual_cndmask_b32 v0, v17, v0 :: v_dual_lshlrev_b32 v17, 24, v18
	v_lshlrev_b64_e32 v[20:21], v2, v[18:19]
	s_delay_alu instid0(VALU_DEP_2) | instskip(NEXT) | instid1(VALU_DEP_3)
	v_lshl_add_u32 v0, v0, 23, 0x3c000000
	v_and_b32_e32 v17, 0x80000000, v17
	s_delay_alu instid0(VALU_DEP_3) | instskip(NEXT) | instid1(VALU_DEP_1)
	v_lshlrev_b32_e32 v2, 20, v20
	v_and_b32_e32 v2, 0x700000, v2
	s_delay_alu instid0(VALU_DEP_1)
	v_or3_b32 v2, v2, v17, v0
.LBB6_5496:                             ;   in Loop: Header=BB6_4246 Depth=3
	s_or_b32 exec_lo, exec_lo, s45
.LBB6_5497:                             ;   in Loop: Header=BB6_4246 Depth=3
	s_delay_alu instid0(SALU_CYCLE_1)
	s_or_b32 exec_lo, exec_lo, s44
.LBB6_5498:                             ;   in Loop: Header=BB6_4246 Depth=3
	s_delay_alu instid0(SALU_CYCLE_1) | instskip(NEXT) | instid1(VALU_DEP_1)
	s_or_b32 exec_lo, exec_lo, s13
	v_add_f32_e32 v0, v16, v2
                                        ; implicit-def: $vgpr26
	s_mov_b32 s13, exec_lo
	s_delay_alu instid0(VALU_DEP_1) | instskip(SKIP_1) | instid1(VALU_DEP_2)
	v_and_b32_e32 v2, 0x7f800000, v0
	v_lshrrev_b32_e32 v16, 24, v0
	v_cmpx_ne_u64_e32 0x7f800000, v[2:3]
	s_xor_b32 s44, exec_lo, s13
	s_cbranch_execz .LBB6_5512
; %bb.5499:                             ;   in Loop: Header=BB6_4246 Depth=3
	v_and_b32_e32 v2, 0x7fffffff, v0
	v_and_b32_e32 v27, 0x80, v16
                                        ; implicit-def: $vgpr26
	s_mov_b32 s13, exec_lo
	s_delay_alu instid0(VALU_DEP_2)
	v_cmpx_gt_u64_e32 0x43e00001, v[2:3]
	s_xor_b32 s45, exec_lo, s13
	s_cbranch_execz .LBB6_5509
; %bb.5500:                             ;   in Loop: Header=BB6_4246 Depth=3
	v_mov_b32_e32 v26, 0
	s_mov_b32 s74, exec_lo
	v_cmpx_ne_u32_e32 0, v0
	s_cbranch_execz .LBB6_5508
; %bb.5501:                             ;   in Loop: Header=BB6_4246 Depth=3
	v_bfe_u32 v26, v0, 23, 8
	v_and_b32_e32 v2, 0x7fffff, v0
	s_delay_alu instid0(VALU_DEP_2) | instskip(SKIP_2) | instid1(VALU_DEP_4)
	v_cmp_gt_u32_e64 s13, 0x7a, v26
	v_sub_nc_u32_e32 v0, 0x79, v26
	v_cmp_eq_u32_e32 vcc_lo, 0, v26
	v_or_b32_e32 v16, 0x800000, v2
	s_delay_alu instid0(VALU_DEP_1) | instskip(NEXT) | instid1(VALU_DEP_1)
	v_dual_cndmask_b32 v0, 0, v0, s13 :: v_dual_cndmask_b32 v2, v16, v2, vcc_lo
	v_cndmask_b32_e64 v0, v0, 0x78, vcc_lo
	s_delay_alu instid0(VALU_DEP_1) | instskip(NEXT) | instid1(VALU_DEP_1)
	v_dual_add_nc_u32 v16, 20, v0 :: v_dual_add_nc_u32 v20, 19, v0
	v_lshlrev_b64_e64 v[16:17], v16, -1
	s_delay_alu instid0(VALU_DEP_2) | instskip(NEXT) | instid1(VALU_DEP_2)
	v_lshlrev_b64_e64 v[20:21], v20, 1
	v_bfi_b32 v17, v17, 0, 0
	s_delay_alu instid0(VALU_DEP_3) | instskip(NEXT) | instid1(VALU_DEP_1)
	v_bfi_b32 v16, v16, 0, v2
	v_cmp_eq_u64_e64 s13, v[16:17], v[20:21]
	v_lshrrev_b64 v[16:17], v0, v[2:3]
	s_delay_alu instid0(VALU_DEP_1)
	v_mov_b64_e32 v[20:21], v[16:17]
	s_and_saveexec_b32 s75, s13
; %bb.5502:                             ;   in Loop: Header=BB6_4246 Depth=3
	v_bfe_u32 v2, v16, 20, 1
	s_delay_alu instid0(VALU_DEP_1) | instskip(NEXT) | instid1(VALU_DEP_1)
	v_add_nc_u64_e32 v[20:21], v[16:17], v[2:3]
	v_add_nc_u64_e32 v[20:21], -1, v[20:21]
; %bb.5503:                             ;   in Loop: Header=BB6_4246 Depth=3
	s_or_b32 exec_lo, exec_lo, s75
	v_add_nc_u32_e32 v2, 0xffffff81, v26
	v_lshrrev_b32_e32 v17, 23, v16
	s_mov_b32 s13, exec_lo
	s_delay_alu instid0(VALU_DEP_2) | instskip(NEXT) | instid1(VALU_DEP_1)
	v_cndmask_b32_e64 v2, v2, 0xffffff82, vcc_lo
	v_add3_u32 v21, v0, v2, v17
	v_and_b32_e32 v0, 0xfffff, v20
	s_delay_alu instid0(VALU_DEP_1) | instskip(NEXT) | instid1(VALU_DEP_1)
	v_dual_add_nc_u32 v20, 6, v21 :: v_dual_add_nc_u32 v2, v0, v16
                                        ; implicit-def: $vgpr16_vgpr17
                                        ; implicit-def: $vgpr0
	v_cmpx_ne_u32_e32 0, v20
	s_xor_b32 s13, exec_lo, s13
; %bb.5504:                             ;   in Loop: Header=BB6_4246 Depth=3
	s_delay_alu instid0(VALU_DEP_2) | instskip(SKIP_2) | instid1(VALU_DEP_2)
	v_cmp_lt_u64_e32 vcc_lo, 0xffffff, v[2:3]
	v_add_nc_u32_e32 v0, 7, v21
	v_cndmask_b32_e64 v16, 0, 1, vcc_lo
	v_cndmask_b32_e32 v0, v20, v0, vcc_lo
	s_delay_alu instid0(VALU_DEP_2)
	v_lshrrev_b64 v[16:17], v16, v[2:3]
; %bb.5505:                             ;   in Loop: Header=BB6_4246 Depth=3
	s_and_not1_saveexec_b32 s13, s13
; %bb.5506:                             ;   in Loop: Header=BB6_4246 Depth=3
	v_mov_b64_e32 v[16:17], v[2:3]
	v_bfe_u32 v0, v2, 23, 1
; %bb.5507:                             ;   in Loop: Header=BB6_4246 Depth=3
	s_or_b32 exec_lo, exec_lo, s13
	s_delay_alu instid0(VALU_DEP_2) | instskip(NEXT) | instid1(VALU_DEP_2)
	v_lshrrev_b64 v[16:17], 20, v[16:17]
	v_cmp_gt_i32_e32 vcc_lo, 16, v0
	v_min_i32_e32 v2, 15, v0
	v_cmp_eq_u32_e64 s13, 0, v0
	s_delay_alu instid0(VALU_DEP_2) | instskip(SKIP_1) | instid1(VALU_DEP_2)
	v_dual_cndmask_b32 v17, 0, v17 :: v_dual_lshlrev_b32 v2, 3, v2
	v_cndmask_b32_e32 v16, 7, v16, vcc_lo
	v_and_b32_e32 v2, 0xf8, v2
	s_delay_alu instid0(VALU_DEP_2) | instskip(NEXT) | instid1(VALU_DEP_2)
	v_cmp_eq_u64_e32 vcc_lo, 0, v[16:17]
	v_and_or_b32 v0, v16, 7, v2
	s_and_b32 s13, s13, vcc_lo
	s_delay_alu instid0(VALU_DEP_1) | instid1(SALU_CYCLE_1)
	v_cndmask_b32_e64 v0, v0, 0, s13
	s_delay_alu instid0(VALU_DEP_1)
	v_or_b32_e32 v26, v0, v27
.LBB6_5508:                             ;   in Loop: Header=BB6_4246 Depth=3
	s_or_b32 exec_lo, exec_lo, s74
                                        ; implicit-def: $vgpr27
.LBB6_5509:                             ;   in Loop: Header=BB6_4246 Depth=3
	s_and_not1_saveexec_b32 s13, s45
; %bb.5510:                             ;   in Loop: Header=BB6_4246 Depth=3
	v_or_b32_e32 v26, 0x7e, v27
; %bb.5511:                             ;   in Loop: Header=BB6_4246 Depth=3
	s_or_b32 exec_lo, exec_lo, s13
                                        ; implicit-def: $vgpr16
.LBB6_5512:                             ;   in Loop: Header=BB6_4246 Depth=3
	s_and_not1_saveexec_b32 s13, s44
; %bb.5513:                             ;   in Loop: Header=BB6_4246 Depth=3
	v_or_b32_e32 v26, 0x7f, v16
; %bb.5514:                             ;   in Loop: Header=BB6_4246 Depth=3
	s_or_b32 exec_lo, exec_lo, s13
	v_lshrrev_b16 v0, 8, v22
	v_dual_mov_b32 v20, 0 :: v_dual_mov_b32 v21, 0
	s_mov_b32 s13, exec_lo
	s_delay_alu instid0(VALU_DEP_2)
	v_cmpx_ne_u16_e32 0, v0
	s_cbranch_execz .LBB6_5522
; %bb.5515:                             ;   in Loop: Header=BB6_4246 Depth=3
	v_bfrev_b32_e32 v21, 1
	s_mov_b32 s44, exec_lo
	v_cmpx_ne_u16_e32 0x80, v0
	s_cbranch_execz .LBB6_5521
; %bb.5516:                             ;   in Loop: Header=BB6_4246 Depth=3
	v_and_b32_e32 v0, 0xffff, v0
	v_mov_b32_e32 v21, 0x7f800001
	s_mov_b32 s45, exec_lo
	s_delay_alu instid0(VALU_DEP_2) | instskip(NEXT) | instid1(VALU_DEP_1)
	v_and_b32_e32 v16, 0x7f, v0
	v_cmpx_ne_u32_e32 0x7f, v16
	s_cbranch_execz .LBB6_5520
; %bb.5517:                             ;   in Loop: Header=BB6_4246 Depth=3
	v_and_b32_e32 v2, 7, v0
	v_lshrrev_b32_e32 v0, 3, v16
	v_cmp_gt_u32_e32 vcc_lo, 8, v16
	s_delay_alu instid0(VALU_DEP_3)
	v_mov_b64_e32 v[16:17], v[2:3]
	s_and_saveexec_b32 s74, vcc_lo
; %bb.5518:                             ;   in Loop: Header=BB6_4246 Depth=3
	v_clz_i32_u32_e32 v0, v2
	s_delay_alu instid0(VALU_DEP_1) | instskip(NEXT) | instid1(VALU_DEP_1)
	v_min_u32_e32 v0, 32, v0
	v_subrev_nc_u32_e32 v16, 28, v0
	v_sub_nc_u32_e32 v0, 29, v0
	s_delay_alu instid0(VALU_DEP_2) | instskip(NEXT) | instid1(VALU_DEP_1)
	v_lshlrev_b64_e32 v[16:17], v16, v[2:3]
	v_and_b32_e32 v16, 7, v16
; %bb.5519:                             ;   in Loop: Header=BB6_4246 Depth=3
	s_or_b32 exec_lo, exec_lo, s74
	s_delay_alu instid0(VALU_DEP_1) | instskip(SKIP_1) | instid1(VALU_DEP_2)
	v_dual_lshlrev_b32 v2, 16, v22 :: v_dual_lshlrev_b32 v16, 20, v16
	v_lshl_add_u32 v0, v0, 23, 0x3c000000
	v_and_b32_e32 v2, 0x80000000, v2
	s_delay_alu instid0(VALU_DEP_1)
	v_or3_b32 v21, v16, v2, v0
.LBB6_5520:                             ;   in Loop: Header=BB6_4246 Depth=3
	s_or_b32 exec_lo, exec_lo, s45
.LBB6_5521:                             ;   in Loop: Header=BB6_4246 Depth=3
	s_delay_alu instid0(SALU_CYCLE_1)
	s_or_b32 exec_lo, exec_lo, s44
.LBB6_5522:                             ;   in Loop: Header=BB6_4246 Depth=3
	s_delay_alu instid0(SALU_CYCLE_1) | instskip(SKIP_2) | instid1(VALU_DEP_1)
	s_or_b32 exec_lo, exec_lo, s13
	v_lshrrev_b16 v0, 8, v18
	s_mov_b32 s13, exec_lo
	v_cmpx_ne_u16_e32 0, v0
	s_cbranch_execz .LBB6_5530
; %bb.5523:                             ;   in Loop: Header=BB6_4246 Depth=3
	v_bfrev_b32_e32 v20, 1
	s_mov_b32 s44, exec_lo
	v_cmpx_ne_u16_e32 0x80, v0
	s_cbranch_execz .LBB6_5529
; %bb.5524:                             ;   in Loop: Header=BB6_4246 Depth=3
	v_and_b32_e32 v0, 0xffff, v0
	v_mov_b32_e32 v20, 0x7f800001
	s_mov_b32 s45, exec_lo
	s_delay_alu instid0(VALU_DEP_2) | instskip(NEXT) | instid1(VALU_DEP_1)
	v_and_b32_e32 v16, 0x7f, v0
	v_cmpx_ne_u32_e32 0x7f, v16
	s_cbranch_execz .LBB6_5528
; %bb.5525:                             ;   in Loop: Header=BB6_4246 Depth=3
	v_and_b32_e32 v2, 7, v0
	v_lshrrev_b32_e32 v0, 3, v16
	v_cmp_gt_u32_e32 vcc_lo, 8, v16
	s_delay_alu instid0(VALU_DEP_3)
	v_mov_b64_e32 v[16:17], v[2:3]
	s_and_saveexec_b32 s74, vcc_lo
; %bb.5526:                             ;   in Loop: Header=BB6_4246 Depth=3
	v_clz_i32_u32_e32 v0, v2
	s_delay_alu instid0(VALU_DEP_1) | instskip(NEXT) | instid1(VALU_DEP_1)
	v_min_u32_e32 v0, 32, v0
	v_subrev_nc_u32_e32 v16, 28, v0
	v_sub_nc_u32_e32 v0, 29, v0
	s_delay_alu instid0(VALU_DEP_2) | instskip(NEXT) | instid1(VALU_DEP_1)
	v_lshlrev_b64_e32 v[16:17], v16, v[2:3]
	v_and_b32_e32 v16, 7, v16
; %bb.5527:                             ;   in Loop: Header=BB6_4246 Depth=3
	s_or_b32 exec_lo, exec_lo, s74
	s_delay_alu instid0(VALU_DEP_1) | instskip(SKIP_1) | instid1(VALU_DEP_2)
	v_dual_lshlrev_b32 v2, 16, v18 :: v_dual_lshlrev_b32 v16, 20, v16
	v_lshl_add_u32 v0, v0, 23, 0x3c000000
	v_and_b32_e32 v2, 0x80000000, v2
	s_delay_alu instid0(VALU_DEP_1)
	v_or3_b32 v20, v16, v2, v0
.LBB6_5528:                             ;   in Loop: Header=BB6_4246 Depth=3
	s_or_b32 exec_lo, exec_lo, s45
.LBB6_5529:                             ;   in Loop: Header=BB6_4246 Depth=3
	s_delay_alu instid0(SALU_CYCLE_1)
	s_or_b32 exec_lo, exec_lo, s44
.LBB6_5530:                             ;   in Loop: Header=BB6_4246 Depth=3
	s_delay_alu instid0(SALU_CYCLE_1) | instskip(NEXT) | instid1(VALU_DEP_1)
	s_or_b32 exec_lo, exec_lo, s13
	v_add_f32_e32 v0, v21, v20
                                        ; implicit-def: $vgpr27
	s_mov_b32 s13, exec_lo
	s_delay_alu instid0(VALU_DEP_1) | instskip(SKIP_1) | instid1(VALU_DEP_2)
	v_and_b32_e32 v2, 0x7f800000, v0
	v_lshrrev_b32_e32 v16, 24, v0
	v_cmpx_ne_u64_e32 0x7f800000, v[2:3]
	s_xor_b32 s44, exec_lo, s13
	s_cbranch_execz .LBB6_5544
; %bb.5531:                             ;   in Loop: Header=BB6_4246 Depth=3
	v_and_b32_e32 v2, 0x7fffffff, v0
	v_and_b32_e32 v66, 0x80, v16
                                        ; implicit-def: $vgpr27
	s_mov_b32 s13, exec_lo
	s_delay_alu instid0(VALU_DEP_2)
	v_cmpx_gt_u64_e32 0x43e00001, v[2:3]
	s_xor_b32 s45, exec_lo, s13
	s_cbranch_execz .LBB6_5541
; %bb.5532:                             ;   in Loop: Header=BB6_4246 Depth=3
	v_mov_b32_e32 v27, 0
	s_mov_b32 s74, exec_lo
	v_cmpx_ne_u32_e32 0, v0
	s_cbranch_execz .LBB6_5540
; %bb.5533:                             ;   in Loop: Header=BB6_4246 Depth=3
	v_bfe_u32 v27, v0, 23, 8
	v_and_b32_e32 v2, 0x7fffff, v0
	s_delay_alu instid0(VALU_DEP_2) | instskip(SKIP_2) | instid1(VALU_DEP_4)
	v_cmp_gt_u32_e64 s13, 0x7a, v27
	v_sub_nc_u32_e32 v0, 0x79, v27
	v_cmp_eq_u32_e32 vcc_lo, 0, v27
	v_or_b32_e32 v16, 0x800000, v2
	s_delay_alu instid0(VALU_DEP_1) | instskip(NEXT) | instid1(VALU_DEP_1)
	v_dual_cndmask_b32 v0, 0, v0, s13 :: v_dual_cndmask_b32 v2, v16, v2, vcc_lo
	v_cndmask_b32_e64 v0, v0, 0x78, vcc_lo
	s_delay_alu instid0(VALU_DEP_1) | instskip(NEXT) | instid1(VALU_DEP_1)
	v_dual_add_nc_u32 v16, 20, v0 :: v_dual_add_nc_u32 v20, 19, v0
	v_lshlrev_b64_e64 v[16:17], v16, -1
	s_delay_alu instid0(VALU_DEP_2) | instskip(NEXT) | instid1(VALU_DEP_2)
	v_lshlrev_b64_e64 v[20:21], v20, 1
	v_bfi_b32 v17, v17, 0, 0
	s_delay_alu instid0(VALU_DEP_3) | instskip(NEXT) | instid1(VALU_DEP_1)
	v_bfi_b32 v16, v16, 0, v2
	v_cmp_eq_u64_e64 s13, v[16:17], v[20:21]
	v_lshrrev_b64 v[16:17], v0, v[2:3]
	s_delay_alu instid0(VALU_DEP_1)
	v_mov_b64_e32 v[20:21], v[16:17]
	s_and_saveexec_b32 s75, s13
; %bb.5534:                             ;   in Loop: Header=BB6_4246 Depth=3
	v_bfe_u32 v2, v16, 20, 1
	s_delay_alu instid0(VALU_DEP_1) | instskip(NEXT) | instid1(VALU_DEP_1)
	v_add_nc_u64_e32 v[20:21], v[16:17], v[2:3]
	v_add_nc_u64_e32 v[20:21], -1, v[20:21]
; %bb.5535:                             ;   in Loop: Header=BB6_4246 Depth=3
	s_or_b32 exec_lo, exec_lo, s75
	v_add_nc_u32_e32 v2, 0xffffff81, v27
	v_lshrrev_b32_e32 v17, 23, v16
	s_mov_b32 s13, exec_lo
	s_delay_alu instid0(VALU_DEP_2) | instskip(NEXT) | instid1(VALU_DEP_1)
	v_cndmask_b32_e64 v2, v2, 0xffffff82, vcc_lo
	v_add3_u32 v21, v0, v2, v17
	v_and_b32_e32 v0, 0xfffff, v20
	s_delay_alu instid0(VALU_DEP_1) | instskip(NEXT) | instid1(VALU_DEP_1)
	v_dual_add_nc_u32 v20, 6, v21 :: v_dual_add_nc_u32 v2, v0, v16
                                        ; implicit-def: $vgpr16_vgpr17
                                        ; implicit-def: $vgpr0
	v_cmpx_ne_u32_e32 0, v20
	s_xor_b32 s13, exec_lo, s13
; %bb.5536:                             ;   in Loop: Header=BB6_4246 Depth=3
	s_delay_alu instid0(VALU_DEP_2) | instskip(SKIP_2) | instid1(VALU_DEP_2)
	v_cmp_lt_u64_e32 vcc_lo, 0xffffff, v[2:3]
	v_add_nc_u32_e32 v0, 7, v21
	v_cndmask_b32_e64 v16, 0, 1, vcc_lo
	v_cndmask_b32_e32 v0, v20, v0, vcc_lo
	s_delay_alu instid0(VALU_DEP_2)
	v_lshrrev_b64 v[16:17], v16, v[2:3]
; %bb.5537:                             ;   in Loop: Header=BB6_4246 Depth=3
	s_and_not1_saveexec_b32 s13, s13
; %bb.5538:                             ;   in Loop: Header=BB6_4246 Depth=3
	v_mov_b64_e32 v[16:17], v[2:3]
	v_bfe_u32 v0, v2, 23, 1
; %bb.5539:                             ;   in Loop: Header=BB6_4246 Depth=3
	s_or_b32 exec_lo, exec_lo, s13
	s_delay_alu instid0(VALU_DEP_2) | instskip(NEXT) | instid1(VALU_DEP_2)
	v_lshrrev_b64 v[16:17], 20, v[16:17]
	v_cmp_gt_i32_e32 vcc_lo, 16, v0
	v_min_i32_e32 v2, 15, v0
	v_cmp_eq_u32_e64 s13, 0, v0
	s_delay_alu instid0(VALU_DEP_2) | instskip(SKIP_1) | instid1(VALU_DEP_2)
	v_dual_cndmask_b32 v17, 0, v17 :: v_dual_lshlrev_b32 v2, 3, v2
	v_cndmask_b32_e32 v16, 7, v16, vcc_lo
	v_and_b32_e32 v2, 0xf8, v2
	s_delay_alu instid0(VALU_DEP_2) | instskip(NEXT) | instid1(VALU_DEP_2)
	v_cmp_eq_u64_e32 vcc_lo, 0, v[16:17]
	v_and_or_b32 v0, v16, 7, v2
	s_and_b32 s13, s13, vcc_lo
	s_delay_alu instid0(VALU_DEP_1) | instid1(SALU_CYCLE_1)
	v_cndmask_b32_e64 v0, v0, 0, s13
	s_delay_alu instid0(VALU_DEP_1)
	v_or_b32_e32 v27, v0, v66
.LBB6_5540:                             ;   in Loop: Header=BB6_4246 Depth=3
	s_or_b32 exec_lo, exec_lo, s74
                                        ; implicit-def: $vgpr66
.LBB6_5541:                             ;   in Loop: Header=BB6_4246 Depth=3
	s_and_not1_saveexec_b32 s13, s45
; %bb.5542:                             ;   in Loop: Header=BB6_4246 Depth=3
	v_or_b32_e32 v27, 0x7e, v66
; %bb.5543:                             ;   in Loop: Header=BB6_4246 Depth=3
	s_or_b32 exec_lo, exec_lo, s13
                                        ; implicit-def: $vgpr16
.LBB6_5544:                             ;   in Loop: Header=BB6_4246 Depth=3
	s_and_not1_saveexec_b32 s13, s44
; %bb.5545:                             ;   in Loop: Header=BB6_4246 Depth=3
	v_or_b32_e32 v27, 0x7f, v16
; %bb.5546:                             ;   in Loop: Header=BB6_4246 Depth=3
	s_or_b32 exec_lo, exec_lo, s13
	v_dual_lshrrev_b32 v0, 16, v22 :: v_dual_mov_b32 v20, 0
	v_mov_b32_e32 v21, 0
	s_mov_b32 s13, exec_lo
	s_delay_alu instid0(VALU_DEP_2) | instskip(NEXT) | instid1(VALU_DEP_1)
	v_and_b32_e32 v2, 0xff, v0
	v_cmpx_ne_u16_e32 0, v2
	s_cbranch_execz .LBB6_5554
; %bb.5547:                             ;   in Loop: Header=BB6_4246 Depth=3
	v_bfrev_b32_e32 v21, 1
	s_mov_b32 s44, exec_lo
	v_cmpx_ne_u16_e32 0x80, v2
	s_cbranch_execz .LBB6_5553
; %bb.5548:                             ;   in Loop: Header=BB6_4246 Depth=3
	v_bfe_u32 v16, v22, 16, 7
	v_mov_b32_e32 v21, 0x7f800001
	s_mov_b32 s45, exec_lo
	s_delay_alu instid0(VALU_DEP_2)
	v_cmpx_ne_u32_e32 0x7f, v16
	s_cbranch_execz .LBB6_5552
; %bb.5549:                             ;   in Loop: Header=BB6_4246 Depth=3
	v_and_b32_e32 v2, 7, v0
	v_lshrrev_b32_e32 v21, 3, v16
	v_cmp_gt_u32_e32 vcc_lo, 8, v16
	s_delay_alu instid0(VALU_DEP_3)
	v_mov_b64_e32 v[16:17], v[2:3]
	s_and_saveexec_b32 s74, vcc_lo
; %bb.5550:                             ;   in Loop: Header=BB6_4246 Depth=3
	v_clz_i32_u32_e32 v16, v2
	s_delay_alu instid0(VALU_DEP_1) | instskip(NEXT) | instid1(VALU_DEP_1)
	v_min_u32_e32 v21, 32, v16
	v_subrev_nc_u32_e32 v16, 28, v21
	s_delay_alu instid0(VALU_DEP_1) | instskip(NEXT) | instid1(VALU_DEP_1)
	v_lshlrev_b64_e32 v[16:17], v16, v[2:3]
	v_dual_sub_nc_u32 v21, 29, v21 :: v_dual_bitop2_b32 v16, 7, v16 bitop3:0x40
; %bb.5551:                             ;   in Loop: Header=BB6_4246 Depth=3
	s_or_b32 exec_lo, exec_lo, s74
	v_lshlrev_b32_e32 v0, 24, v0
	s_delay_alu instid0(VALU_DEP_2) | instskip(NEXT) | instid1(VALU_DEP_3)
	v_lshlrev_b32_e32 v2, 20, v16
	v_lshl_add_u32 v16, v21, 23, 0x3c000000
	s_delay_alu instid0(VALU_DEP_3) | instskip(NEXT) | instid1(VALU_DEP_1)
	v_and_b32_e32 v0, 0x80000000, v0
	v_or3_b32 v21, v2, v0, v16
.LBB6_5552:                             ;   in Loop: Header=BB6_4246 Depth=3
	s_or_b32 exec_lo, exec_lo, s45
.LBB6_5553:                             ;   in Loop: Header=BB6_4246 Depth=3
	s_delay_alu instid0(SALU_CYCLE_1)
	s_or_b32 exec_lo, exec_lo, s44
.LBB6_5554:                             ;   in Loop: Header=BB6_4246 Depth=3
	s_delay_alu instid0(SALU_CYCLE_1) | instskip(SKIP_2) | instid1(VALU_DEP_1)
	s_or_b32 exec_lo, exec_lo, s13
	v_lshrrev_b32_e32 v0, 16, v18
	s_mov_b32 s13, exec_lo
	v_and_b32_e32 v2, 0xff, v0
	s_delay_alu instid0(VALU_DEP_1)
	v_cmpx_ne_u16_e32 0, v2
	s_cbranch_execz .LBB6_5562
; %bb.5555:                             ;   in Loop: Header=BB6_4246 Depth=3
	v_bfrev_b32_e32 v20, 1
	s_mov_b32 s44, exec_lo
	v_cmpx_ne_u16_e32 0x80, v2
	s_cbranch_execz .LBB6_5561
; %bb.5556:                             ;   in Loop: Header=BB6_4246 Depth=3
	v_bfe_u32 v16, v18, 16, 7
	v_mov_b32_e32 v20, 0x7f800001
	s_mov_b32 s45, exec_lo
	s_delay_alu instid0(VALU_DEP_2)
	v_cmpx_ne_u32_e32 0x7f, v16
	s_cbranch_execz .LBB6_5560
; %bb.5557:                             ;   in Loop: Header=BB6_4246 Depth=3
	v_and_b32_e32 v2, 7, v0
	v_lshrrev_b32_e32 v0, 3, v16
	v_cmp_gt_u32_e32 vcc_lo, 8, v16
	s_delay_alu instid0(VALU_DEP_3)
	v_mov_b64_e32 v[16:17], v[2:3]
	s_and_saveexec_b32 s74, vcc_lo
; %bb.5558:                             ;   in Loop: Header=BB6_4246 Depth=3
	v_clz_i32_u32_e32 v0, v2
	s_delay_alu instid0(VALU_DEP_1) | instskip(NEXT) | instid1(VALU_DEP_1)
	v_min_u32_e32 v0, 32, v0
	v_subrev_nc_u32_e32 v16, 28, v0
	v_sub_nc_u32_e32 v0, 29, v0
	s_delay_alu instid0(VALU_DEP_2) | instskip(NEXT) | instid1(VALU_DEP_1)
	v_lshlrev_b64_e32 v[16:17], v16, v[2:3]
	v_and_b32_e32 v16, 7, v16
; %bb.5559:                             ;   in Loop: Header=BB6_4246 Depth=3
	s_or_b32 exec_lo, exec_lo, s74
	s_delay_alu instid0(VALU_DEP_1) | instskip(SKIP_1) | instid1(VALU_DEP_2)
	v_dual_lshlrev_b32 v2, 8, v18 :: v_dual_lshlrev_b32 v16, 20, v16
	v_lshl_add_u32 v0, v0, 23, 0x3c000000
	v_and_b32_e32 v2, 0x80000000, v2
	s_delay_alu instid0(VALU_DEP_1)
	v_or3_b32 v20, v16, v2, v0
.LBB6_5560:                             ;   in Loop: Header=BB6_4246 Depth=3
	s_or_b32 exec_lo, exec_lo, s45
.LBB6_5561:                             ;   in Loop: Header=BB6_4246 Depth=3
	s_delay_alu instid0(SALU_CYCLE_1)
	s_or_b32 exec_lo, exec_lo, s44
.LBB6_5562:                             ;   in Loop: Header=BB6_4246 Depth=3
	s_delay_alu instid0(SALU_CYCLE_1) | instskip(NEXT) | instid1(VALU_DEP_1)
	s_or_b32 exec_lo, exec_lo, s13
	v_add_f32_e32 v0, v21, v20
                                        ; implicit-def: $vgpr59
	s_mov_b32 s13, exec_lo
	s_delay_alu instid0(VALU_DEP_1) | instskip(SKIP_1) | instid1(VALU_DEP_2)
	v_and_b32_e32 v2, 0x7f800000, v0
	v_lshrrev_b32_e32 v16, 24, v0
	v_cmpx_ne_u64_e32 0x7f800000, v[2:3]
	s_xor_b32 s44, exec_lo, s13
	s_cbranch_execz .LBB6_5576
; %bb.5563:                             ;   in Loop: Header=BB6_4246 Depth=3
	v_and_b32_e32 v2, 0x7fffffff, v0
	v_and_b32_e32 v66, 0x80, v16
                                        ; implicit-def: $vgpr59
	s_mov_b32 s13, exec_lo
	s_delay_alu instid0(VALU_DEP_2)
	v_cmpx_gt_u64_e32 0x43e00001, v[2:3]
	s_xor_b32 s45, exec_lo, s13
	s_cbranch_execz .LBB6_5573
; %bb.5564:                             ;   in Loop: Header=BB6_4246 Depth=3
	v_mov_b32_e32 v59, 0
	s_mov_b32 s74, exec_lo
	v_cmpx_ne_u32_e32 0, v0
	s_cbranch_execz .LBB6_5572
; %bb.5565:                             ;   in Loop: Header=BB6_4246 Depth=3
	v_bfe_u32 v67, v0, 23, 8
	v_and_b32_e32 v2, 0x7fffff, v0
	s_delay_alu instid0(VALU_DEP_2) | instskip(SKIP_2) | instid1(VALU_DEP_4)
	v_cmp_gt_u32_e64 s13, 0x7a, v67
	v_sub_nc_u32_e32 v0, 0x79, v67
	v_cmp_eq_u32_e32 vcc_lo, 0, v67
	v_or_b32_e32 v16, 0x800000, v2
	s_delay_alu instid0(VALU_DEP_1) | instskip(NEXT) | instid1(VALU_DEP_1)
	v_dual_cndmask_b32 v0, 0, v0, s13 :: v_dual_cndmask_b32 v2, v16, v2, vcc_lo
	v_cndmask_b32_e64 v0, v0, 0x78, vcc_lo
	s_delay_alu instid0(VALU_DEP_1) | instskip(NEXT) | instid1(VALU_DEP_1)
	v_dual_add_nc_u32 v16, 20, v0 :: v_dual_add_nc_u32 v20, 19, v0
	v_lshlrev_b64_e64 v[16:17], v16, -1
	s_delay_alu instid0(VALU_DEP_2) | instskip(NEXT) | instid1(VALU_DEP_2)
	v_lshlrev_b64_e64 v[20:21], v20, 1
	v_bfi_b32 v17, v17, 0, 0
	s_delay_alu instid0(VALU_DEP_3) | instskip(NEXT) | instid1(VALU_DEP_1)
	v_bfi_b32 v16, v16, 0, v2
	v_cmp_eq_u64_e64 s13, v[16:17], v[20:21]
	v_lshrrev_b64 v[16:17], v0, v[2:3]
	s_delay_alu instid0(VALU_DEP_1)
	v_mov_b64_e32 v[20:21], v[16:17]
	s_and_saveexec_b32 s75, s13
; %bb.5566:                             ;   in Loop: Header=BB6_4246 Depth=3
	v_bfe_u32 v2, v16, 20, 1
	s_delay_alu instid0(VALU_DEP_1) | instskip(NEXT) | instid1(VALU_DEP_1)
	v_add_nc_u64_e32 v[20:21], v[16:17], v[2:3]
	v_add_nc_u64_e32 v[20:21], -1, v[20:21]
; %bb.5567:                             ;   in Loop: Header=BB6_4246 Depth=3
	s_or_b32 exec_lo, exec_lo, s75
	v_add_nc_u32_e32 v2, 0xffffff81, v67
	v_lshrrev_b32_e32 v17, 23, v16
	s_mov_b32 s13, exec_lo
	s_delay_alu instid0(VALU_DEP_2) | instskip(NEXT) | instid1(VALU_DEP_1)
	v_cndmask_b32_e64 v2, v2, 0xffffff82, vcc_lo
	v_add3_u32 v21, v0, v2, v17
	v_and_b32_e32 v0, 0xfffff, v20
	s_delay_alu instid0(VALU_DEP_1) | instskip(NEXT) | instid1(VALU_DEP_1)
	v_dual_add_nc_u32 v20, 6, v21 :: v_dual_add_nc_u32 v2, v0, v16
                                        ; implicit-def: $vgpr16_vgpr17
                                        ; implicit-def: $vgpr0
	v_cmpx_ne_u32_e32 0, v20
	s_xor_b32 s13, exec_lo, s13
; %bb.5568:                             ;   in Loop: Header=BB6_4246 Depth=3
	s_delay_alu instid0(VALU_DEP_2) | instskip(SKIP_2) | instid1(VALU_DEP_2)
	v_cmp_lt_u64_e32 vcc_lo, 0xffffff, v[2:3]
	v_add_nc_u32_e32 v0, 7, v21
	v_cndmask_b32_e64 v16, 0, 1, vcc_lo
	v_cndmask_b32_e32 v0, v20, v0, vcc_lo
	s_delay_alu instid0(VALU_DEP_2)
	v_lshrrev_b64 v[16:17], v16, v[2:3]
; %bb.5569:                             ;   in Loop: Header=BB6_4246 Depth=3
	s_and_not1_saveexec_b32 s13, s13
; %bb.5570:                             ;   in Loop: Header=BB6_4246 Depth=3
	v_mov_b64_e32 v[16:17], v[2:3]
	v_bfe_u32 v0, v2, 23, 1
; %bb.5571:                             ;   in Loop: Header=BB6_4246 Depth=3
	s_or_b32 exec_lo, exec_lo, s13
	s_delay_alu instid0(VALU_DEP_2) | instskip(NEXT) | instid1(VALU_DEP_2)
	v_lshrrev_b64 v[16:17], 20, v[16:17]
	v_cmp_gt_i32_e32 vcc_lo, 16, v0
	v_min_i32_e32 v2, 15, v0
	v_cmp_eq_u32_e64 s13, 0, v0
	s_delay_alu instid0(VALU_DEP_2) | instskip(SKIP_1) | instid1(VALU_DEP_2)
	v_dual_cndmask_b32 v17, 0, v17 :: v_dual_lshlrev_b32 v2, 3, v2
	v_cndmask_b32_e32 v16, 7, v16, vcc_lo
	v_and_b32_e32 v2, 0xf8, v2
	s_delay_alu instid0(VALU_DEP_2) | instskip(NEXT) | instid1(VALU_DEP_2)
	v_cmp_eq_u64_e32 vcc_lo, 0, v[16:17]
	v_and_or_b32 v0, v16, 7, v2
	s_and_b32 s13, s13, vcc_lo
	s_delay_alu instid0(VALU_DEP_1) | instid1(SALU_CYCLE_1)
	v_cndmask_b32_e64 v0, v0, 0, s13
	s_delay_alu instid0(VALU_DEP_1)
	v_or_b32_e32 v59, v0, v66
.LBB6_5572:                             ;   in Loop: Header=BB6_4246 Depth=3
	s_or_b32 exec_lo, exec_lo, s74
                                        ; implicit-def: $vgpr66
.LBB6_5573:                             ;   in Loop: Header=BB6_4246 Depth=3
	s_and_not1_saveexec_b32 s13, s45
; %bb.5574:                             ;   in Loop: Header=BB6_4246 Depth=3
	v_or_b32_e32 v59, 0x7e, v66
; %bb.5575:                             ;   in Loop: Header=BB6_4246 Depth=3
	s_or_b32 exec_lo, exec_lo, s13
                                        ; implicit-def: $vgpr16
.LBB6_5576:                             ;   in Loop: Header=BB6_4246 Depth=3
	s_and_not1_saveexec_b32 s13, s44
; %bb.5577:                             ;   in Loop: Header=BB6_4246 Depth=3
	v_or_b32_e32 v59, 0x7f, v16
; %bb.5578:                             ;   in Loop: Header=BB6_4246 Depth=3
	s_or_b32 exec_lo, exec_lo, s13
	v_dual_mov_b32 v20, 0 :: v_dual_mov_b32 v21, 0
	s_mov_b32 s13, exec_lo
	v_cmpx_lt_u32_e32 0xffffff, v22
	s_cbranch_execz .LBB6_5586
; %bb.5579:                             ;   in Loop: Header=BB6_4246 Depth=3
	v_lshrrev_b32_e32 v0, 24, v22
	v_bfrev_b32_e32 v21, 1
	s_mov_b32 s44, exec_lo
	s_delay_alu instid0(VALU_DEP_2)
	v_cmpx_ne_u32_e32 0x80, v0
	s_cbranch_execz .LBB6_5585
; %bb.5580:                             ;   in Loop: Header=BB6_4246 Depth=3
	v_bfe_u32 v16, v22, 24, 7
	v_mov_b32_e32 v21, 0x7f800001
	s_mov_b32 s45, exec_lo
	s_delay_alu instid0(VALU_DEP_2)
	v_cmpx_ne_u32_e32 0x7f, v16
	s_cbranch_execz .LBB6_5584
; %bb.5581:                             ;   in Loop: Header=BB6_4246 Depth=3
	v_and_b32_e32 v2, 7, v0
	v_lshrrev_b32_e32 v21, 3, v16
	v_cmp_gt_u32_e32 vcc_lo, 8, v16
	s_delay_alu instid0(VALU_DEP_3)
	v_mov_b64_e32 v[16:17], v[2:3]
	s_and_saveexec_b32 s74, vcc_lo
; %bb.5582:                             ;   in Loop: Header=BB6_4246 Depth=3
	v_clz_i32_u32_e32 v16, v2
	s_delay_alu instid0(VALU_DEP_1) | instskip(NEXT) | instid1(VALU_DEP_1)
	v_min_u32_e32 v21, 32, v16
	v_subrev_nc_u32_e32 v16, 28, v21
	s_delay_alu instid0(VALU_DEP_1) | instskip(NEXT) | instid1(VALU_DEP_1)
	v_lshlrev_b64_e32 v[16:17], v16, v[2:3]
	v_dual_sub_nc_u32 v21, 29, v21 :: v_dual_bitop2_b32 v16, 7, v16 bitop3:0x40
; %bb.5583:                             ;   in Loop: Header=BB6_4246 Depth=3
	s_or_b32 exec_lo, exec_lo, s74
	v_lshlrev_b32_e32 v0, 24, v0
	s_delay_alu instid0(VALU_DEP_2) | instskip(NEXT) | instid1(VALU_DEP_3)
	v_lshlrev_b32_e32 v2, 20, v16
	v_lshl_add_u32 v16, v21, 23, 0x3c000000
	s_delay_alu instid0(VALU_DEP_3) | instskip(NEXT) | instid1(VALU_DEP_1)
	v_and_b32_e32 v0, 0x80000000, v0
	v_or3_b32 v21, v2, v0, v16
.LBB6_5584:                             ;   in Loop: Header=BB6_4246 Depth=3
	s_or_b32 exec_lo, exec_lo, s45
.LBB6_5585:                             ;   in Loop: Header=BB6_4246 Depth=3
	s_delay_alu instid0(SALU_CYCLE_1)
	s_or_b32 exec_lo, exec_lo, s44
.LBB6_5586:                             ;   in Loop: Header=BB6_4246 Depth=3
	s_delay_alu instid0(SALU_CYCLE_1) | instskip(NEXT) | instid1(SALU_CYCLE_1)
	s_or_b32 exec_lo, exec_lo, s13
	s_mov_b32 s13, exec_lo
	v_cmpx_lt_u32_e32 0xffffff, v18
	s_cbranch_execz .LBB6_5594
; %bb.5587:                             ;   in Loop: Header=BB6_4246 Depth=3
	v_lshrrev_b32_e32 v0, 24, v18
	v_bfrev_b32_e32 v20, 1
	s_mov_b32 s44, exec_lo
	s_delay_alu instid0(VALU_DEP_2)
	v_cmpx_ne_u32_e32 0x80, v0
	s_cbranch_execz .LBB6_5593
; %bb.5588:                             ;   in Loop: Header=BB6_4246 Depth=3
	v_bfe_u32 v16, v18, 24, 7
	v_mov_b32_e32 v20, 0x7f800001
	s_mov_b32 s45, exec_lo
	s_delay_alu instid0(VALU_DEP_2)
	v_cmpx_ne_u32_e32 0x7f, v16
	s_cbranch_execz .LBB6_5592
; %bb.5589:                             ;   in Loop: Header=BB6_4246 Depth=3
	v_and_b32_e32 v2, 7, v0
	v_lshrrev_b32_e32 v20, 3, v16
	v_cmp_gt_u32_e32 vcc_lo, 8, v16
	s_delay_alu instid0(VALU_DEP_3)
	v_mov_b64_e32 v[16:17], v[2:3]
	s_and_saveexec_b32 s74, vcc_lo
; %bb.5590:                             ;   in Loop: Header=BB6_4246 Depth=3
	v_clz_i32_u32_e32 v16, v2
	s_delay_alu instid0(VALU_DEP_1) | instskip(NEXT) | instid1(VALU_DEP_1)
	v_min_u32_e32 v20, 32, v16
	v_subrev_nc_u32_e32 v16, 28, v20
	v_sub_nc_u32_e32 v20, 29, v20
	s_delay_alu instid0(VALU_DEP_2) | instskip(NEXT) | instid1(VALU_DEP_1)
	v_lshlrev_b64_e32 v[16:17], v16, v[2:3]
	v_and_b32_e32 v16, 7, v16
; %bb.5591:                             ;   in Loop: Header=BB6_4246 Depth=3
	s_or_b32 exec_lo, exec_lo, s74
	v_lshlrev_b32_e32 v0, 24, v0
	s_delay_alu instid0(VALU_DEP_2) | instskip(SKIP_1) | instid1(VALU_DEP_3)
	v_lshlrev_b32_e32 v2, 20, v16
	v_lshl_add_u32 v16, v20, 23, 0x3c000000
	v_and_b32_e32 v0, 0x80000000, v0
	s_delay_alu instid0(VALU_DEP_1)
	v_or3_b32 v20, v2, v0, v16
.LBB6_5592:                             ;   in Loop: Header=BB6_4246 Depth=3
	s_or_b32 exec_lo, exec_lo, s45
.LBB6_5593:                             ;   in Loop: Header=BB6_4246 Depth=3
	s_delay_alu instid0(SALU_CYCLE_1)
	s_or_b32 exec_lo, exec_lo, s44
.LBB6_5594:                             ;   in Loop: Header=BB6_4246 Depth=3
	s_delay_alu instid0(SALU_CYCLE_1) | instskip(NEXT) | instid1(VALU_DEP_1)
	s_or_b32 exec_lo, exec_lo, s13
	v_add_f32_e32 v0, v21, v20
                                        ; implicit-def: $vgpr72
	s_mov_b32 s13, exec_lo
	s_delay_alu instid0(VALU_DEP_1) | instskip(SKIP_1) | instid1(VALU_DEP_2)
	v_and_b32_e32 v2, 0x7f800000, v0
	v_lshrrev_b32_e32 v16, 24, v0
	v_cmpx_ne_u64_e32 0x7f800000, v[2:3]
	s_xor_b32 s44, exec_lo, s13
	s_cbranch_execz .LBB6_5608
; %bb.5595:                             ;   in Loop: Header=BB6_4246 Depth=3
	v_and_b32_e32 v2, 0x7fffffff, v0
	v_and_b32_e32 v66, 0x80, v16
                                        ; implicit-def: $vgpr72
	s_mov_b32 s13, exec_lo
	s_delay_alu instid0(VALU_DEP_2)
	v_cmpx_gt_u64_e32 0x43e00001, v[2:3]
	s_xor_b32 s45, exec_lo, s13
	s_cbranch_execz .LBB6_5605
; %bb.5596:                             ;   in Loop: Header=BB6_4246 Depth=3
	v_mov_b32_e32 v72, 0
	s_mov_b32 s74, exec_lo
	v_cmpx_ne_u32_e32 0, v0
	s_cbranch_execz .LBB6_5604
; %bb.5597:                             ;   in Loop: Header=BB6_4246 Depth=3
	v_bfe_u32 v67, v0, 23, 8
	v_and_b32_e32 v2, 0x7fffff, v0
	s_delay_alu instid0(VALU_DEP_2) | instskip(SKIP_2) | instid1(VALU_DEP_4)
	v_cmp_gt_u32_e64 s13, 0x7a, v67
	v_sub_nc_u32_e32 v0, 0x79, v67
	v_cmp_eq_u32_e32 vcc_lo, 0, v67
	v_or_b32_e32 v16, 0x800000, v2
	s_delay_alu instid0(VALU_DEP_1) | instskip(NEXT) | instid1(VALU_DEP_1)
	v_dual_cndmask_b32 v0, 0, v0, s13 :: v_dual_cndmask_b32 v2, v16, v2, vcc_lo
	v_cndmask_b32_e64 v0, v0, 0x78, vcc_lo
	s_delay_alu instid0(VALU_DEP_1) | instskip(NEXT) | instid1(VALU_DEP_1)
	v_dual_add_nc_u32 v16, 20, v0 :: v_dual_add_nc_u32 v20, 19, v0
	v_lshlrev_b64_e64 v[16:17], v16, -1
	s_delay_alu instid0(VALU_DEP_2) | instskip(NEXT) | instid1(VALU_DEP_2)
	v_lshlrev_b64_e64 v[20:21], v20, 1
	v_bfi_b32 v17, v17, 0, 0
	s_delay_alu instid0(VALU_DEP_3) | instskip(NEXT) | instid1(VALU_DEP_1)
	v_bfi_b32 v16, v16, 0, v2
	v_cmp_eq_u64_e64 s13, v[16:17], v[20:21]
	v_lshrrev_b64 v[16:17], v0, v[2:3]
	s_delay_alu instid0(VALU_DEP_1)
	v_mov_b64_e32 v[20:21], v[16:17]
	s_and_saveexec_b32 s75, s13
; %bb.5598:                             ;   in Loop: Header=BB6_4246 Depth=3
	v_bfe_u32 v2, v16, 20, 1
	s_delay_alu instid0(VALU_DEP_1) | instskip(NEXT) | instid1(VALU_DEP_1)
	v_add_nc_u64_e32 v[20:21], v[16:17], v[2:3]
	v_add_nc_u64_e32 v[20:21], -1, v[20:21]
; %bb.5599:                             ;   in Loop: Header=BB6_4246 Depth=3
	s_or_b32 exec_lo, exec_lo, s75
	v_add_nc_u32_e32 v2, 0xffffff81, v67
	v_lshrrev_b32_e32 v17, 23, v16
	s_mov_b32 s13, exec_lo
	s_delay_alu instid0(VALU_DEP_2) | instskip(NEXT) | instid1(VALU_DEP_1)
	v_cndmask_b32_e64 v2, v2, 0xffffff82, vcc_lo
	v_add3_u32 v21, v0, v2, v17
	v_and_b32_e32 v0, 0xfffff, v20
	s_delay_alu instid0(VALU_DEP_1) | instskip(NEXT) | instid1(VALU_DEP_1)
	v_dual_add_nc_u32 v20, 6, v21 :: v_dual_add_nc_u32 v2, v0, v16
                                        ; implicit-def: $vgpr16_vgpr17
                                        ; implicit-def: $vgpr0
	v_cmpx_ne_u32_e32 0, v20
	s_xor_b32 s13, exec_lo, s13
; %bb.5600:                             ;   in Loop: Header=BB6_4246 Depth=3
	s_delay_alu instid0(VALU_DEP_2) | instskip(SKIP_2) | instid1(VALU_DEP_2)
	v_cmp_lt_u64_e32 vcc_lo, 0xffffff, v[2:3]
	v_add_nc_u32_e32 v0, 7, v21
	v_cndmask_b32_e64 v16, 0, 1, vcc_lo
	v_cndmask_b32_e32 v0, v20, v0, vcc_lo
	s_delay_alu instid0(VALU_DEP_2)
	v_lshrrev_b64 v[16:17], v16, v[2:3]
; %bb.5601:                             ;   in Loop: Header=BB6_4246 Depth=3
	s_and_not1_saveexec_b32 s13, s13
; %bb.5602:                             ;   in Loop: Header=BB6_4246 Depth=3
	v_mov_b64_e32 v[16:17], v[2:3]
	v_bfe_u32 v0, v2, 23, 1
; %bb.5603:                             ;   in Loop: Header=BB6_4246 Depth=3
	s_or_b32 exec_lo, exec_lo, s13
	s_delay_alu instid0(VALU_DEP_2) | instskip(NEXT) | instid1(VALU_DEP_2)
	v_lshrrev_b64 v[16:17], 20, v[16:17]
	v_cmp_gt_i32_e32 vcc_lo, 16, v0
	v_min_i32_e32 v2, 15, v0
	v_cmp_eq_u32_e64 s13, 0, v0
	s_delay_alu instid0(VALU_DEP_2) | instskip(SKIP_1) | instid1(VALU_DEP_2)
	v_dual_cndmask_b32 v17, 0, v17 :: v_dual_lshlrev_b32 v2, 3, v2
	v_cndmask_b32_e32 v16, 7, v16, vcc_lo
	v_and_b32_e32 v2, 0xf8, v2
	s_delay_alu instid0(VALU_DEP_2) | instskip(NEXT) | instid1(VALU_DEP_2)
	v_cmp_eq_u64_e32 vcc_lo, 0, v[16:17]
	v_and_or_b32 v0, v16, 7, v2
	s_and_b32 s13, s13, vcc_lo
	s_delay_alu instid0(VALU_DEP_1) | instid1(SALU_CYCLE_1)
	v_cndmask_b32_e64 v0, v0, 0, s13
	s_delay_alu instid0(VALU_DEP_1)
	v_or_b32_e32 v72, v0, v66
.LBB6_5604:                             ;   in Loop: Header=BB6_4246 Depth=3
	s_or_b32 exec_lo, exec_lo, s74
                                        ; implicit-def: $vgpr66
.LBB6_5605:                             ;   in Loop: Header=BB6_4246 Depth=3
	s_and_not1_saveexec_b32 s13, s45
; %bb.5606:                             ;   in Loop: Header=BB6_4246 Depth=3
	v_or_b32_e32 v72, 0x7e, v66
; %bb.5607:                             ;   in Loop: Header=BB6_4246 Depth=3
	s_or_b32 exec_lo, exec_lo, s13
                                        ; implicit-def: $vgpr16
.LBB6_5608:                             ;   in Loop: Header=BB6_4246 Depth=3
	s_and_not1_saveexec_b32 s13, s44
; %bb.5609:                             ;   in Loop: Header=BB6_4246 Depth=3
	v_or_b32_e32 v72, 0x7f, v16
; %bb.5610:                             ;   in Loop: Header=BB6_4246 Depth=3
	s_or_b32 exec_lo, exec_lo, s13
	v_and_b32_e32 v0, 0xff, v23
	v_dual_mov_b32 v2, v23 :: v_dual_mov_b32 v16, 0
	v_mov_b32_e32 v17, 0
	s_mov_b32 s13, exec_lo
	s_delay_alu instid0(VALU_DEP_3)
	v_cmpx_ne_u16_e32 0, v0
	s_cbranch_execz .LBB6_5616
; %bb.5611:                             ;   in Loop: Header=BB6_4246 Depth=3
	v_bfrev_b32_e32 v17, 1
	s_mov_b32 s44, exec_lo
	v_cmpx_ne_u16_e32 0x80, v0
	s_cbranch_execz .LBB6_5615
; %bb.5612:                             ;   in Loop: Header=BB6_4246 Depth=3
	v_and_b32_e32 v0, 0x7f, v23
	v_mov_b32_e32 v17, 0x7f800001
	s_mov_b32 s45, exec_lo
	s_delay_alu instid0(VALU_DEP_2)
	v_cmpx_ne_u32_e32 0x7f, v0
	s_cbranch_execz .LBB6_5614
; %bb.5613:                             ;   in Loop: Header=BB6_4246 Depth=3
	v_dual_lshrrev_b32 v20, 3, v0 :: v_dual_bitop2_b32 v17, 7, v23 bitop3:0x40
	v_cmp_gt_u32_e32 vcc_lo, 8, v0
	s_delay_alu instid0(VALU_DEP_2) | instskip(NEXT) | instid1(VALU_DEP_1)
	v_clz_i32_u32_e32 v0, v17
	v_min_u32_e32 v0, 32, v0
	s_delay_alu instid0(VALU_DEP_1) | instskip(NEXT) | instid1(VALU_DEP_1)
	v_subrev_nc_u32_e32 v17, 28, v0
	v_dual_cndmask_b32 v17, 0, v17 :: v_dual_sub_nc_u32 v0, 29, v0
	s_delay_alu instid0(VALU_DEP_1) | instskip(NEXT) | instid1(VALU_DEP_2)
	v_cndmask_b32_e32 v0, v20, v0, vcc_lo
	v_lshlrev_b64_e32 v[20:21], v17, v[2:3]
	s_delay_alu instid0(VALU_DEP_1) | instskip(NEXT) | instid1(VALU_DEP_3)
	v_dual_lshlrev_b32 v17, 20, v20 :: v_dual_lshlrev_b32 v20, 24, v2
	v_lshl_add_u32 v0, v0, 23, 0x3c000000
	s_delay_alu instid0(VALU_DEP_2) | instskip(NEXT) | instid1(VALU_DEP_3)
	v_and_b32_e32 v17, 0x700000, v17
	v_and_b32_e32 v20, 0x80000000, v20
	s_delay_alu instid0(VALU_DEP_1)
	v_or3_b32 v17, v17, v20, v0
.LBB6_5614:                             ;   in Loop: Header=BB6_4246 Depth=3
	s_or_b32 exec_lo, exec_lo, s45
.LBB6_5615:                             ;   in Loop: Header=BB6_4246 Depth=3
	s_delay_alu instid0(SALU_CYCLE_1)
	s_or_b32 exec_lo, exec_lo, s44
.LBB6_5616:                             ;   in Loop: Header=BB6_4246 Depth=3
	s_delay_alu instid0(SALU_CYCLE_1) | instskip(SKIP_2) | instid1(VALU_DEP_1)
	s_or_b32 exec_lo, exec_lo, s13
	v_and_b32_e32 v0, 0xff, v19
	s_mov_b32 s13, exec_lo
	v_cmpx_ne_u16_e32 0, v0
	s_cbranch_execz .LBB6_5622
; %bb.5617:                             ;   in Loop: Header=BB6_4246 Depth=3
	v_bfrev_b32_e32 v16, 1
	s_mov_b32 s44, exec_lo
	v_cmpx_ne_u16_e32 0x80, v0
	s_cbranch_execz .LBB6_5621
; %bb.5618:                             ;   in Loop: Header=BB6_4246 Depth=3
	v_and_b32_e32 v0, 0x7f, v19
	v_mov_b32_e32 v16, 0x7f800001
	s_mov_b32 s45, exec_lo
	s_delay_alu instid0(VALU_DEP_2)
	v_cmpx_ne_u32_e32 0x7f, v0
	s_cbranch_execz .LBB6_5620
; %bb.5619:                             ;   in Loop: Header=BB6_4246 Depth=3
	v_dual_lshrrev_b32 v52, 3, v0 :: v_dual_bitop2_b32 v16, 7, v19 bitop3:0x40
	v_cmp_gt_u32_e32 vcc_lo, 8, v0
	v_mov_b32_e32 v20, v19
	s_delay_alu instid0(VALU_DEP_3) | instskip(NEXT) | instid1(VALU_DEP_1)
	v_clz_i32_u32_e32 v16, v16
	v_min_u32_e32 v16, 32, v16
	s_delay_alu instid0(VALU_DEP_1) | instskip(SKIP_1) | instid1(VALU_DEP_1)
	v_subrev_nc_u32_e32 v0, 28, v16
	v_dual_mov_b32 v21, v3 :: v_dual_sub_nc_u32 v66, 29, v16
	v_dual_cndmask_b32 v0, 0, v0, vcc_lo :: v_dual_cndmask_b32 v16, v52, v66, vcc_lo
	s_delay_alu instid0(VALU_DEP_1) | instskip(SKIP_1) | instid1(VALU_DEP_3)
	v_lshlrev_b64_e32 v[66:67], v0, v[20:21]
	v_lshlrev_b32_e32 v0, 24, v20
	v_lshl_add_u32 v16, v16, 23, 0x3c000000
	s_delay_alu instid0(VALU_DEP_2) | instskip(NEXT) | instid1(VALU_DEP_4)
	v_and_b32_e32 v0, 0x80000000, v0
	v_lshlrev_b32_e32 v20, 20, v66
	s_delay_alu instid0(VALU_DEP_1) | instskip(NEXT) | instid1(VALU_DEP_1)
	v_and_b32_e32 v20, 0x700000, v20
	v_or3_b32 v16, v20, v0, v16
.LBB6_5620:                             ;   in Loop: Header=BB6_4246 Depth=3
	s_or_b32 exec_lo, exec_lo, s45
.LBB6_5621:                             ;   in Loop: Header=BB6_4246 Depth=3
	s_delay_alu instid0(SALU_CYCLE_1)
	s_or_b32 exec_lo, exec_lo, s44
.LBB6_5622:                             ;   in Loop: Header=BB6_4246 Depth=3
	s_delay_alu instid0(SALU_CYCLE_1) | instskip(NEXT) | instid1(VALU_DEP_1)
	s_or_b32 exec_lo, exec_lo, s13
	v_dual_add_f32 v0, v17, v16 :: v_dual_mov_b32 v17, v3
                                        ; implicit-def: $vgpr73
	s_delay_alu instid0(VALU_DEP_1) | instskip(NEXT) | instid1(VALU_DEP_1)
	v_and_b32_e32 v16, 0x7f800000, v0
	v_cmp_ne_u64_e32 vcc_lo, 0x7f800000, v[16:17]
	v_lshrrev_b32_e32 v16, 24, v0
	s_and_saveexec_b32 s13, vcc_lo
	s_delay_alu instid0(SALU_CYCLE_1)
	s_xor_b32 s44, exec_lo, s13
	s_cbranch_execz .LBB6_5636
; %bb.5623:                             ;   in Loop: Header=BB6_4246 Depth=3
	v_and_b32_e32 v20, 0x7fffffff, v0
	v_mov_b32_e32 v21, v3
	v_and_b32_e32 v66, 0x80, v16
                                        ; implicit-def: $vgpr73
	s_mov_b32 s13, exec_lo
	s_delay_alu instid0(VALU_DEP_2)
	v_cmpx_gt_u64_e32 0x43e00001, v[20:21]
	s_xor_b32 s45, exec_lo, s13
	s_cbranch_execz .LBB6_5633
; %bb.5624:                             ;   in Loop: Header=BB6_4246 Depth=3
	v_mov_b32_e32 v73, 0
	s_mov_b32 s74, exec_lo
	v_cmpx_ne_u32_e32 0, v0
	s_cbranch_execz .LBB6_5632
; %bb.5625:                             ;   in Loop: Header=BB6_4246 Depth=3
	v_and_b32_e32 v16, 0x7fffff, v0
	v_bfe_u32 v67, v0, 23, 8
	s_delay_alu instid0(VALU_DEP_2) | instskip(NEXT) | instid1(VALU_DEP_2)
	v_or_b32_e32 v17, 0x800000, v16
	v_cmp_eq_u32_e32 vcc_lo, 0, v67
	v_cmp_gt_u32_e64 s13, 0x7a, v67
	v_sub_nc_u32_e32 v0, 0x79, v67
	s_delay_alu instid0(VALU_DEP_4) | instskip(NEXT) | instid1(VALU_DEP_2)
	v_dual_cndmask_b32 v16, v17, v16 :: v_dual_mov_b32 v17, v3
	v_cndmask_b32_e64 v0, 0, v0, s13
	s_delay_alu instid0(VALU_DEP_1) | instskip(NEXT) | instid1(VALU_DEP_1)
	v_cndmask_b32_e64 v0, v0, 0x78, vcc_lo
	v_dual_add_nc_u32 v20, 20, v0 :: v_dual_add_nc_u32 v52, 19, v0
	s_delay_alu instid0(VALU_DEP_1) | instskip(NEXT) | instid1(VALU_DEP_2)
	v_lshlrev_b64_e64 v[20:21], v20, -1
	v_lshlrev_b64_e64 v[42:43], v52, 1
	s_delay_alu instid0(VALU_DEP_2) | instskip(SKIP_1) | instid1(VALU_DEP_4)
	v_bfi_b32 v20, v20, 0, v16
	v_lshrrev_b64 v[16:17], v0, v[16:17]
	v_bfi_b32 v21, v21, 0, 0
	s_delay_alu instid0(VALU_DEP_1) | instskip(NEXT) | instid1(VALU_DEP_3)
	v_cmp_eq_u64_e64 s13, v[20:21], v[42:43]
	v_mov_b64_e32 v[20:21], v[16:17]
	s_and_saveexec_b32 s75, s13
; %bb.5626:                             ;   in Loop: Header=BB6_4246 Depth=3
	v_bfe_u32 v20, v16, 20, 1
	v_mov_b32_e32 v21, v3
	s_delay_alu instid0(VALU_DEP_1) | instskip(NEXT) | instid1(VALU_DEP_1)
	v_add_nc_u64_e32 v[20:21], v[16:17], v[20:21]
	v_add_nc_u64_e32 v[20:21], -1, v[20:21]
; %bb.5627:                             ;   in Loop: Header=BB6_4246 Depth=3
	s_or_b32 exec_lo, exec_lo, s75
	v_add_nc_u32_e32 v17, 0xffffff81, v67
	v_lshrrev_b32_e32 v21, 23, v16
	s_mov_b32 s13, exec_lo
	s_delay_alu instid0(VALU_DEP_2) | instskip(NEXT) | instid1(VALU_DEP_1)
	v_cndmask_b32_e64 v17, v17, 0xffffff82, vcc_lo
	v_add3_u32 v21, v0, v17, v21
	v_and_b32_e32 v0, 0xfffff, v20
	s_delay_alu instid0(VALU_DEP_2) | instskip(NEXT) | instid1(VALU_DEP_2)
	v_dual_mov_b32 v17, v3 :: v_dual_add_nc_u32 v20, 6, v21
	v_add_nc_u32_e32 v16, v0, v16
                                        ; implicit-def: $vgpr0
	s_delay_alu instid0(VALU_DEP_2)
	v_cmpx_ne_u32_e32 0, v20
	s_xor_b32 s13, exec_lo, s13
; %bb.5628:                             ;   in Loop: Header=BB6_4246 Depth=3
	s_delay_alu instid0(VALU_DEP_2) | instskip(SKIP_1) | instid1(VALU_DEP_1)
	v_cmp_lt_u64_e32 vcc_lo, 0xffffff, v[16:17]
	v_add_nc_u32_e32 v0, 7, v21
	v_cndmask_b32_e32 v0, v20, v0, vcc_lo
	v_cndmask_b32_e64 v20, 0, 1, vcc_lo
	s_delay_alu instid0(VALU_DEP_1)
	v_lshrrev_b64 v[16:17], v20, v[16:17]
; %bb.5629:                             ;   in Loop: Header=BB6_4246 Depth=3
	s_and_not1_saveexec_b32 s13, s13
; %bb.5630:                             ;   in Loop: Header=BB6_4246 Depth=3
	s_delay_alu instid0(VALU_DEP_1)
	v_bfe_u32 v0, v16, 23, 1
; %bb.5631:                             ;   in Loop: Header=BB6_4246 Depth=3
	s_or_b32 exec_lo, exec_lo, s13
	s_delay_alu instid0(VALU_DEP_2) | instskip(NEXT) | instid1(VALU_DEP_2)
	v_lshrrev_b64 v[16:17], 20, v[16:17]
	v_cmp_gt_i32_e32 vcc_lo, 16, v0
	v_min_i32_e32 v20, 15, v0
	v_cmp_eq_u32_e64 s13, 0, v0
	s_delay_alu instid0(VALU_DEP_2) | instskip(SKIP_1) | instid1(VALU_DEP_2)
	v_dual_cndmask_b32 v17, 0, v17 :: v_dual_lshlrev_b32 v20, 3, v20
	v_cndmask_b32_e32 v16, 7, v16, vcc_lo
	v_and_b32_e32 v20, 0xf8, v20
	s_delay_alu instid0(VALU_DEP_2) | instskip(NEXT) | instid1(VALU_DEP_2)
	v_cmp_eq_u64_e32 vcc_lo, 0, v[16:17]
	v_and_or_b32 v0, v16, 7, v20
	s_and_b32 s13, s13, vcc_lo
	s_delay_alu instid0(VALU_DEP_1) | instid1(SALU_CYCLE_1)
	v_cndmask_b32_e64 v0, v0, 0, s13
	s_delay_alu instid0(VALU_DEP_1)
	v_or_b32_e32 v73, v0, v66
.LBB6_5632:                             ;   in Loop: Header=BB6_4246 Depth=3
	s_or_b32 exec_lo, exec_lo, s74
                                        ; implicit-def: $vgpr66
.LBB6_5633:                             ;   in Loop: Header=BB6_4246 Depth=3
	s_and_not1_saveexec_b32 s13, s45
; %bb.5634:                             ;   in Loop: Header=BB6_4246 Depth=3
	v_or_b32_e32 v73, 0x7e, v66
; %bb.5635:                             ;   in Loop: Header=BB6_4246 Depth=3
	s_or_b32 exec_lo, exec_lo, s13
                                        ; implicit-def: $vgpr16
.LBB6_5636:                             ;   in Loop: Header=BB6_4246 Depth=3
	s_and_not1_saveexec_b32 s13, s44
; %bb.5637:                             ;   in Loop: Header=BB6_4246 Depth=3
	v_or_b32_e32 v73, 0x7f, v16
; %bb.5638:                             ;   in Loop: Header=BB6_4246 Depth=3
	s_or_b32 exec_lo, exec_lo, s13
	v_lshrrev_b16 v0, 8, v2
	v_dual_mov_b32 v20, 0 :: v_dual_mov_b32 v21, 0
	s_mov_b32 s13, exec_lo
	s_delay_alu instid0(VALU_DEP_2)
	v_cmpx_ne_u16_e32 0, v0
	s_cbranch_execz .LBB6_5646
; %bb.5639:                             ;   in Loop: Header=BB6_4246 Depth=3
	v_bfrev_b32_e32 v21, 1
	s_mov_b32 s44, exec_lo
	v_cmpx_ne_u16_e32 0x80, v0
	s_cbranch_execz .LBB6_5645
; %bb.5640:                             ;   in Loop: Header=BB6_4246 Depth=3
	v_and_b32_e32 v0, 0xffff, v0
	v_mov_b32_e32 v21, 0x7f800001
	s_mov_b32 s45, exec_lo
	s_delay_alu instid0(VALU_DEP_2) | instskip(NEXT) | instid1(VALU_DEP_1)
	v_and_b32_e32 v52, 0x7f, v0
	v_cmpx_ne_u32_e32 0x7f, v52
	s_cbranch_execz .LBB6_5644
; %bb.5641:                             ;   in Loop: Header=BB6_4246 Depth=3
	v_dual_mov_b32 v17, v3 :: v_dual_bitop2_b32 v16, 7, v0 bitop3:0x40
	v_lshrrev_b32_e32 v0, 3, v52
	s_mov_b32 s74, exec_lo
	v_cmpx_gt_u32_e32 8, v52
; %bb.5642:                             ;   in Loop: Header=BB6_4246 Depth=3
	s_delay_alu instid0(VALU_DEP_3) | instskip(NEXT) | instid1(VALU_DEP_1)
	v_clz_i32_u32_e32 v0, v16
	v_min_u32_e32 v0, 32, v0
	s_delay_alu instid0(VALU_DEP_1) | instskip(SKIP_1) | instid1(VALU_DEP_2)
	v_subrev_nc_u32_e32 v21, 28, v0
	v_sub_nc_u32_e32 v0, 29, v0
	v_lshlrev_b64_e32 v[16:17], v21, v[16:17]
	s_delay_alu instid0(VALU_DEP_1)
	v_and_b32_e32 v16, 7, v16
; %bb.5643:                             ;   in Loop: Header=BB6_4246 Depth=3
	s_or_b32 exec_lo, exec_lo, s74
	s_delay_alu instid0(VALU_DEP_1) | instskip(SKIP_1) | instid1(VALU_DEP_2)
	v_dual_lshlrev_b32 v2, 16, v2 :: v_dual_lshlrev_b32 v16, 20, v16
	v_lshl_add_u32 v0, v0, 23, 0x3c000000
	v_and_b32_e32 v2, 0x80000000, v2
	s_delay_alu instid0(VALU_DEP_1)
	v_or3_b32 v21, v16, v2, v0
.LBB6_5644:                             ;   in Loop: Header=BB6_4246 Depth=3
	s_or_b32 exec_lo, exec_lo, s45
.LBB6_5645:                             ;   in Loop: Header=BB6_4246 Depth=3
	s_delay_alu instid0(SALU_CYCLE_1)
	s_or_b32 exec_lo, exec_lo, s44
.LBB6_5646:                             ;   in Loop: Header=BB6_4246 Depth=3
	s_delay_alu instid0(SALU_CYCLE_1) | instskip(SKIP_2) | instid1(VALU_DEP_1)
	s_or_b32 exec_lo, exec_lo, s13
	v_lshrrev_b16 v0, 8, v19
	s_mov_b32 s13, exec_lo
	v_cmpx_ne_u16_e32 0, v0
	s_cbranch_execz .LBB6_5654
; %bb.5647:                             ;   in Loop: Header=BB6_4246 Depth=3
	v_bfrev_b32_e32 v20, 1
	s_mov_b32 s44, exec_lo
	v_cmpx_ne_u16_e32 0x80, v0
	s_cbranch_execz .LBB6_5653
; %bb.5648:                             ;   in Loop: Header=BB6_4246 Depth=3
	v_and_b32_e32 v0, 0xffff, v0
	v_mov_b32_e32 v20, 0x7f800001
	s_mov_b32 s45, exec_lo
	s_delay_alu instid0(VALU_DEP_2) | instskip(NEXT) | instid1(VALU_DEP_1)
	v_and_b32_e32 v16, 0x7f, v0
	v_cmpx_ne_u32_e32 0x7f, v16
	s_cbranch_execz .LBB6_5652
; %bb.5649:                             ;   in Loop: Header=BB6_4246 Depth=3
	v_and_b32_e32 v2, 7, v0
	v_lshrrev_b32_e32 v0, 3, v16
	v_cmp_gt_u32_e32 vcc_lo, 8, v16
	s_delay_alu instid0(VALU_DEP_3)
	v_mov_b64_e32 v[16:17], v[2:3]
	s_and_saveexec_b32 s74, vcc_lo
; %bb.5650:                             ;   in Loop: Header=BB6_4246 Depth=3
	v_clz_i32_u32_e32 v0, v2
	s_delay_alu instid0(VALU_DEP_1) | instskip(NEXT) | instid1(VALU_DEP_1)
	v_min_u32_e32 v0, 32, v0
	v_subrev_nc_u32_e32 v16, 28, v0
	v_sub_nc_u32_e32 v0, 29, v0
	s_delay_alu instid0(VALU_DEP_2) | instskip(NEXT) | instid1(VALU_DEP_1)
	v_lshlrev_b64_e32 v[16:17], v16, v[2:3]
	v_and_b32_e32 v16, 7, v16
; %bb.5651:                             ;   in Loop: Header=BB6_4246 Depth=3
	s_or_b32 exec_lo, exec_lo, s74
	s_delay_alu instid0(VALU_DEP_1) | instskip(SKIP_1) | instid1(VALU_DEP_2)
	v_dual_lshlrev_b32 v2, 16, v19 :: v_dual_lshlrev_b32 v16, 20, v16
	v_lshl_add_u32 v0, v0, 23, 0x3c000000
	v_and_b32_e32 v2, 0x80000000, v2
	s_delay_alu instid0(VALU_DEP_1)
	v_or3_b32 v20, v16, v2, v0
.LBB6_5652:                             ;   in Loop: Header=BB6_4246 Depth=3
	s_or_b32 exec_lo, exec_lo, s45
.LBB6_5653:                             ;   in Loop: Header=BB6_4246 Depth=3
	s_delay_alu instid0(SALU_CYCLE_1)
	s_or_b32 exec_lo, exec_lo, s44
.LBB6_5654:                             ;   in Loop: Header=BB6_4246 Depth=3
	s_delay_alu instid0(SALU_CYCLE_1) | instskip(NEXT) | instid1(VALU_DEP_1)
	s_or_b32 exec_lo, exec_lo, s13
	v_add_f32_e32 v0, v21, v20
                                        ; implicit-def: $vgpr56
	s_mov_b32 s13, exec_lo
	s_delay_alu instid0(VALU_DEP_1) | instskip(SKIP_1) | instid1(VALU_DEP_2)
	v_and_b32_e32 v2, 0x7f800000, v0
	v_lshrrev_b32_e32 v16, 24, v0
	v_cmpx_ne_u64_e32 0x7f800000, v[2:3]
	s_xor_b32 s44, exec_lo, s13
	s_cbranch_execz .LBB6_5668
; %bb.5655:                             ;   in Loop: Header=BB6_4246 Depth=3
	v_and_b32_e32 v2, 0x7fffffff, v0
	v_and_b32_e32 v66, 0x80, v16
                                        ; implicit-def: $vgpr56
	s_mov_b32 s13, exec_lo
	s_delay_alu instid0(VALU_DEP_2)
	v_cmpx_gt_u64_e32 0x43e00001, v[2:3]
	s_xor_b32 s45, exec_lo, s13
	s_cbranch_execz .LBB6_5665
; %bb.5656:                             ;   in Loop: Header=BB6_4246 Depth=3
	v_mov_b32_e32 v56, 0
	s_mov_b32 s74, exec_lo
	v_cmpx_ne_u32_e32 0, v0
	s_cbranch_execz .LBB6_5664
; %bb.5657:                             ;   in Loop: Header=BB6_4246 Depth=3
	v_bfe_u32 v67, v0, 23, 8
	v_and_b32_e32 v2, 0x7fffff, v0
	s_delay_alu instid0(VALU_DEP_2) | instskip(SKIP_2) | instid1(VALU_DEP_4)
	v_cmp_gt_u32_e64 s13, 0x7a, v67
	v_sub_nc_u32_e32 v0, 0x79, v67
	v_cmp_eq_u32_e32 vcc_lo, 0, v67
	v_or_b32_e32 v16, 0x800000, v2
	s_delay_alu instid0(VALU_DEP_1) | instskip(NEXT) | instid1(VALU_DEP_1)
	v_dual_cndmask_b32 v0, 0, v0, s13 :: v_dual_cndmask_b32 v2, v16, v2, vcc_lo
	v_cndmask_b32_e64 v0, v0, 0x78, vcc_lo
	s_delay_alu instid0(VALU_DEP_1) | instskip(NEXT) | instid1(VALU_DEP_1)
	v_dual_add_nc_u32 v16, 20, v0 :: v_dual_add_nc_u32 v20, 19, v0
	v_lshlrev_b64_e64 v[16:17], v16, -1
	s_delay_alu instid0(VALU_DEP_2) | instskip(NEXT) | instid1(VALU_DEP_2)
	v_lshlrev_b64_e64 v[20:21], v20, 1
	v_bfi_b32 v17, v17, 0, 0
	s_delay_alu instid0(VALU_DEP_3) | instskip(NEXT) | instid1(VALU_DEP_1)
	v_bfi_b32 v16, v16, 0, v2
	v_cmp_eq_u64_e64 s13, v[16:17], v[20:21]
	v_lshrrev_b64 v[16:17], v0, v[2:3]
	s_delay_alu instid0(VALU_DEP_1)
	v_mov_b64_e32 v[20:21], v[16:17]
	s_and_saveexec_b32 s75, s13
; %bb.5658:                             ;   in Loop: Header=BB6_4246 Depth=3
	v_bfe_u32 v2, v16, 20, 1
	s_delay_alu instid0(VALU_DEP_1) | instskip(NEXT) | instid1(VALU_DEP_1)
	v_add_nc_u64_e32 v[20:21], v[16:17], v[2:3]
	v_add_nc_u64_e32 v[20:21], -1, v[20:21]
; %bb.5659:                             ;   in Loop: Header=BB6_4246 Depth=3
	s_or_b32 exec_lo, exec_lo, s75
	v_add_nc_u32_e32 v2, 0xffffff81, v67
	v_lshrrev_b32_e32 v17, 23, v16
	s_mov_b32 s13, exec_lo
	s_delay_alu instid0(VALU_DEP_2) | instskip(NEXT) | instid1(VALU_DEP_1)
	v_cndmask_b32_e64 v2, v2, 0xffffff82, vcc_lo
	v_add3_u32 v21, v0, v2, v17
	v_and_b32_e32 v0, 0xfffff, v20
	s_delay_alu instid0(VALU_DEP_1) | instskip(NEXT) | instid1(VALU_DEP_1)
	v_dual_add_nc_u32 v20, 6, v21 :: v_dual_add_nc_u32 v2, v0, v16
                                        ; implicit-def: $vgpr16_vgpr17
                                        ; implicit-def: $vgpr0
	v_cmpx_ne_u32_e32 0, v20
	s_xor_b32 s13, exec_lo, s13
; %bb.5660:                             ;   in Loop: Header=BB6_4246 Depth=3
	s_delay_alu instid0(VALU_DEP_2) | instskip(SKIP_2) | instid1(VALU_DEP_2)
	v_cmp_lt_u64_e32 vcc_lo, 0xffffff, v[2:3]
	v_add_nc_u32_e32 v0, 7, v21
	v_cndmask_b32_e64 v16, 0, 1, vcc_lo
	v_cndmask_b32_e32 v0, v20, v0, vcc_lo
	s_delay_alu instid0(VALU_DEP_2)
	v_lshrrev_b64 v[16:17], v16, v[2:3]
; %bb.5661:                             ;   in Loop: Header=BB6_4246 Depth=3
	s_and_not1_saveexec_b32 s13, s13
; %bb.5662:                             ;   in Loop: Header=BB6_4246 Depth=3
	v_mov_b64_e32 v[16:17], v[2:3]
	v_bfe_u32 v0, v2, 23, 1
; %bb.5663:                             ;   in Loop: Header=BB6_4246 Depth=3
	s_or_b32 exec_lo, exec_lo, s13
	s_delay_alu instid0(VALU_DEP_2) | instskip(NEXT) | instid1(VALU_DEP_2)
	v_lshrrev_b64 v[16:17], 20, v[16:17]
	v_cmp_gt_i32_e32 vcc_lo, 16, v0
	v_min_i32_e32 v2, 15, v0
	v_cmp_eq_u32_e64 s13, 0, v0
	s_delay_alu instid0(VALU_DEP_2) | instskip(SKIP_1) | instid1(VALU_DEP_2)
	v_dual_cndmask_b32 v17, 0, v17 :: v_dual_lshlrev_b32 v2, 3, v2
	v_cndmask_b32_e32 v16, 7, v16, vcc_lo
	v_and_b32_e32 v2, 0xf8, v2
	s_delay_alu instid0(VALU_DEP_2) | instskip(NEXT) | instid1(VALU_DEP_2)
	v_cmp_eq_u64_e32 vcc_lo, 0, v[16:17]
	v_and_or_b32 v0, v16, 7, v2
	s_and_b32 s13, s13, vcc_lo
	s_delay_alu instid0(VALU_DEP_1) | instid1(SALU_CYCLE_1)
	v_cndmask_b32_e64 v0, v0, 0, s13
	s_delay_alu instid0(VALU_DEP_1)
	v_or_b32_e32 v56, v0, v66
.LBB6_5664:                             ;   in Loop: Header=BB6_4246 Depth=3
	s_or_b32 exec_lo, exec_lo, s74
                                        ; implicit-def: $vgpr66
.LBB6_5665:                             ;   in Loop: Header=BB6_4246 Depth=3
	s_and_not1_saveexec_b32 s13, s45
; %bb.5666:                             ;   in Loop: Header=BB6_4246 Depth=3
	v_or_b32_e32 v56, 0x7e, v66
; %bb.5667:                             ;   in Loop: Header=BB6_4246 Depth=3
	s_or_b32 exec_lo, exec_lo, s13
                                        ; implicit-def: $vgpr16
.LBB6_5668:                             ;   in Loop: Header=BB6_4246 Depth=3
	s_and_not1_saveexec_b32 s13, s44
; %bb.5669:                             ;   in Loop: Header=BB6_4246 Depth=3
	v_or_b32_e32 v56, 0x7f, v16
; %bb.5670:                             ;   in Loop: Header=BB6_4246 Depth=3
	s_or_b32 exec_lo, exec_lo, s13
	v_dual_lshrrev_b32 v0, 16, v23 :: v_dual_mov_b32 v20, 0
	v_mov_b32_e32 v21, 0
	s_mov_b32 s13, exec_lo
	s_delay_alu instid0(VALU_DEP_2) | instskip(NEXT) | instid1(VALU_DEP_1)
	v_and_b32_e32 v2, 0xff, v0
	v_cmpx_ne_u16_e32 0, v2
	s_cbranch_execz .LBB6_5678
; %bb.5671:                             ;   in Loop: Header=BB6_4246 Depth=3
	v_bfrev_b32_e32 v21, 1
	s_mov_b32 s44, exec_lo
	v_cmpx_ne_u16_e32 0x80, v2
	s_cbranch_execz .LBB6_5677
; %bb.5672:                             ;   in Loop: Header=BB6_4246 Depth=3
	v_bfe_u32 v16, v23, 16, 7
	v_mov_b32_e32 v21, 0x7f800001
	s_mov_b32 s45, exec_lo
	s_delay_alu instid0(VALU_DEP_2)
	v_cmpx_ne_u32_e32 0x7f, v16
	s_cbranch_execz .LBB6_5676
; %bb.5673:                             ;   in Loop: Header=BB6_4246 Depth=3
	v_and_b32_e32 v2, 7, v0
	v_lshrrev_b32_e32 v21, 3, v16
	v_cmp_gt_u32_e32 vcc_lo, 8, v16
	s_delay_alu instid0(VALU_DEP_3)
	v_mov_b64_e32 v[16:17], v[2:3]
	s_and_saveexec_b32 s74, vcc_lo
; %bb.5674:                             ;   in Loop: Header=BB6_4246 Depth=3
	v_clz_i32_u32_e32 v16, v2
	s_delay_alu instid0(VALU_DEP_1) | instskip(NEXT) | instid1(VALU_DEP_1)
	v_min_u32_e32 v21, 32, v16
	v_subrev_nc_u32_e32 v16, 28, v21
	s_delay_alu instid0(VALU_DEP_1) | instskip(NEXT) | instid1(VALU_DEP_1)
	v_lshlrev_b64_e32 v[16:17], v16, v[2:3]
	v_dual_sub_nc_u32 v21, 29, v21 :: v_dual_bitop2_b32 v16, 7, v16 bitop3:0x40
; %bb.5675:                             ;   in Loop: Header=BB6_4246 Depth=3
	s_or_b32 exec_lo, exec_lo, s74
	v_lshlrev_b32_e32 v0, 24, v0
	s_delay_alu instid0(VALU_DEP_2) | instskip(NEXT) | instid1(VALU_DEP_3)
	v_lshlrev_b32_e32 v2, 20, v16
	v_lshl_add_u32 v16, v21, 23, 0x3c000000
	s_delay_alu instid0(VALU_DEP_3) | instskip(NEXT) | instid1(VALU_DEP_1)
	v_and_b32_e32 v0, 0x80000000, v0
	v_or3_b32 v21, v2, v0, v16
.LBB6_5676:                             ;   in Loop: Header=BB6_4246 Depth=3
	s_or_b32 exec_lo, exec_lo, s45
.LBB6_5677:                             ;   in Loop: Header=BB6_4246 Depth=3
	s_delay_alu instid0(SALU_CYCLE_1)
	s_or_b32 exec_lo, exec_lo, s44
.LBB6_5678:                             ;   in Loop: Header=BB6_4246 Depth=3
	s_delay_alu instid0(SALU_CYCLE_1) | instskip(SKIP_2) | instid1(VALU_DEP_1)
	s_or_b32 exec_lo, exec_lo, s13
	v_lshrrev_b32_e32 v0, 16, v19
	s_mov_b32 s13, exec_lo
	v_and_b32_e32 v2, 0xff, v0
	s_delay_alu instid0(VALU_DEP_1)
	v_cmpx_ne_u16_e32 0, v2
	s_cbranch_execz .LBB6_5686
; %bb.5679:                             ;   in Loop: Header=BB6_4246 Depth=3
	v_bfrev_b32_e32 v20, 1
	s_mov_b32 s44, exec_lo
	v_cmpx_ne_u16_e32 0x80, v2
	s_cbranch_execz .LBB6_5685
; %bb.5680:                             ;   in Loop: Header=BB6_4246 Depth=3
	v_bfe_u32 v16, v19, 16, 7
	v_mov_b32_e32 v20, 0x7f800001
	s_mov_b32 s45, exec_lo
	s_delay_alu instid0(VALU_DEP_2)
	v_cmpx_ne_u32_e32 0x7f, v16
	s_cbranch_execz .LBB6_5684
; %bb.5681:                             ;   in Loop: Header=BB6_4246 Depth=3
	v_and_b32_e32 v2, 7, v0
	v_lshrrev_b32_e32 v0, 3, v16
	v_cmp_gt_u32_e32 vcc_lo, 8, v16
	s_delay_alu instid0(VALU_DEP_3)
	v_mov_b64_e32 v[16:17], v[2:3]
	s_and_saveexec_b32 s74, vcc_lo
; %bb.5682:                             ;   in Loop: Header=BB6_4246 Depth=3
	v_clz_i32_u32_e32 v0, v2
	s_delay_alu instid0(VALU_DEP_1) | instskip(NEXT) | instid1(VALU_DEP_1)
	v_min_u32_e32 v0, 32, v0
	v_subrev_nc_u32_e32 v16, 28, v0
	v_sub_nc_u32_e32 v0, 29, v0
	s_delay_alu instid0(VALU_DEP_2) | instskip(NEXT) | instid1(VALU_DEP_1)
	v_lshlrev_b64_e32 v[16:17], v16, v[2:3]
	v_and_b32_e32 v16, 7, v16
; %bb.5683:                             ;   in Loop: Header=BB6_4246 Depth=3
	s_or_b32 exec_lo, exec_lo, s74
	s_delay_alu instid0(VALU_DEP_1) | instskip(SKIP_1) | instid1(VALU_DEP_2)
	v_dual_lshlrev_b32 v2, 8, v19 :: v_dual_lshlrev_b32 v16, 20, v16
	v_lshl_add_u32 v0, v0, 23, 0x3c000000
	v_and_b32_e32 v2, 0x80000000, v2
	s_delay_alu instid0(VALU_DEP_1)
	v_or3_b32 v20, v16, v2, v0
.LBB6_5684:                             ;   in Loop: Header=BB6_4246 Depth=3
	s_or_b32 exec_lo, exec_lo, s45
.LBB6_5685:                             ;   in Loop: Header=BB6_4246 Depth=3
	s_delay_alu instid0(SALU_CYCLE_1)
	s_or_b32 exec_lo, exec_lo, s44
.LBB6_5686:                             ;   in Loop: Header=BB6_4246 Depth=3
	s_delay_alu instid0(SALU_CYCLE_1) | instskip(NEXT) | instid1(VALU_DEP_1)
	s_or_b32 exec_lo, exec_lo, s13
	v_add_f32_e32 v0, v21, v20
                                        ; implicit-def: $vgpr20
	s_mov_b32 s13, exec_lo
	s_delay_alu instid0(VALU_DEP_1) | instskip(SKIP_1) | instid1(VALU_DEP_2)
	v_and_b32_e32 v2, 0x7f800000, v0
	v_lshrrev_b32_e32 v16, 24, v0
	v_cmpx_ne_u64_e32 0x7f800000, v[2:3]
	s_xor_b32 s44, exec_lo, s13
	s_cbranch_execz .LBB6_5700
; %bb.5687:                             ;   in Loop: Header=BB6_4246 Depth=3
	v_and_b32_e32 v2, 0x7fffffff, v0
	v_and_b32_e32 v66, 0x80, v16
                                        ; implicit-def: $vgpr20
	s_mov_b32 s13, exec_lo
	s_delay_alu instid0(VALU_DEP_2)
	v_cmpx_gt_u64_e32 0x43e00001, v[2:3]
	s_xor_b32 s45, exec_lo, s13
	s_cbranch_execz .LBB6_5697
; %bb.5688:                             ;   in Loop: Header=BB6_4246 Depth=3
	v_mov_b32_e32 v20, 0
	s_mov_b32 s74, exec_lo
	v_cmpx_ne_u32_e32 0, v0
	s_cbranch_execz .LBB6_5696
; %bb.5689:                             ;   in Loop: Header=BB6_4246 Depth=3
	v_bfe_u32 v67, v0, 23, 8
	v_and_b32_e32 v2, 0x7fffff, v0
	s_delay_alu instid0(VALU_DEP_2) | instskip(SKIP_2) | instid1(VALU_DEP_4)
	v_cmp_gt_u32_e64 s13, 0x7a, v67
	v_sub_nc_u32_e32 v0, 0x79, v67
	v_cmp_eq_u32_e32 vcc_lo, 0, v67
	v_or_b32_e32 v16, 0x800000, v2
	s_delay_alu instid0(VALU_DEP_1) | instskip(NEXT) | instid1(VALU_DEP_1)
	v_dual_cndmask_b32 v0, 0, v0, s13 :: v_dual_cndmask_b32 v2, v16, v2, vcc_lo
	v_cndmask_b32_e64 v0, v0, 0x78, vcc_lo
	s_delay_alu instid0(VALU_DEP_1) | instskip(NEXT) | instid1(VALU_DEP_1)
	v_dual_add_nc_u32 v16, 20, v0 :: v_dual_add_nc_u32 v20, 19, v0
	v_lshlrev_b64_e64 v[16:17], v16, -1
	s_delay_alu instid0(VALU_DEP_2) | instskip(NEXT) | instid1(VALU_DEP_2)
	v_lshlrev_b64_e64 v[20:21], v20, 1
	v_bfi_b32 v17, v17, 0, 0
	s_delay_alu instid0(VALU_DEP_3) | instskip(NEXT) | instid1(VALU_DEP_1)
	v_bfi_b32 v16, v16, 0, v2
	v_cmp_eq_u64_e64 s13, v[16:17], v[20:21]
	v_lshrrev_b64 v[16:17], v0, v[2:3]
	s_delay_alu instid0(VALU_DEP_1)
	v_mov_b64_e32 v[20:21], v[16:17]
	s_and_saveexec_b32 s75, s13
; %bb.5690:                             ;   in Loop: Header=BB6_4246 Depth=3
	v_bfe_u32 v2, v16, 20, 1
	s_delay_alu instid0(VALU_DEP_1) | instskip(NEXT) | instid1(VALU_DEP_1)
	v_add_nc_u64_e32 v[20:21], v[16:17], v[2:3]
	v_add_nc_u64_e32 v[20:21], -1, v[20:21]
; %bb.5691:                             ;   in Loop: Header=BB6_4246 Depth=3
	s_or_b32 exec_lo, exec_lo, s75
	v_add_nc_u32_e32 v2, 0xffffff81, v67
	v_lshrrev_b32_e32 v17, 23, v16
	s_mov_b32 s13, exec_lo
	s_delay_alu instid0(VALU_DEP_2) | instskip(NEXT) | instid1(VALU_DEP_1)
	v_cndmask_b32_e64 v2, v2, 0xffffff82, vcc_lo
	v_add3_u32 v21, v0, v2, v17
	v_and_b32_e32 v0, 0xfffff, v20
	s_delay_alu instid0(VALU_DEP_1) | instskip(NEXT) | instid1(VALU_DEP_1)
	v_dual_add_nc_u32 v20, 6, v21 :: v_dual_add_nc_u32 v2, v0, v16
                                        ; implicit-def: $vgpr16_vgpr17
                                        ; implicit-def: $vgpr0
	v_cmpx_ne_u32_e32 0, v20
	s_xor_b32 s13, exec_lo, s13
; %bb.5692:                             ;   in Loop: Header=BB6_4246 Depth=3
	s_delay_alu instid0(VALU_DEP_2) | instskip(SKIP_2) | instid1(VALU_DEP_2)
	v_cmp_lt_u64_e32 vcc_lo, 0xffffff, v[2:3]
	v_add_nc_u32_e32 v0, 7, v21
	v_cndmask_b32_e64 v16, 0, 1, vcc_lo
	v_cndmask_b32_e32 v0, v20, v0, vcc_lo
	s_delay_alu instid0(VALU_DEP_2)
	v_lshrrev_b64 v[16:17], v16, v[2:3]
; %bb.5693:                             ;   in Loop: Header=BB6_4246 Depth=3
	s_and_not1_saveexec_b32 s13, s13
; %bb.5694:                             ;   in Loop: Header=BB6_4246 Depth=3
	v_mov_b64_e32 v[16:17], v[2:3]
	v_bfe_u32 v0, v2, 23, 1
; %bb.5695:                             ;   in Loop: Header=BB6_4246 Depth=3
	s_or_b32 exec_lo, exec_lo, s13
	s_delay_alu instid0(VALU_DEP_2) | instskip(NEXT) | instid1(VALU_DEP_2)
	v_lshrrev_b64 v[16:17], 20, v[16:17]
	v_cmp_gt_i32_e32 vcc_lo, 16, v0
	v_min_i32_e32 v2, 15, v0
	v_cmp_eq_u32_e64 s13, 0, v0
	s_delay_alu instid0(VALU_DEP_2) | instskip(SKIP_1) | instid1(VALU_DEP_2)
	v_dual_cndmask_b32 v17, 0, v17 :: v_dual_lshlrev_b32 v2, 3, v2
	v_cndmask_b32_e32 v16, 7, v16, vcc_lo
	v_and_b32_e32 v2, 0xf8, v2
	s_delay_alu instid0(VALU_DEP_2) | instskip(NEXT) | instid1(VALU_DEP_2)
	v_cmp_eq_u64_e32 vcc_lo, 0, v[16:17]
	v_and_or_b32 v0, v16, 7, v2
	s_and_b32 s13, s13, vcc_lo
	s_delay_alu instid0(VALU_DEP_1) | instid1(SALU_CYCLE_1)
	v_cndmask_b32_e64 v0, v0, 0, s13
	s_delay_alu instid0(VALU_DEP_1)
	v_or_b32_e32 v20, v0, v66
.LBB6_5696:                             ;   in Loop: Header=BB6_4246 Depth=3
	s_or_b32 exec_lo, exec_lo, s74
                                        ; implicit-def: $vgpr66
.LBB6_5697:                             ;   in Loop: Header=BB6_4246 Depth=3
	s_and_not1_saveexec_b32 s13, s45
; %bb.5698:                             ;   in Loop: Header=BB6_4246 Depth=3
	v_or_b32_e32 v20, 0x7e, v66
; %bb.5699:                             ;   in Loop: Header=BB6_4246 Depth=3
	s_or_b32 exec_lo, exec_lo, s13
                                        ; implicit-def: $vgpr16
.LBB6_5700:                             ;   in Loop: Header=BB6_4246 Depth=3
	s_and_not1_saveexec_b32 s13, s44
; %bb.5701:                             ;   in Loop: Header=BB6_4246 Depth=3
	v_or_b32_e32 v20, 0x7f, v16
; %bb.5702:                             ;   in Loop: Header=BB6_4246 Depth=3
	s_or_b32 exec_lo, exec_lo, s13
	v_cmp_lt_u64_e32 vcc_lo, s[22:23], v[22:23]
	v_dual_mov_b32 v21, 0 :: v_dual_mov_b32 v22, 0
	s_and_saveexec_b32 s13, vcc_lo
	s_cbranch_execz .LBB6_5710
; %bb.5703:                             ;   in Loop: Header=BB6_4246 Depth=3
	v_lshrrev_b32_e32 v0, 24, v23
	v_bfrev_b32_e32 v22, 1
	s_mov_b32 s44, exec_lo
	s_delay_alu instid0(VALU_DEP_2)
	v_cmpx_ne_u32_e32 0x80, v0
	s_cbranch_execz .LBB6_5709
; %bb.5704:                             ;   in Loop: Header=BB6_4246 Depth=3
	v_bfe_u32 v16, v23, 24, 7
	v_mov_b32_e32 v22, 0x7f800001
	s_mov_b32 s45, exec_lo
	s_delay_alu instid0(VALU_DEP_2)
	v_cmpx_ne_u32_e32 0x7f, v16
	s_cbranch_execz .LBB6_5708
; %bb.5705:                             ;   in Loop: Header=BB6_4246 Depth=3
	v_and_b32_e32 v2, 7, v0
	v_lshrrev_b32_e32 v22, 3, v16
	v_cmp_gt_u32_e32 vcc_lo, 8, v16
	s_delay_alu instid0(VALU_DEP_3)
	v_mov_b64_e32 v[16:17], v[2:3]
	s_and_saveexec_b32 s74, vcc_lo
; %bb.5706:                             ;   in Loop: Header=BB6_4246 Depth=3
	v_clz_i32_u32_e32 v16, v2
	s_delay_alu instid0(VALU_DEP_1) | instskip(NEXT) | instid1(VALU_DEP_1)
	v_min_u32_e32 v22, 32, v16
	v_subrev_nc_u32_e32 v16, 28, v22
	s_delay_alu instid0(VALU_DEP_1) | instskip(NEXT) | instid1(VALU_DEP_1)
	v_lshlrev_b64_e32 v[16:17], v16, v[2:3]
	v_dual_sub_nc_u32 v22, 29, v22 :: v_dual_bitop2_b32 v16, 7, v16 bitop3:0x40
; %bb.5707:                             ;   in Loop: Header=BB6_4246 Depth=3
	s_or_b32 exec_lo, exec_lo, s74
	v_lshlrev_b32_e32 v0, 24, v0
	s_delay_alu instid0(VALU_DEP_2) | instskip(NEXT) | instid1(VALU_DEP_3)
	v_lshlrev_b32_e32 v2, 20, v16
	v_lshl_add_u32 v16, v22, 23, 0x3c000000
	s_delay_alu instid0(VALU_DEP_3) | instskip(NEXT) | instid1(VALU_DEP_1)
	v_and_b32_e32 v0, 0x80000000, v0
	v_or3_b32 v22, v2, v0, v16
.LBB6_5708:                             ;   in Loop: Header=BB6_4246 Depth=3
	s_or_b32 exec_lo, exec_lo, s45
.LBB6_5709:                             ;   in Loop: Header=BB6_4246 Depth=3
	s_delay_alu instid0(SALU_CYCLE_1)
	s_or_b32 exec_lo, exec_lo, s44
.LBB6_5710:                             ;   in Loop: Header=BB6_4246 Depth=3
	s_delay_alu instid0(SALU_CYCLE_1) | instskip(NEXT) | instid1(SALU_CYCLE_1)
	s_or_b32 exec_lo, exec_lo, s13
	s_mov_b32 s13, exec_lo
	v_cmpx_lt_u64_e64 s[22:23], v[18:19]
	s_cbranch_execz .LBB6_5718
; %bb.5711:                             ;   in Loop: Header=BB6_4246 Depth=3
	v_lshrrev_b32_e32 v0, 24, v19
	v_bfrev_b32_e32 v21, 1
	s_mov_b32 s44, exec_lo
	s_delay_alu instid0(VALU_DEP_2)
	v_cmpx_ne_u32_e32 0x80, v0
	s_cbranch_execz .LBB6_5717
; %bb.5712:                             ;   in Loop: Header=BB6_4246 Depth=3
	v_bfe_u32 v16, v19, 24, 7
	v_mov_b32_e32 v21, 0x7f800001
	s_mov_b32 s45, exec_lo
	s_delay_alu instid0(VALU_DEP_2)
	v_cmpx_ne_u32_e32 0x7f, v16
	s_cbranch_execz .LBB6_5716
; %bb.5713:                             ;   in Loop: Header=BB6_4246 Depth=3
	v_and_b32_e32 v2, 7, v0
	v_lshrrev_b32_e32 v18, 3, v16
	v_cmp_gt_u32_e32 vcc_lo, 8, v16
	s_delay_alu instid0(VALU_DEP_3)
	v_mov_b64_e32 v[16:17], v[2:3]
	s_and_saveexec_b32 s74, vcc_lo
; %bb.5714:                             ;   in Loop: Header=BB6_4246 Depth=3
	v_clz_i32_u32_e32 v16, v2
	s_delay_alu instid0(VALU_DEP_1) | instskip(NEXT) | instid1(VALU_DEP_1)
	v_min_u32_e32 v18, 32, v16
	v_subrev_nc_u32_e32 v16, 28, v18
	s_delay_alu instid0(VALU_DEP_1) | instskip(NEXT) | instid1(VALU_DEP_1)
	v_lshlrev_b64_e32 v[16:17], v16, v[2:3]
	v_dual_sub_nc_u32 v18, 29, v18 :: v_dual_bitop2_b32 v16, 7, v16 bitop3:0x40
; %bb.5715:                             ;   in Loop: Header=BB6_4246 Depth=3
	s_or_b32 exec_lo, exec_lo, s74
	v_lshlrev_b32_e32 v0, 24, v0
	s_delay_alu instid0(VALU_DEP_2) | instskip(NEXT) | instid1(VALU_DEP_3)
	v_lshlrev_b32_e32 v2, 20, v16
	v_lshl_add_u32 v16, v18, 23, 0x3c000000
	s_delay_alu instid0(VALU_DEP_3) | instskip(NEXT) | instid1(VALU_DEP_1)
	v_and_b32_e32 v0, 0x80000000, v0
	v_or3_b32 v21, v2, v0, v16
.LBB6_5716:                             ;   in Loop: Header=BB6_4246 Depth=3
	s_or_b32 exec_lo, exec_lo, s45
.LBB6_5717:                             ;   in Loop: Header=BB6_4246 Depth=3
	s_delay_alu instid0(SALU_CYCLE_1)
	s_or_b32 exec_lo, exec_lo, s44
.LBB6_5718:                             ;   in Loop: Header=BB6_4246 Depth=3
	s_delay_alu instid0(SALU_CYCLE_1) | instskip(NEXT) | instid1(VALU_DEP_1)
	s_or_b32 exec_lo, exec_lo, s13
	v_add_f32_e32 v0, v22, v21
                                        ; implicit-def: $vgpr21
	s_mov_b32 s13, exec_lo
	s_delay_alu instid0(VALU_DEP_1) | instskip(SKIP_1) | instid1(VALU_DEP_2)
	v_and_b32_e32 v2, 0x7f800000, v0
	v_lshrrev_b32_e32 v16, 24, v0
	v_cmpx_ne_u64_e32 0x7f800000, v[2:3]
	s_xor_b32 s44, exec_lo, s13
	s_cbranch_execz .LBB6_5732
; %bb.5719:                             ;   in Loop: Header=BB6_4246 Depth=3
	v_and_b32_e32 v2, 0x7fffffff, v0
	v_and_b32_e32 v22, 0x80, v16
                                        ; implicit-def: $vgpr21
	s_mov_b32 s13, exec_lo
	s_delay_alu instid0(VALU_DEP_2)
	v_cmpx_gt_u64_e32 0x43e00001, v[2:3]
	s_xor_b32 s45, exec_lo, s13
	s_cbranch_execz .LBB6_5729
; %bb.5720:                             ;   in Loop: Header=BB6_4246 Depth=3
	v_mov_b32_e32 v21, 0
	s_mov_b32 s74, exec_lo
	v_cmpx_ne_u32_e32 0, v0
	s_cbranch_execz .LBB6_5728
; %bb.5721:                             ;   in Loop: Header=BB6_4246 Depth=3
	v_bfe_u32 v21, v0, 23, 8
	v_and_b32_e32 v2, 0x7fffff, v0
	s_delay_alu instid0(VALU_DEP_2) | instskip(SKIP_2) | instid1(VALU_DEP_4)
	v_cmp_gt_u32_e64 s13, 0x7a, v21
	v_sub_nc_u32_e32 v0, 0x79, v21
	v_cmp_eq_u32_e32 vcc_lo, 0, v21
	v_or_b32_e32 v16, 0x800000, v2
	s_delay_alu instid0(VALU_DEP_1) | instskip(NEXT) | instid1(VALU_DEP_1)
	v_dual_cndmask_b32 v0, 0, v0, s13 :: v_dual_cndmask_b32 v2, v16, v2, vcc_lo
	v_cndmask_b32_e64 v0, v0, 0x78, vcc_lo
	s_delay_alu instid0(VALU_DEP_1) | instskip(NEXT) | instid1(VALU_DEP_1)
	v_dual_add_nc_u32 v16, 20, v0 :: v_dual_add_nc_u32 v18, 19, v0
	v_lshlrev_b64_e64 v[16:17], v16, -1
	s_delay_alu instid0(VALU_DEP_2) | instskip(NEXT) | instid1(VALU_DEP_2)
	v_lshlrev_b64_e64 v[18:19], v18, 1
	v_bfi_b32 v17, v17, 0, 0
	s_delay_alu instid0(VALU_DEP_3) | instskip(NEXT) | instid1(VALU_DEP_1)
	v_bfi_b32 v16, v16, 0, v2
	v_cmp_eq_u64_e64 s13, v[16:17], v[18:19]
	v_lshrrev_b64 v[16:17], v0, v[2:3]
	s_delay_alu instid0(VALU_DEP_1)
	v_mov_b64_e32 v[18:19], v[16:17]
	s_and_saveexec_b32 s75, s13
; %bb.5722:                             ;   in Loop: Header=BB6_4246 Depth=3
	v_bfe_u32 v2, v16, 20, 1
	s_delay_alu instid0(VALU_DEP_1) | instskip(NEXT) | instid1(VALU_DEP_1)
	v_add_nc_u64_e32 v[18:19], v[16:17], v[2:3]
	v_add_nc_u64_e32 v[18:19], -1, v[18:19]
; %bb.5723:                             ;   in Loop: Header=BB6_4246 Depth=3
	s_or_b32 exec_lo, exec_lo, s75
	v_add_nc_u32_e32 v2, 0xffffff81, v21
	v_lshrrev_b32_e32 v17, 23, v16
	s_mov_b32 s13, exec_lo
	s_delay_alu instid0(VALU_DEP_2) | instskip(NEXT) | instid1(VALU_DEP_1)
	v_cndmask_b32_e64 v2, v2, 0xffffff82, vcc_lo
	v_add3_u32 v19, v0, v2, v17
	v_and_b32_e32 v0, 0xfffff, v18
	s_delay_alu instid0(VALU_DEP_1) | instskip(NEXT) | instid1(VALU_DEP_1)
	v_dual_add_nc_u32 v18, 6, v19 :: v_dual_add_nc_u32 v2, v0, v16
                                        ; implicit-def: $vgpr16_vgpr17
                                        ; implicit-def: $vgpr0
	v_cmpx_ne_u32_e32 0, v18
	s_xor_b32 s13, exec_lo, s13
; %bb.5724:                             ;   in Loop: Header=BB6_4246 Depth=3
	s_delay_alu instid0(VALU_DEP_2) | instskip(SKIP_2) | instid1(VALU_DEP_2)
	v_cmp_lt_u64_e32 vcc_lo, 0xffffff, v[2:3]
	v_add_nc_u32_e32 v0, 7, v19
	v_cndmask_b32_e64 v16, 0, 1, vcc_lo
	v_cndmask_b32_e32 v0, v18, v0, vcc_lo
	s_delay_alu instid0(VALU_DEP_2)
	v_lshrrev_b64 v[16:17], v16, v[2:3]
; %bb.5725:                             ;   in Loop: Header=BB6_4246 Depth=3
	s_and_not1_saveexec_b32 s13, s13
; %bb.5726:                             ;   in Loop: Header=BB6_4246 Depth=3
	v_mov_b64_e32 v[16:17], v[2:3]
	v_bfe_u32 v0, v2, 23, 1
; %bb.5727:                             ;   in Loop: Header=BB6_4246 Depth=3
	s_or_b32 exec_lo, exec_lo, s13
	s_delay_alu instid0(VALU_DEP_2) | instskip(NEXT) | instid1(VALU_DEP_2)
	v_lshrrev_b64 v[16:17], 20, v[16:17]
	v_cmp_gt_i32_e32 vcc_lo, 16, v0
	v_min_i32_e32 v2, 15, v0
	v_cmp_eq_u32_e64 s13, 0, v0
	s_delay_alu instid0(VALU_DEP_2) | instskip(SKIP_1) | instid1(VALU_DEP_2)
	v_dual_cndmask_b32 v17, 0, v17 :: v_dual_lshlrev_b32 v2, 3, v2
	v_cndmask_b32_e32 v16, 7, v16, vcc_lo
	v_and_b32_e32 v2, 0xf8, v2
	s_delay_alu instid0(VALU_DEP_2) | instskip(NEXT) | instid1(VALU_DEP_2)
	v_cmp_eq_u64_e32 vcc_lo, 0, v[16:17]
	v_and_or_b32 v0, v16, 7, v2
	s_and_b32 s13, s13, vcc_lo
	s_delay_alu instid0(VALU_DEP_1) | instid1(SALU_CYCLE_1)
	v_cndmask_b32_e64 v0, v0, 0, s13
	s_delay_alu instid0(VALU_DEP_1)
	v_or_b32_e32 v21, v0, v22
.LBB6_5728:                             ;   in Loop: Header=BB6_4246 Depth=3
	s_or_b32 exec_lo, exec_lo, s74
                                        ; implicit-def: $vgpr22
.LBB6_5729:                             ;   in Loop: Header=BB6_4246 Depth=3
	s_and_not1_saveexec_b32 s13, s45
; %bb.5730:                             ;   in Loop: Header=BB6_4246 Depth=3
	v_or_b32_e32 v21, 0x7e, v22
; %bb.5731:                             ;   in Loop: Header=BB6_4246 Depth=3
	s_or_b32 exec_lo, exec_lo, s13
                                        ; implicit-def: $vgpr16
.LBB6_5732:                             ;   in Loop: Header=BB6_4246 Depth=3
	s_and_not1_saveexec_b32 s13, s44
; %bb.5733:                             ;   in Loop: Header=BB6_4246 Depth=3
	v_or_b32_e32 v21, 0x7f, v16
; %bb.5734:                             ;   in Loop: Header=BB6_4246 Depth=3
	s_or_b32 exec_lo, exec_lo, s13
	v_and_b32_e32 v0, 0xff, v12
	v_dual_mov_b32 v2, 0 :: v_dual_mov_b32 v16, 0
	s_mov_b32 s13, exec_lo
	s_delay_alu instid0(VALU_DEP_2)
	v_cmpx_ne_u16_e32 0, v0
	s_cbranch_execz .LBB6_5740
; %bb.5735:                             ;   in Loop: Header=BB6_4246 Depth=3
	v_bfrev_b32_e32 v16, 1
	s_mov_b32 s44, exec_lo
	v_cmpx_ne_u16_e32 0x80, v0
	s_cbranch_execz .LBB6_5739
; %bb.5736:                             ;   in Loop: Header=BB6_4246 Depth=3
	v_and_b32_e32 v0, 0x7f, v12
	v_mov_b32_e32 v16, 0x7f800001
	s_mov_b32 s45, exec_lo
	s_delay_alu instid0(VALU_DEP_2)
	v_cmpx_ne_u32_e32 0x7f, v0
	s_cbranch_execz .LBB6_5738
; %bb.5737:                             ;   in Loop: Header=BB6_4246 Depth=3
	v_and_b32_e32 v16, 7, v12
	v_lshrrev_b32_e32 v17, 3, v0
	v_cmp_gt_u32_e32 vcc_lo, 8, v0
	s_delay_alu instid0(VALU_DEP_3) | instskip(NEXT) | instid1(VALU_DEP_1)
	v_clz_i32_u32_e32 v0, v16
	v_min_u32_e32 v0, 32, v0
	s_delay_alu instid0(VALU_DEP_1) | instskip(SKIP_1) | instid1(VALU_DEP_2)
	v_subrev_nc_u32_e32 v16, 28, v0
	v_sub_nc_u32_e32 v0, 29, v0
	v_cndmask_b32_e32 v16, 0, v16, vcc_lo
	s_delay_alu instid0(VALU_DEP_2) | instskip(NEXT) | instid1(VALU_DEP_2)
	v_cndmask_b32_e32 v0, v17, v0, vcc_lo
	v_lshlrev_b64_e32 v[16:17], v16, v[12:13]
	v_lshlrev_b32_e32 v17, 24, v12
	s_delay_alu instid0(VALU_DEP_3) | instskip(NEXT) | instid1(VALU_DEP_2)
	v_lshl_add_u32 v0, v0, 23, 0x3c000000
	v_and_b32_e32 v17, 0x80000000, v17
	s_delay_alu instid0(VALU_DEP_4) | instskip(NEXT) | instid1(VALU_DEP_1)
	v_lshlrev_b32_e32 v16, 20, v16
	v_and_b32_e32 v16, 0x700000, v16
	s_delay_alu instid0(VALU_DEP_1)
	v_or3_b32 v16, v16, v17, v0
.LBB6_5738:                             ;   in Loop: Header=BB6_4246 Depth=3
	s_or_b32 exec_lo, exec_lo, s45
.LBB6_5739:                             ;   in Loop: Header=BB6_4246 Depth=3
	s_delay_alu instid0(SALU_CYCLE_1)
	s_or_b32 exec_lo, exec_lo, s44
.LBB6_5740:                             ;   in Loop: Header=BB6_4246 Depth=3
	s_delay_alu instid0(SALU_CYCLE_1) | instskip(SKIP_3) | instid1(VALU_DEP_1)
	s_or_b32 exec_lo, exec_lo, s13
	s_wait_loadcnt 0x0
	v_and_b32_e32 v0, 0xff, v8
	s_mov_b32 s13, exec_lo
	v_cmpx_ne_u16_e32 0, v0
	s_cbranch_execz .LBB6_5746
; %bb.5741:                             ;   in Loop: Header=BB6_4246 Depth=3
	v_bfrev_b32_e32 v2, 1
	s_mov_b32 s44, exec_lo
	v_cmpx_ne_u16_e32 0x80, v0
	s_cbranch_execz .LBB6_5745
; %bb.5742:                             ;   in Loop: Header=BB6_4246 Depth=3
	v_and_b32_e32 v0, 0x7f, v8
	v_mov_b32_e32 v2, 0x7f800001
	s_mov_b32 s45, exec_lo
	s_delay_alu instid0(VALU_DEP_2)
	v_cmpx_ne_u32_e32 0x7f, v0
	s_cbranch_execz .LBB6_5744
; %bb.5743:                             ;   in Loop: Header=BB6_4246 Depth=3
	v_and_b32_e32 v2, 7, v8
	v_lshrrev_b32_e32 v17, 3, v0
	v_cmp_gt_u32_e32 vcc_lo, 8, v0
	s_delay_alu instid0(VALU_DEP_3) | instskip(NEXT) | instid1(VALU_DEP_1)
	v_clz_i32_u32_e32 v0, v2
	v_min_u32_e32 v0, 32, v0
	s_delay_alu instid0(VALU_DEP_1) | instskip(NEXT) | instid1(VALU_DEP_1)
	v_subrev_nc_u32_e32 v2, 28, v0
	v_dual_sub_nc_u32 v0, 29, v0 :: v_dual_cndmask_b32 v2, 0, v2, vcc_lo
	s_delay_alu instid0(VALU_DEP_1) | instskip(SKIP_1) | instid1(VALU_DEP_3)
	v_cndmask_b32_e32 v0, v17, v0, vcc_lo
	v_lshlrev_b32_e32 v17, 24, v8
	v_lshlrev_b64_e32 v[18:19], v2, v[8:9]
	s_delay_alu instid0(VALU_DEP_3) | instskip(NEXT) | instid1(VALU_DEP_3)
	v_lshl_add_u32 v0, v0, 23, 0x3c000000
	v_and_b32_e32 v17, 0x80000000, v17
	s_delay_alu instid0(VALU_DEP_3) | instskip(NEXT) | instid1(VALU_DEP_1)
	v_lshlrev_b32_e32 v2, 20, v18
	v_and_b32_e32 v2, 0x700000, v2
	s_delay_alu instid0(VALU_DEP_1)
	v_or3_b32 v2, v2, v17, v0
.LBB6_5744:                             ;   in Loop: Header=BB6_4246 Depth=3
	s_or_b32 exec_lo, exec_lo, s45
.LBB6_5745:                             ;   in Loop: Header=BB6_4246 Depth=3
	s_delay_alu instid0(SALU_CYCLE_1)
	s_or_b32 exec_lo, exec_lo, s44
.LBB6_5746:                             ;   in Loop: Header=BB6_4246 Depth=3
	s_delay_alu instid0(SALU_CYCLE_1) | instskip(NEXT) | instid1(VALU_DEP_1)
	s_or_b32 exec_lo, exec_lo, s13
	v_add_f32_e32 v0, v16, v2
                                        ; implicit-def: $vgpr22
	s_mov_b32 s13, exec_lo
	s_delay_alu instid0(VALU_DEP_1) | instskip(SKIP_1) | instid1(VALU_DEP_2)
	v_and_b32_e32 v2, 0x7f800000, v0
	v_lshrrev_b32_e32 v16, 24, v0
	v_cmpx_ne_u64_e32 0x7f800000, v[2:3]
	s_xor_b32 s44, exec_lo, s13
	s_cbranch_execz .LBB6_5760
; %bb.5747:                             ;   in Loop: Header=BB6_4246 Depth=3
	v_and_b32_e32 v2, 0x7fffffff, v0
	v_and_b32_e32 v23, 0x80, v16
                                        ; implicit-def: $vgpr22
	s_mov_b32 s13, exec_lo
	s_delay_alu instid0(VALU_DEP_2)
	v_cmpx_gt_u64_e32 0x43e00001, v[2:3]
	s_xor_b32 s45, exec_lo, s13
	s_cbranch_execz .LBB6_5757
; %bb.5748:                             ;   in Loop: Header=BB6_4246 Depth=3
	v_mov_b32_e32 v22, 0
	s_mov_b32 s74, exec_lo
	v_cmpx_ne_u32_e32 0, v0
	s_cbranch_execz .LBB6_5756
; %bb.5749:                             ;   in Loop: Header=BB6_4246 Depth=3
	v_bfe_u32 v22, v0, 23, 8
	v_and_b32_e32 v2, 0x7fffff, v0
	s_delay_alu instid0(VALU_DEP_2) | instskip(SKIP_2) | instid1(VALU_DEP_4)
	v_cmp_gt_u32_e64 s13, 0x7a, v22
	v_sub_nc_u32_e32 v0, 0x79, v22
	v_cmp_eq_u32_e32 vcc_lo, 0, v22
	v_or_b32_e32 v16, 0x800000, v2
	s_delay_alu instid0(VALU_DEP_1) | instskip(NEXT) | instid1(VALU_DEP_1)
	v_dual_cndmask_b32 v0, 0, v0, s13 :: v_dual_cndmask_b32 v2, v16, v2, vcc_lo
	v_cndmask_b32_e64 v0, v0, 0x78, vcc_lo
	s_delay_alu instid0(VALU_DEP_1) | instskip(NEXT) | instid1(VALU_DEP_1)
	v_dual_add_nc_u32 v16, 20, v0 :: v_dual_add_nc_u32 v18, 19, v0
	v_lshlrev_b64_e64 v[16:17], v16, -1
	s_delay_alu instid0(VALU_DEP_2) | instskip(NEXT) | instid1(VALU_DEP_2)
	v_lshlrev_b64_e64 v[18:19], v18, 1
	v_bfi_b32 v17, v17, 0, 0
	s_delay_alu instid0(VALU_DEP_3) | instskip(NEXT) | instid1(VALU_DEP_1)
	v_bfi_b32 v16, v16, 0, v2
	v_cmp_eq_u64_e64 s13, v[16:17], v[18:19]
	v_lshrrev_b64 v[16:17], v0, v[2:3]
	s_delay_alu instid0(VALU_DEP_1)
	v_mov_b64_e32 v[18:19], v[16:17]
	s_and_saveexec_b32 s75, s13
; %bb.5750:                             ;   in Loop: Header=BB6_4246 Depth=3
	v_bfe_u32 v2, v16, 20, 1
	s_delay_alu instid0(VALU_DEP_1) | instskip(NEXT) | instid1(VALU_DEP_1)
	v_add_nc_u64_e32 v[18:19], v[16:17], v[2:3]
	v_add_nc_u64_e32 v[18:19], -1, v[18:19]
; %bb.5751:                             ;   in Loop: Header=BB6_4246 Depth=3
	s_or_b32 exec_lo, exec_lo, s75
	v_add_nc_u32_e32 v2, 0xffffff81, v22
	v_lshrrev_b32_e32 v17, 23, v16
	s_mov_b32 s13, exec_lo
	s_delay_alu instid0(VALU_DEP_2) | instskip(NEXT) | instid1(VALU_DEP_1)
	v_cndmask_b32_e64 v2, v2, 0xffffff82, vcc_lo
	v_add3_u32 v19, v0, v2, v17
	v_and_b32_e32 v0, 0xfffff, v18
	s_delay_alu instid0(VALU_DEP_1) | instskip(NEXT) | instid1(VALU_DEP_1)
	v_dual_add_nc_u32 v18, 6, v19 :: v_dual_add_nc_u32 v2, v0, v16
                                        ; implicit-def: $vgpr16_vgpr17
                                        ; implicit-def: $vgpr0
	v_cmpx_ne_u32_e32 0, v18
	s_xor_b32 s13, exec_lo, s13
; %bb.5752:                             ;   in Loop: Header=BB6_4246 Depth=3
	s_delay_alu instid0(VALU_DEP_2) | instskip(SKIP_2) | instid1(VALU_DEP_2)
	v_cmp_lt_u64_e32 vcc_lo, 0xffffff, v[2:3]
	v_add_nc_u32_e32 v0, 7, v19
	v_cndmask_b32_e64 v16, 0, 1, vcc_lo
	v_cndmask_b32_e32 v0, v18, v0, vcc_lo
	s_delay_alu instid0(VALU_DEP_2)
	v_lshrrev_b64 v[16:17], v16, v[2:3]
; %bb.5753:                             ;   in Loop: Header=BB6_4246 Depth=3
	s_and_not1_saveexec_b32 s13, s13
; %bb.5754:                             ;   in Loop: Header=BB6_4246 Depth=3
	v_mov_b64_e32 v[16:17], v[2:3]
	v_bfe_u32 v0, v2, 23, 1
; %bb.5755:                             ;   in Loop: Header=BB6_4246 Depth=3
	s_or_b32 exec_lo, exec_lo, s13
	s_delay_alu instid0(VALU_DEP_2) | instskip(NEXT) | instid1(VALU_DEP_2)
	v_lshrrev_b64 v[16:17], 20, v[16:17]
	v_cmp_gt_i32_e32 vcc_lo, 16, v0
	v_min_i32_e32 v2, 15, v0
	v_cmp_eq_u32_e64 s13, 0, v0
	s_delay_alu instid0(VALU_DEP_2) | instskip(SKIP_1) | instid1(VALU_DEP_2)
	v_dual_cndmask_b32 v17, 0, v17 :: v_dual_lshlrev_b32 v2, 3, v2
	v_cndmask_b32_e32 v16, 7, v16, vcc_lo
	v_and_b32_e32 v2, 0xf8, v2
	s_delay_alu instid0(VALU_DEP_2) | instskip(NEXT) | instid1(VALU_DEP_2)
	v_cmp_eq_u64_e32 vcc_lo, 0, v[16:17]
	v_and_or_b32 v0, v16, 7, v2
	s_and_b32 s13, s13, vcc_lo
	s_delay_alu instid0(VALU_DEP_1) | instid1(SALU_CYCLE_1)
	v_cndmask_b32_e64 v0, v0, 0, s13
	s_delay_alu instid0(VALU_DEP_1)
	v_or_b32_e32 v22, v0, v23
.LBB6_5756:                             ;   in Loop: Header=BB6_4246 Depth=3
	s_or_b32 exec_lo, exec_lo, s74
                                        ; implicit-def: $vgpr23
.LBB6_5757:                             ;   in Loop: Header=BB6_4246 Depth=3
	s_and_not1_saveexec_b32 s13, s45
; %bb.5758:                             ;   in Loop: Header=BB6_4246 Depth=3
	v_or_b32_e32 v22, 0x7e, v23
; %bb.5759:                             ;   in Loop: Header=BB6_4246 Depth=3
	s_or_b32 exec_lo, exec_lo, s13
                                        ; implicit-def: $vgpr16
.LBB6_5760:                             ;   in Loop: Header=BB6_4246 Depth=3
	s_and_not1_saveexec_b32 s13, s44
; %bb.5761:                             ;   in Loop: Header=BB6_4246 Depth=3
	v_or_b32_e32 v22, 0x7f, v16
; %bb.5762:                             ;   in Loop: Header=BB6_4246 Depth=3
	s_or_b32 exec_lo, exec_lo, s13
	v_lshrrev_b16 v0, 8, v12
	v_dual_mov_b32 v18, 0 :: v_dual_mov_b32 v19, 0
	s_mov_b32 s13, exec_lo
	s_delay_alu instid0(VALU_DEP_2)
	v_cmpx_ne_u16_e32 0, v0
	s_cbranch_execz .LBB6_5770
; %bb.5763:                             ;   in Loop: Header=BB6_4246 Depth=3
	v_bfrev_b32_e32 v19, 1
	s_mov_b32 s44, exec_lo
	v_cmpx_ne_u16_e32 0x80, v0
	s_cbranch_execz .LBB6_5769
; %bb.5764:                             ;   in Loop: Header=BB6_4246 Depth=3
	v_and_b32_e32 v0, 0xffff, v0
	v_mov_b32_e32 v19, 0x7f800001
	s_mov_b32 s45, exec_lo
	s_delay_alu instid0(VALU_DEP_2) | instskip(NEXT) | instid1(VALU_DEP_1)
	v_and_b32_e32 v16, 0x7f, v0
	v_cmpx_ne_u32_e32 0x7f, v16
	s_cbranch_execz .LBB6_5768
; %bb.5765:                             ;   in Loop: Header=BB6_4246 Depth=3
	v_and_b32_e32 v2, 7, v0
	v_lshrrev_b32_e32 v0, 3, v16
	v_cmp_gt_u32_e32 vcc_lo, 8, v16
	s_delay_alu instid0(VALU_DEP_3)
	v_mov_b64_e32 v[16:17], v[2:3]
	s_and_saveexec_b32 s74, vcc_lo
; %bb.5766:                             ;   in Loop: Header=BB6_4246 Depth=3
	v_clz_i32_u32_e32 v0, v2
	s_delay_alu instid0(VALU_DEP_1) | instskip(NEXT) | instid1(VALU_DEP_1)
	v_min_u32_e32 v0, 32, v0
	v_subrev_nc_u32_e32 v16, 28, v0
	v_sub_nc_u32_e32 v0, 29, v0
	s_delay_alu instid0(VALU_DEP_2) | instskip(NEXT) | instid1(VALU_DEP_1)
	v_lshlrev_b64_e32 v[16:17], v16, v[2:3]
	v_and_b32_e32 v16, 7, v16
; %bb.5767:                             ;   in Loop: Header=BB6_4246 Depth=3
	s_or_b32 exec_lo, exec_lo, s74
	v_lshlrev_b32_e32 v2, 16, v12
	s_delay_alu instid0(VALU_DEP_2) | instskip(SKIP_1) | instid1(VALU_DEP_3)
	v_lshlrev_b32_e32 v16, 20, v16
	v_lshl_add_u32 v0, v0, 23, 0x3c000000
	v_and_b32_e32 v2, 0x80000000, v2
	s_delay_alu instid0(VALU_DEP_1)
	v_or3_b32 v19, v16, v2, v0
.LBB6_5768:                             ;   in Loop: Header=BB6_4246 Depth=3
	s_or_b32 exec_lo, exec_lo, s45
.LBB6_5769:                             ;   in Loop: Header=BB6_4246 Depth=3
	s_delay_alu instid0(SALU_CYCLE_1)
	s_or_b32 exec_lo, exec_lo, s44
.LBB6_5770:                             ;   in Loop: Header=BB6_4246 Depth=3
	s_delay_alu instid0(SALU_CYCLE_1) | instskip(SKIP_2) | instid1(VALU_DEP_1)
	s_or_b32 exec_lo, exec_lo, s13
	v_lshrrev_b16 v0, 8, v8
	s_mov_b32 s13, exec_lo
	v_cmpx_ne_u16_e32 0, v0
	s_cbranch_execz .LBB6_5778
; %bb.5771:                             ;   in Loop: Header=BB6_4246 Depth=3
	v_bfrev_b32_e32 v18, 1
	s_mov_b32 s44, exec_lo
	v_cmpx_ne_u16_e32 0x80, v0
	s_cbranch_execz .LBB6_5777
; %bb.5772:                             ;   in Loop: Header=BB6_4246 Depth=3
	v_and_b32_e32 v0, 0xffff, v0
	v_mov_b32_e32 v18, 0x7f800001
	s_mov_b32 s45, exec_lo
	s_delay_alu instid0(VALU_DEP_2) | instskip(NEXT) | instid1(VALU_DEP_1)
	v_and_b32_e32 v16, 0x7f, v0
	v_cmpx_ne_u32_e32 0x7f, v16
	s_cbranch_execz .LBB6_5776
; %bb.5773:                             ;   in Loop: Header=BB6_4246 Depth=3
	v_and_b32_e32 v2, 7, v0
	v_lshrrev_b32_e32 v0, 3, v16
	v_cmp_gt_u32_e32 vcc_lo, 8, v16
	s_delay_alu instid0(VALU_DEP_3)
	v_mov_b64_e32 v[16:17], v[2:3]
	s_and_saveexec_b32 s74, vcc_lo
; %bb.5774:                             ;   in Loop: Header=BB6_4246 Depth=3
	v_clz_i32_u32_e32 v0, v2
	s_delay_alu instid0(VALU_DEP_1) | instskip(NEXT) | instid1(VALU_DEP_1)
	v_min_u32_e32 v0, 32, v0
	v_subrev_nc_u32_e32 v16, 28, v0
	v_sub_nc_u32_e32 v0, 29, v0
	s_delay_alu instid0(VALU_DEP_2) | instskip(NEXT) | instid1(VALU_DEP_1)
	v_lshlrev_b64_e32 v[16:17], v16, v[2:3]
	v_and_b32_e32 v16, 7, v16
; %bb.5775:                             ;   in Loop: Header=BB6_4246 Depth=3
	s_or_b32 exec_lo, exec_lo, s74
	v_lshlrev_b32_e32 v2, 16, v8
	s_delay_alu instid0(VALU_DEP_2) | instskip(SKIP_1) | instid1(VALU_DEP_3)
	v_lshlrev_b32_e32 v16, 20, v16
	v_lshl_add_u32 v0, v0, 23, 0x3c000000
	v_and_b32_e32 v2, 0x80000000, v2
	s_delay_alu instid0(VALU_DEP_1)
	v_or3_b32 v18, v16, v2, v0
.LBB6_5776:                             ;   in Loop: Header=BB6_4246 Depth=3
	s_or_b32 exec_lo, exec_lo, s45
.LBB6_5777:                             ;   in Loop: Header=BB6_4246 Depth=3
	s_delay_alu instid0(SALU_CYCLE_1)
	s_or_b32 exec_lo, exec_lo, s44
.LBB6_5778:                             ;   in Loop: Header=BB6_4246 Depth=3
	s_delay_alu instid0(SALU_CYCLE_1) | instskip(NEXT) | instid1(VALU_DEP_1)
	s_or_b32 exec_lo, exec_lo, s13
	v_add_f32_e32 v0, v19, v18
                                        ; implicit-def: $vgpr23
	s_mov_b32 s13, exec_lo
	s_delay_alu instid0(VALU_DEP_1) | instskip(SKIP_1) | instid1(VALU_DEP_2)
	v_and_b32_e32 v2, 0x7f800000, v0
	v_lshrrev_b32_e32 v16, 24, v0
	v_cmpx_ne_u64_e32 0x7f800000, v[2:3]
	s_xor_b32 s44, exec_lo, s13
	s_cbranch_execz .LBB6_5792
; %bb.5779:                             ;   in Loop: Header=BB6_4246 Depth=3
	v_and_b32_e32 v2, 0x7fffffff, v0
	v_and_b32_e32 v66, 0x80, v16
                                        ; implicit-def: $vgpr23
	s_mov_b32 s13, exec_lo
	s_delay_alu instid0(VALU_DEP_2)
	v_cmpx_gt_u64_e32 0x43e00001, v[2:3]
	s_xor_b32 s45, exec_lo, s13
	s_cbranch_execz .LBB6_5789
; %bb.5780:                             ;   in Loop: Header=BB6_4246 Depth=3
	v_mov_b32_e32 v23, 0
	s_mov_b32 s74, exec_lo
	v_cmpx_ne_u32_e32 0, v0
	s_cbranch_execz .LBB6_5788
; %bb.5781:                             ;   in Loop: Header=BB6_4246 Depth=3
	v_bfe_u32 v23, v0, 23, 8
	v_and_b32_e32 v2, 0x7fffff, v0
	s_delay_alu instid0(VALU_DEP_2) | instskip(SKIP_2) | instid1(VALU_DEP_4)
	v_cmp_gt_u32_e64 s13, 0x7a, v23
	v_sub_nc_u32_e32 v0, 0x79, v23
	v_cmp_eq_u32_e32 vcc_lo, 0, v23
	v_or_b32_e32 v16, 0x800000, v2
	s_delay_alu instid0(VALU_DEP_1) | instskip(NEXT) | instid1(VALU_DEP_1)
	v_dual_cndmask_b32 v0, 0, v0, s13 :: v_dual_cndmask_b32 v2, v16, v2, vcc_lo
	v_cndmask_b32_e64 v0, v0, 0x78, vcc_lo
	s_delay_alu instid0(VALU_DEP_1) | instskip(NEXT) | instid1(VALU_DEP_1)
	v_dual_add_nc_u32 v16, 20, v0 :: v_dual_add_nc_u32 v18, 19, v0
	v_lshlrev_b64_e64 v[16:17], v16, -1
	s_delay_alu instid0(VALU_DEP_2) | instskip(NEXT) | instid1(VALU_DEP_2)
	v_lshlrev_b64_e64 v[18:19], v18, 1
	v_bfi_b32 v17, v17, 0, 0
	s_delay_alu instid0(VALU_DEP_3) | instskip(NEXT) | instid1(VALU_DEP_1)
	v_bfi_b32 v16, v16, 0, v2
	v_cmp_eq_u64_e64 s13, v[16:17], v[18:19]
	v_lshrrev_b64 v[16:17], v0, v[2:3]
	s_delay_alu instid0(VALU_DEP_1)
	v_mov_b64_e32 v[18:19], v[16:17]
	s_and_saveexec_b32 s75, s13
; %bb.5782:                             ;   in Loop: Header=BB6_4246 Depth=3
	v_bfe_u32 v2, v16, 20, 1
	s_delay_alu instid0(VALU_DEP_1) | instskip(NEXT) | instid1(VALU_DEP_1)
	v_add_nc_u64_e32 v[18:19], v[16:17], v[2:3]
	v_add_nc_u64_e32 v[18:19], -1, v[18:19]
; %bb.5783:                             ;   in Loop: Header=BB6_4246 Depth=3
	s_or_b32 exec_lo, exec_lo, s75
	v_add_nc_u32_e32 v2, 0xffffff81, v23
	v_lshrrev_b32_e32 v17, 23, v16
	s_mov_b32 s13, exec_lo
	s_delay_alu instid0(VALU_DEP_2) | instskip(NEXT) | instid1(VALU_DEP_1)
	v_cndmask_b32_e64 v2, v2, 0xffffff82, vcc_lo
	v_add3_u32 v19, v0, v2, v17
	v_and_b32_e32 v0, 0xfffff, v18
	s_delay_alu instid0(VALU_DEP_1) | instskip(NEXT) | instid1(VALU_DEP_1)
	v_dual_add_nc_u32 v18, 6, v19 :: v_dual_add_nc_u32 v2, v0, v16
                                        ; implicit-def: $vgpr16_vgpr17
                                        ; implicit-def: $vgpr0
	v_cmpx_ne_u32_e32 0, v18
	s_xor_b32 s13, exec_lo, s13
; %bb.5784:                             ;   in Loop: Header=BB6_4246 Depth=3
	s_delay_alu instid0(VALU_DEP_2) | instskip(SKIP_2) | instid1(VALU_DEP_2)
	v_cmp_lt_u64_e32 vcc_lo, 0xffffff, v[2:3]
	v_add_nc_u32_e32 v0, 7, v19
	v_cndmask_b32_e64 v16, 0, 1, vcc_lo
	v_cndmask_b32_e32 v0, v18, v0, vcc_lo
	s_delay_alu instid0(VALU_DEP_2)
	v_lshrrev_b64 v[16:17], v16, v[2:3]
; %bb.5785:                             ;   in Loop: Header=BB6_4246 Depth=3
	s_and_not1_saveexec_b32 s13, s13
; %bb.5786:                             ;   in Loop: Header=BB6_4246 Depth=3
	v_mov_b64_e32 v[16:17], v[2:3]
	v_bfe_u32 v0, v2, 23, 1
; %bb.5787:                             ;   in Loop: Header=BB6_4246 Depth=3
	s_or_b32 exec_lo, exec_lo, s13
	s_delay_alu instid0(VALU_DEP_2) | instskip(NEXT) | instid1(VALU_DEP_2)
	v_lshrrev_b64 v[16:17], 20, v[16:17]
	v_cmp_gt_i32_e32 vcc_lo, 16, v0
	v_min_i32_e32 v2, 15, v0
	v_cmp_eq_u32_e64 s13, 0, v0
	s_delay_alu instid0(VALU_DEP_2) | instskip(SKIP_1) | instid1(VALU_DEP_2)
	v_dual_cndmask_b32 v17, 0, v17 :: v_dual_lshlrev_b32 v2, 3, v2
	v_cndmask_b32_e32 v16, 7, v16, vcc_lo
	v_and_b32_e32 v2, 0xf8, v2
	s_delay_alu instid0(VALU_DEP_2) | instskip(NEXT) | instid1(VALU_DEP_2)
	v_cmp_eq_u64_e32 vcc_lo, 0, v[16:17]
	v_and_or_b32 v0, v16, 7, v2
	s_and_b32 s13, s13, vcc_lo
	s_delay_alu instid0(VALU_DEP_1) | instid1(SALU_CYCLE_1)
	v_cndmask_b32_e64 v0, v0, 0, s13
	s_delay_alu instid0(VALU_DEP_1)
	v_or_b32_e32 v23, v0, v66
.LBB6_5788:                             ;   in Loop: Header=BB6_4246 Depth=3
	s_or_b32 exec_lo, exec_lo, s74
                                        ; implicit-def: $vgpr66
.LBB6_5789:                             ;   in Loop: Header=BB6_4246 Depth=3
	s_and_not1_saveexec_b32 s13, s45
; %bb.5790:                             ;   in Loop: Header=BB6_4246 Depth=3
	v_or_b32_e32 v23, 0x7e, v66
; %bb.5791:                             ;   in Loop: Header=BB6_4246 Depth=3
	s_or_b32 exec_lo, exec_lo, s13
                                        ; implicit-def: $vgpr16
.LBB6_5792:                             ;   in Loop: Header=BB6_4246 Depth=3
	s_and_not1_saveexec_b32 s13, s44
; %bb.5793:                             ;   in Loop: Header=BB6_4246 Depth=3
	v_or_b32_e32 v23, 0x7f, v16
; %bb.5794:                             ;   in Loop: Header=BB6_4246 Depth=3
	s_or_b32 exec_lo, exec_lo, s13
	v_dual_lshrrev_b32 v0, 16, v12 :: v_dual_mov_b32 v18, 0
	v_mov_b32_e32 v19, 0
	s_mov_b32 s13, exec_lo
	s_delay_alu instid0(VALU_DEP_2) | instskip(NEXT) | instid1(VALU_DEP_1)
	v_and_b32_e32 v2, 0xff, v0
	v_cmpx_ne_u16_e32 0, v2
	s_cbranch_execz .LBB6_5802
; %bb.5795:                             ;   in Loop: Header=BB6_4246 Depth=3
	v_bfrev_b32_e32 v19, 1
	s_mov_b32 s44, exec_lo
	v_cmpx_ne_u16_e32 0x80, v2
	s_cbranch_execz .LBB6_5801
; %bb.5796:                             ;   in Loop: Header=BB6_4246 Depth=3
	v_bfe_u32 v16, v12, 16, 7
	v_mov_b32_e32 v19, 0x7f800001
	s_mov_b32 s45, exec_lo
	s_delay_alu instid0(VALU_DEP_2)
	v_cmpx_ne_u32_e32 0x7f, v16
	s_cbranch_execz .LBB6_5800
; %bb.5797:                             ;   in Loop: Header=BB6_4246 Depth=3
	v_and_b32_e32 v2, 7, v0
	v_lshrrev_b32_e32 v19, 3, v16
	v_cmp_gt_u32_e32 vcc_lo, 8, v16
	s_delay_alu instid0(VALU_DEP_3)
	v_mov_b64_e32 v[16:17], v[2:3]
	s_and_saveexec_b32 s74, vcc_lo
; %bb.5798:                             ;   in Loop: Header=BB6_4246 Depth=3
	v_clz_i32_u32_e32 v16, v2
	s_delay_alu instid0(VALU_DEP_1) | instskip(NEXT) | instid1(VALU_DEP_1)
	v_min_u32_e32 v19, 32, v16
	v_subrev_nc_u32_e32 v16, 28, v19
	s_delay_alu instid0(VALU_DEP_1) | instskip(NEXT) | instid1(VALU_DEP_1)
	v_lshlrev_b64_e32 v[16:17], v16, v[2:3]
	v_dual_sub_nc_u32 v19, 29, v19 :: v_dual_bitop2_b32 v16, 7, v16 bitop3:0x40
; %bb.5799:                             ;   in Loop: Header=BB6_4246 Depth=3
	s_or_b32 exec_lo, exec_lo, s74
	v_lshlrev_b32_e32 v0, 24, v0
	s_delay_alu instid0(VALU_DEP_2) | instskip(NEXT) | instid1(VALU_DEP_3)
	v_lshlrev_b32_e32 v2, 20, v16
	v_lshl_add_u32 v16, v19, 23, 0x3c000000
	s_delay_alu instid0(VALU_DEP_3) | instskip(NEXT) | instid1(VALU_DEP_1)
	v_and_b32_e32 v0, 0x80000000, v0
	v_or3_b32 v19, v2, v0, v16
.LBB6_5800:                             ;   in Loop: Header=BB6_4246 Depth=3
	s_or_b32 exec_lo, exec_lo, s45
.LBB6_5801:                             ;   in Loop: Header=BB6_4246 Depth=3
	s_delay_alu instid0(SALU_CYCLE_1)
	s_or_b32 exec_lo, exec_lo, s44
.LBB6_5802:                             ;   in Loop: Header=BB6_4246 Depth=3
	s_delay_alu instid0(SALU_CYCLE_1) | instskip(SKIP_2) | instid1(VALU_DEP_1)
	s_or_b32 exec_lo, exec_lo, s13
	v_lshrrev_b32_e32 v0, 16, v8
	s_mov_b32 s13, exec_lo
	v_and_b32_e32 v2, 0xff, v0
	s_delay_alu instid0(VALU_DEP_1)
	v_cmpx_ne_u16_e32 0, v2
	s_cbranch_execz .LBB6_5810
; %bb.5803:                             ;   in Loop: Header=BB6_4246 Depth=3
	v_bfrev_b32_e32 v18, 1
	s_mov_b32 s44, exec_lo
	v_cmpx_ne_u16_e32 0x80, v2
	s_cbranch_execz .LBB6_5809
; %bb.5804:                             ;   in Loop: Header=BB6_4246 Depth=3
	v_bfe_u32 v16, v8, 16, 7
	v_mov_b32_e32 v18, 0x7f800001
	s_mov_b32 s45, exec_lo
	s_delay_alu instid0(VALU_DEP_2)
	v_cmpx_ne_u32_e32 0x7f, v16
	s_cbranch_execz .LBB6_5808
; %bb.5805:                             ;   in Loop: Header=BB6_4246 Depth=3
	v_and_b32_e32 v2, 7, v0
	v_lshrrev_b32_e32 v0, 3, v16
	v_cmp_gt_u32_e32 vcc_lo, 8, v16
	s_delay_alu instid0(VALU_DEP_3)
	v_mov_b64_e32 v[16:17], v[2:3]
	s_and_saveexec_b32 s74, vcc_lo
; %bb.5806:                             ;   in Loop: Header=BB6_4246 Depth=3
	v_clz_i32_u32_e32 v0, v2
	s_delay_alu instid0(VALU_DEP_1) | instskip(NEXT) | instid1(VALU_DEP_1)
	v_min_u32_e32 v0, 32, v0
	v_subrev_nc_u32_e32 v16, 28, v0
	v_sub_nc_u32_e32 v0, 29, v0
	s_delay_alu instid0(VALU_DEP_2) | instskip(NEXT) | instid1(VALU_DEP_1)
	v_lshlrev_b64_e32 v[16:17], v16, v[2:3]
	v_and_b32_e32 v16, 7, v16
; %bb.5807:                             ;   in Loop: Header=BB6_4246 Depth=3
	s_or_b32 exec_lo, exec_lo, s74
	v_lshlrev_b32_e32 v2, 8, v8
	s_delay_alu instid0(VALU_DEP_2) | instskip(SKIP_1) | instid1(VALU_DEP_3)
	v_lshlrev_b32_e32 v16, 20, v16
	v_lshl_add_u32 v0, v0, 23, 0x3c000000
	v_and_b32_e32 v2, 0x80000000, v2
	s_delay_alu instid0(VALU_DEP_1)
	v_or3_b32 v18, v16, v2, v0
.LBB6_5808:                             ;   in Loop: Header=BB6_4246 Depth=3
	s_or_b32 exec_lo, exec_lo, s45
.LBB6_5809:                             ;   in Loop: Header=BB6_4246 Depth=3
	s_delay_alu instid0(SALU_CYCLE_1)
	s_or_b32 exec_lo, exec_lo, s44
.LBB6_5810:                             ;   in Loop: Header=BB6_4246 Depth=3
	s_delay_alu instid0(SALU_CYCLE_1) | instskip(NEXT) | instid1(VALU_DEP_1)
	s_or_b32 exec_lo, exec_lo, s13
	v_add_f32_e32 v0, v19, v18
                                        ; implicit-def: $vgpr57
	s_mov_b32 s13, exec_lo
	s_delay_alu instid0(VALU_DEP_1) | instskip(SKIP_1) | instid1(VALU_DEP_2)
	v_and_b32_e32 v2, 0x7f800000, v0
	v_lshrrev_b32_e32 v16, 24, v0
	v_cmpx_ne_u64_e32 0x7f800000, v[2:3]
	s_xor_b32 s44, exec_lo, s13
	s_cbranch_execz .LBB6_5824
; %bb.5811:                             ;   in Loop: Header=BB6_4246 Depth=3
	v_and_b32_e32 v2, 0x7fffffff, v0
	v_and_b32_e32 v66, 0x80, v16
                                        ; implicit-def: $vgpr57
	s_mov_b32 s13, exec_lo
	s_delay_alu instid0(VALU_DEP_2)
	v_cmpx_gt_u64_e32 0x43e00001, v[2:3]
	s_xor_b32 s45, exec_lo, s13
	s_cbranch_execz .LBB6_5821
; %bb.5812:                             ;   in Loop: Header=BB6_4246 Depth=3
	v_mov_b32_e32 v57, 0
	s_mov_b32 s74, exec_lo
	v_cmpx_ne_u32_e32 0, v0
	s_cbranch_execz .LBB6_5820
; %bb.5813:                             ;   in Loop: Header=BB6_4246 Depth=3
	v_bfe_u32 v67, v0, 23, 8
	v_and_b32_e32 v2, 0x7fffff, v0
	s_delay_alu instid0(VALU_DEP_2) | instskip(SKIP_2) | instid1(VALU_DEP_4)
	v_cmp_gt_u32_e64 s13, 0x7a, v67
	v_sub_nc_u32_e32 v0, 0x79, v67
	v_cmp_eq_u32_e32 vcc_lo, 0, v67
	v_or_b32_e32 v16, 0x800000, v2
	s_delay_alu instid0(VALU_DEP_1) | instskip(NEXT) | instid1(VALU_DEP_1)
	v_dual_cndmask_b32 v0, 0, v0, s13 :: v_dual_cndmask_b32 v2, v16, v2, vcc_lo
	v_cndmask_b32_e64 v0, v0, 0x78, vcc_lo
	s_delay_alu instid0(VALU_DEP_1) | instskip(NEXT) | instid1(VALU_DEP_1)
	v_dual_add_nc_u32 v16, 20, v0 :: v_dual_add_nc_u32 v18, 19, v0
	v_lshlrev_b64_e64 v[16:17], v16, -1
	s_delay_alu instid0(VALU_DEP_2) | instskip(NEXT) | instid1(VALU_DEP_2)
	v_lshlrev_b64_e64 v[18:19], v18, 1
	v_bfi_b32 v17, v17, 0, 0
	s_delay_alu instid0(VALU_DEP_3) | instskip(NEXT) | instid1(VALU_DEP_1)
	v_bfi_b32 v16, v16, 0, v2
	v_cmp_eq_u64_e64 s13, v[16:17], v[18:19]
	v_lshrrev_b64 v[16:17], v0, v[2:3]
	s_delay_alu instid0(VALU_DEP_1)
	v_mov_b64_e32 v[18:19], v[16:17]
	s_and_saveexec_b32 s75, s13
; %bb.5814:                             ;   in Loop: Header=BB6_4246 Depth=3
	v_bfe_u32 v2, v16, 20, 1
	s_delay_alu instid0(VALU_DEP_1) | instskip(NEXT) | instid1(VALU_DEP_1)
	v_add_nc_u64_e32 v[18:19], v[16:17], v[2:3]
	v_add_nc_u64_e32 v[18:19], -1, v[18:19]
; %bb.5815:                             ;   in Loop: Header=BB6_4246 Depth=3
	s_or_b32 exec_lo, exec_lo, s75
	v_add_nc_u32_e32 v2, 0xffffff81, v67
	v_lshrrev_b32_e32 v17, 23, v16
	s_mov_b32 s13, exec_lo
	s_delay_alu instid0(VALU_DEP_2) | instskip(NEXT) | instid1(VALU_DEP_1)
	v_cndmask_b32_e64 v2, v2, 0xffffff82, vcc_lo
	v_add3_u32 v19, v0, v2, v17
	v_and_b32_e32 v0, 0xfffff, v18
	s_delay_alu instid0(VALU_DEP_1) | instskip(NEXT) | instid1(VALU_DEP_1)
	v_dual_add_nc_u32 v18, 6, v19 :: v_dual_add_nc_u32 v2, v0, v16
                                        ; implicit-def: $vgpr16_vgpr17
                                        ; implicit-def: $vgpr0
	v_cmpx_ne_u32_e32 0, v18
	s_xor_b32 s13, exec_lo, s13
; %bb.5816:                             ;   in Loop: Header=BB6_4246 Depth=3
	s_delay_alu instid0(VALU_DEP_2) | instskip(SKIP_2) | instid1(VALU_DEP_2)
	v_cmp_lt_u64_e32 vcc_lo, 0xffffff, v[2:3]
	v_add_nc_u32_e32 v0, 7, v19
	v_cndmask_b32_e64 v16, 0, 1, vcc_lo
	v_cndmask_b32_e32 v0, v18, v0, vcc_lo
	s_delay_alu instid0(VALU_DEP_2)
	v_lshrrev_b64 v[16:17], v16, v[2:3]
; %bb.5817:                             ;   in Loop: Header=BB6_4246 Depth=3
	s_and_not1_saveexec_b32 s13, s13
; %bb.5818:                             ;   in Loop: Header=BB6_4246 Depth=3
	v_mov_b64_e32 v[16:17], v[2:3]
	v_bfe_u32 v0, v2, 23, 1
; %bb.5819:                             ;   in Loop: Header=BB6_4246 Depth=3
	s_or_b32 exec_lo, exec_lo, s13
	s_delay_alu instid0(VALU_DEP_2) | instskip(NEXT) | instid1(VALU_DEP_2)
	v_lshrrev_b64 v[16:17], 20, v[16:17]
	v_cmp_gt_i32_e32 vcc_lo, 16, v0
	v_min_i32_e32 v2, 15, v0
	v_cmp_eq_u32_e64 s13, 0, v0
	s_delay_alu instid0(VALU_DEP_2) | instskip(SKIP_1) | instid1(VALU_DEP_2)
	v_dual_cndmask_b32 v17, 0, v17 :: v_dual_lshlrev_b32 v2, 3, v2
	v_cndmask_b32_e32 v16, 7, v16, vcc_lo
	v_and_b32_e32 v2, 0xf8, v2
	s_delay_alu instid0(VALU_DEP_2) | instskip(NEXT) | instid1(VALU_DEP_2)
	v_cmp_eq_u64_e32 vcc_lo, 0, v[16:17]
	v_and_or_b32 v0, v16, 7, v2
	s_and_b32 s13, s13, vcc_lo
	s_delay_alu instid0(VALU_DEP_1) | instid1(SALU_CYCLE_1)
	v_cndmask_b32_e64 v0, v0, 0, s13
	s_delay_alu instid0(VALU_DEP_1)
	v_or_b32_e32 v57, v0, v66
.LBB6_5820:                             ;   in Loop: Header=BB6_4246 Depth=3
	s_or_b32 exec_lo, exec_lo, s74
                                        ; implicit-def: $vgpr66
.LBB6_5821:                             ;   in Loop: Header=BB6_4246 Depth=3
	s_and_not1_saveexec_b32 s13, s45
; %bb.5822:                             ;   in Loop: Header=BB6_4246 Depth=3
	v_or_b32_e32 v57, 0x7e, v66
; %bb.5823:                             ;   in Loop: Header=BB6_4246 Depth=3
	s_or_b32 exec_lo, exec_lo, s13
                                        ; implicit-def: $vgpr16
.LBB6_5824:                             ;   in Loop: Header=BB6_4246 Depth=3
	s_and_not1_saveexec_b32 s13, s44
; %bb.5825:                             ;   in Loop: Header=BB6_4246 Depth=3
	v_or_b32_e32 v57, 0x7f, v16
; %bb.5826:                             ;   in Loop: Header=BB6_4246 Depth=3
	s_or_b32 exec_lo, exec_lo, s13
	v_dual_mov_b32 v18, 0 :: v_dual_mov_b32 v19, 0
	s_mov_b32 s13, exec_lo
	v_cmpx_lt_u32_e32 0xffffff, v12
	s_cbranch_execz .LBB6_5834
; %bb.5827:                             ;   in Loop: Header=BB6_4246 Depth=3
	v_lshrrev_b32_e32 v0, 24, v12
	v_bfrev_b32_e32 v19, 1
	s_mov_b32 s44, exec_lo
	s_delay_alu instid0(VALU_DEP_2)
	v_cmpx_ne_u32_e32 0x80, v0
	s_cbranch_execz .LBB6_5833
; %bb.5828:                             ;   in Loop: Header=BB6_4246 Depth=3
	v_bfe_u32 v16, v12, 24, 7
	v_mov_b32_e32 v19, 0x7f800001
	s_mov_b32 s45, exec_lo
	s_delay_alu instid0(VALU_DEP_2)
	v_cmpx_ne_u32_e32 0x7f, v16
	s_cbranch_execz .LBB6_5832
; %bb.5829:                             ;   in Loop: Header=BB6_4246 Depth=3
	v_and_b32_e32 v2, 7, v0
	v_lshrrev_b32_e32 v19, 3, v16
	v_cmp_gt_u32_e32 vcc_lo, 8, v16
	s_delay_alu instid0(VALU_DEP_3)
	v_mov_b64_e32 v[16:17], v[2:3]
	s_and_saveexec_b32 s74, vcc_lo
; %bb.5830:                             ;   in Loop: Header=BB6_4246 Depth=3
	v_clz_i32_u32_e32 v16, v2
	s_delay_alu instid0(VALU_DEP_1) | instskip(NEXT) | instid1(VALU_DEP_1)
	v_min_u32_e32 v19, 32, v16
	v_subrev_nc_u32_e32 v16, 28, v19
	s_delay_alu instid0(VALU_DEP_1) | instskip(NEXT) | instid1(VALU_DEP_1)
	v_lshlrev_b64_e32 v[16:17], v16, v[2:3]
	v_dual_sub_nc_u32 v19, 29, v19 :: v_dual_bitop2_b32 v16, 7, v16 bitop3:0x40
; %bb.5831:                             ;   in Loop: Header=BB6_4246 Depth=3
	s_or_b32 exec_lo, exec_lo, s74
	v_lshlrev_b32_e32 v0, 24, v0
	s_delay_alu instid0(VALU_DEP_2) | instskip(NEXT) | instid1(VALU_DEP_3)
	v_lshlrev_b32_e32 v2, 20, v16
	v_lshl_add_u32 v16, v19, 23, 0x3c000000
	s_delay_alu instid0(VALU_DEP_3) | instskip(NEXT) | instid1(VALU_DEP_1)
	v_and_b32_e32 v0, 0x80000000, v0
	v_or3_b32 v19, v2, v0, v16
.LBB6_5832:                             ;   in Loop: Header=BB6_4246 Depth=3
	s_or_b32 exec_lo, exec_lo, s45
.LBB6_5833:                             ;   in Loop: Header=BB6_4246 Depth=3
	s_delay_alu instid0(SALU_CYCLE_1)
	s_or_b32 exec_lo, exec_lo, s44
.LBB6_5834:                             ;   in Loop: Header=BB6_4246 Depth=3
	s_delay_alu instid0(SALU_CYCLE_1) | instskip(NEXT) | instid1(SALU_CYCLE_1)
	s_or_b32 exec_lo, exec_lo, s13
	s_mov_b32 s13, exec_lo
	v_cmpx_lt_u32_e32 0xffffff, v8
	s_cbranch_execz .LBB6_5842
; %bb.5835:                             ;   in Loop: Header=BB6_4246 Depth=3
	v_lshrrev_b32_e32 v0, 24, v8
	v_bfrev_b32_e32 v18, 1
	s_mov_b32 s44, exec_lo
	s_delay_alu instid0(VALU_DEP_2)
	v_cmpx_ne_u32_e32 0x80, v0
	s_cbranch_execz .LBB6_5841
; %bb.5836:                             ;   in Loop: Header=BB6_4246 Depth=3
	v_bfe_u32 v16, v8, 24, 7
	v_mov_b32_e32 v18, 0x7f800001
	s_mov_b32 s45, exec_lo
	s_delay_alu instid0(VALU_DEP_2)
	v_cmpx_ne_u32_e32 0x7f, v16
	s_cbranch_execz .LBB6_5840
; %bb.5837:                             ;   in Loop: Header=BB6_4246 Depth=3
	v_and_b32_e32 v2, 7, v0
	v_lshrrev_b32_e32 v18, 3, v16
	v_cmp_gt_u32_e32 vcc_lo, 8, v16
	s_delay_alu instid0(VALU_DEP_3)
	v_mov_b64_e32 v[16:17], v[2:3]
	s_and_saveexec_b32 s74, vcc_lo
; %bb.5838:                             ;   in Loop: Header=BB6_4246 Depth=3
	v_clz_i32_u32_e32 v16, v2
	s_delay_alu instid0(VALU_DEP_1) | instskip(NEXT) | instid1(VALU_DEP_1)
	v_min_u32_e32 v18, 32, v16
	v_subrev_nc_u32_e32 v16, 28, v18
	s_delay_alu instid0(VALU_DEP_1) | instskip(NEXT) | instid1(VALU_DEP_1)
	v_lshlrev_b64_e32 v[16:17], v16, v[2:3]
	v_dual_sub_nc_u32 v18, 29, v18 :: v_dual_bitop2_b32 v16, 7, v16 bitop3:0x40
; %bb.5839:                             ;   in Loop: Header=BB6_4246 Depth=3
	s_or_b32 exec_lo, exec_lo, s74
	v_lshlrev_b32_e32 v0, 24, v0
	s_delay_alu instid0(VALU_DEP_2) | instskip(NEXT) | instid1(VALU_DEP_3)
	v_lshlrev_b32_e32 v2, 20, v16
	v_lshl_add_u32 v16, v18, 23, 0x3c000000
	s_delay_alu instid0(VALU_DEP_3) | instskip(NEXT) | instid1(VALU_DEP_1)
	v_and_b32_e32 v0, 0x80000000, v0
	v_or3_b32 v18, v2, v0, v16
.LBB6_5840:                             ;   in Loop: Header=BB6_4246 Depth=3
	s_or_b32 exec_lo, exec_lo, s45
.LBB6_5841:                             ;   in Loop: Header=BB6_4246 Depth=3
	s_delay_alu instid0(SALU_CYCLE_1)
	s_or_b32 exec_lo, exec_lo, s44
.LBB6_5842:                             ;   in Loop: Header=BB6_4246 Depth=3
	s_delay_alu instid0(SALU_CYCLE_1) | instskip(NEXT) | instid1(VALU_DEP_1)
	s_or_b32 exec_lo, exec_lo, s13
	v_add_f32_e32 v0, v19, v18
                                        ; implicit-def: $vgpr46
	s_mov_b32 s13, exec_lo
	s_delay_alu instid0(VALU_DEP_1) | instskip(SKIP_1) | instid1(VALU_DEP_2)
	v_and_b32_e32 v2, 0x7f800000, v0
	v_lshrrev_b32_e32 v16, 24, v0
	v_cmpx_ne_u64_e32 0x7f800000, v[2:3]
	s_xor_b32 s44, exec_lo, s13
	s_cbranch_execz .LBB6_5856
; %bb.5843:                             ;   in Loop: Header=BB6_4246 Depth=3
	v_and_b32_e32 v2, 0x7fffffff, v0
	v_and_b32_e32 v66, 0x80, v16
                                        ; implicit-def: $vgpr46
	s_mov_b32 s13, exec_lo
	s_delay_alu instid0(VALU_DEP_2)
	v_cmpx_gt_u64_e32 0x43e00001, v[2:3]
	s_xor_b32 s45, exec_lo, s13
	s_cbranch_execz .LBB6_5853
; %bb.5844:                             ;   in Loop: Header=BB6_4246 Depth=3
	v_mov_b32_e32 v46, 0
	s_mov_b32 s74, exec_lo
	v_cmpx_ne_u32_e32 0, v0
	s_cbranch_execz .LBB6_5852
; %bb.5845:                             ;   in Loop: Header=BB6_4246 Depth=3
	v_bfe_u32 v67, v0, 23, 8
	v_and_b32_e32 v2, 0x7fffff, v0
	s_delay_alu instid0(VALU_DEP_2) | instskip(SKIP_2) | instid1(VALU_DEP_4)
	v_cmp_gt_u32_e64 s13, 0x7a, v67
	v_sub_nc_u32_e32 v0, 0x79, v67
	v_cmp_eq_u32_e32 vcc_lo, 0, v67
	v_or_b32_e32 v16, 0x800000, v2
	s_delay_alu instid0(VALU_DEP_1) | instskip(NEXT) | instid1(VALU_DEP_1)
	v_dual_cndmask_b32 v0, 0, v0, s13 :: v_dual_cndmask_b32 v2, v16, v2, vcc_lo
	v_cndmask_b32_e64 v0, v0, 0x78, vcc_lo
	s_delay_alu instid0(VALU_DEP_1) | instskip(NEXT) | instid1(VALU_DEP_1)
	v_dual_add_nc_u32 v16, 20, v0 :: v_dual_add_nc_u32 v18, 19, v0
	v_lshlrev_b64_e64 v[16:17], v16, -1
	s_delay_alu instid0(VALU_DEP_2) | instskip(NEXT) | instid1(VALU_DEP_2)
	v_lshlrev_b64_e64 v[18:19], v18, 1
	v_bfi_b32 v17, v17, 0, 0
	s_delay_alu instid0(VALU_DEP_3) | instskip(NEXT) | instid1(VALU_DEP_1)
	v_bfi_b32 v16, v16, 0, v2
	v_cmp_eq_u64_e64 s13, v[16:17], v[18:19]
	v_lshrrev_b64 v[16:17], v0, v[2:3]
	s_delay_alu instid0(VALU_DEP_1)
	v_mov_b64_e32 v[18:19], v[16:17]
	s_and_saveexec_b32 s75, s13
; %bb.5846:                             ;   in Loop: Header=BB6_4246 Depth=3
	v_bfe_u32 v2, v16, 20, 1
	s_delay_alu instid0(VALU_DEP_1) | instskip(NEXT) | instid1(VALU_DEP_1)
	v_add_nc_u64_e32 v[18:19], v[16:17], v[2:3]
	v_add_nc_u64_e32 v[18:19], -1, v[18:19]
; %bb.5847:                             ;   in Loop: Header=BB6_4246 Depth=3
	s_or_b32 exec_lo, exec_lo, s75
	v_add_nc_u32_e32 v2, 0xffffff81, v67
	v_lshrrev_b32_e32 v17, 23, v16
	s_mov_b32 s13, exec_lo
	s_delay_alu instid0(VALU_DEP_2) | instskip(NEXT) | instid1(VALU_DEP_1)
	v_cndmask_b32_e64 v2, v2, 0xffffff82, vcc_lo
	v_add3_u32 v19, v0, v2, v17
	v_and_b32_e32 v0, 0xfffff, v18
	s_delay_alu instid0(VALU_DEP_1) | instskip(NEXT) | instid1(VALU_DEP_1)
	v_dual_add_nc_u32 v18, 6, v19 :: v_dual_add_nc_u32 v2, v0, v16
                                        ; implicit-def: $vgpr16_vgpr17
                                        ; implicit-def: $vgpr0
	v_cmpx_ne_u32_e32 0, v18
	s_xor_b32 s13, exec_lo, s13
; %bb.5848:                             ;   in Loop: Header=BB6_4246 Depth=3
	s_delay_alu instid0(VALU_DEP_2) | instskip(SKIP_2) | instid1(VALU_DEP_2)
	v_cmp_lt_u64_e32 vcc_lo, 0xffffff, v[2:3]
	v_add_nc_u32_e32 v0, 7, v19
	v_cndmask_b32_e64 v16, 0, 1, vcc_lo
	v_cndmask_b32_e32 v0, v18, v0, vcc_lo
	s_delay_alu instid0(VALU_DEP_2)
	v_lshrrev_b64 v[16:17], v16, v[2:3]
; %bb.5849:                             ;   in Loop: Header=BB6_4246 Depth=3
	s_and_not1_saveexec_b32 s13, s13
; %bb.5850:                             ;   in Loop: Header=BB6_4246 Depth=3
	v_mov_b64_e32 v[16:17], v[2:3]
	v_bfe_u32 v0, v2, 23, 1
; %bb.5851:                             ;   in Loop: Header=BB6_4246 Depth=3
	s_or_b32 exec_lo, exec_lo, s13
	s_delay_alu instid0(VALU_DEP_2) | instskip(NEXT) | instid1(VALU_DEP_2)
	v_lshrrev_b64 v[16:17], 20, v[16:17]
	v_cmp_gt_i32_e32 vcc_lo, 16, v0
	v_min_i32_e32 v2, 15, v0
	v_cmp_eq_u32_e64 s13, 0, v0
	s_delay_alu instid0(VALU_DEP_2) | instskip(SKIP_1) | instid1(VALU_DEP_2)
	v_dual_cndmask_b32 v17, 0, v17 :: v_dual_lshlrev_b32 v2, 3, v2
	v_cndmask_b32_e32 v16, 7, v16, vcc_lo
	v_and_b32_e32 v2, 0xf8, v2
	s_delay_alu instid0(VALU_DEP_2) | instskip(NEXT) | instid1(VALU_DEP_2)
	v_cmp_eq_u64_e32 vcc_lo, 0, v[16:17]
	v_and_or_b32 v0, v16, 7, v2
	s_and_b32 s13, s13, vcc_lo
	s_delay_alu instid0(VALU_DEP_1) | instid1(SALU_CYCLE_1)
	v_cndmask_b32_e64 v0, v0, 0, s13
	s_delay_alu instid0(VALU_DEP_1)
	v_or_b32_e32 v46, v0, v66
.LBB6_5852:                             ;   in Loop: Header=BB6_4246 Depth=3
	s_or_b32 exec_lo, exec_lo, s74
                                        ; implicit-def: $vgpr66
.LBB6_5853:                             ;   in Loop: Header=BB6_4246 Depth=3
	s_and_not1_saveexec_b32 s13, s45
; %bb.5854:                             ;   in Loop: Header=BB6_4246 Depth=3
	v_or_b32_e32 v46, 0x7e, v66
; %bb.5855:                             ;   in Loop: Header=BB6_4246 Depth=3
	s_or_b32 exec_lo, exec_lo, s13
                                        ; implicit-def: $vgpr16
.LBB6_5856:                             ;   in Loop: Header=BB6_4246 Depth=3
	s_and_not1_saveexec_b32 s13, s44
; %bb.5857:                             ;   in Loop: Header=BB6_4246 Depth=3
	v_or_b32_e32 v46, 0x7f, v16
; %bb.5858:                             ;   in Loop: Header=BB6_4246 Depth=3
	s_or_b32 exec_lo, exec_lo, s13
	v_and_b32_e32 v0, 0xff, v13
	v_dual_mov_b32 v2, v13 :: v_dual_mov_b32 v16, 0
	v_mov_b32_e32 v17, 0
	s_mov_b32 s13, exec_lo
	s_delay_alu instid0(VALU_DEP_3)
	v_cmpx_ne_u16_e32 0, v0
	s_cbranch_execz .LBB6_5864
; %bb.5859:                             ;   in Loop: Header=BB6_4246 Depth=3
	v_bfrev_b32_e32 v17, 1
	s_mov_b32 s44, exec_lo
	v_cmpx_ne_u16_e32 0x80, v0
	s_cbranch_execz .LBB6_5863
; %bb.5860:                             ;   in Loop: Header=BB6_4246 Depth=3
	v_and_b32_e32 v0, 0x7f, v13
	v_mov_b32_e32 v17, 0x7f800001
	s_mov_b32 s45, exec_lo
	s_delay_alu instid0(VALU_DEP_2)
	v_cmpx_ne_u32_e32 0x7f, v0
	s_cbranch_execz .LBB6_5862
; %bb.5861:                             ;   in Loop: Header=BB6_4246 Depth=3
	v_dual_lshrrev_b32 v18, 3, v0 :: v_dual_bitop2_b32 v17, 7, v13 bitop3:0x40
	v_cmp_gt_u32_e32 vcc_lo, 8, v0
	s_delay_alu instid0(VALU_DEP_2) | instskip(NEXT) | instid1(VALU_DEP_1)
	v_clz_i32_u32_e32 v0, v17
	v_min_u32_e32 v0, 32, v0
	s_delay_alu instid0(VALU_DEP_1) | instskip(NEXT) | instid1(VALU_DEP_1)
	v_subrev_nc_u32_e32 v17, 28, v0
	v_dual_cndmask_b32 v17, 0, v17 :: v_dual_sub_nc_u32 v0, 29, v0
	s_delay_alu instid0(VALU_DEP_1) | instskip(NEXT) | instid1(VALU_DEP_2)
	v_cndmask_b32_e32 v0, v18, v0, vcc_lo
	v_lshlrev_b64_e32 v[18:19], v17, v[2:3]
	s_delay_alu instid0(VALU_DEP_1) | instskip(SKIP_1) | instid1(VALU_DEP_4)
	v_lshlrev_b32_e32 v17, 20, v18
	v_lshlrev_b32_e32 v18, 24, v2
	v_lshl_add_u32 v0, v0, 23, 0x3c000000
	s_delay_alu instid0(VALU_DEP_3) | instskip(NEXT) | instid1(VALU_DEP_3)
	v_and_b32_e32 v17, 0x700000, v17
	v_and_b32_e32 v18, 0x80000000, v18
	s_delay_alu instid0(VALU_DEP_1)
	v_or3_b32 v17, v17, v18, v0
.LBB6_5862:                             ;   in Loop: Header=BB6_4246 Depth=3
	s_or_b32 exec_lo, exec_lo, s45
.LBB6_5863:                             ;   in Loop: Header=BB6_4246 Depth=3
	s_delay_alu instid0(SALU_CYCLE_1)
	s_or_b32 exec_lo, exec_lo, s44
.LBB6_5864:                             ;   in Loop: Header=BB6_4246 Depth=3
	s_delay_alu instid0(SALU_CYCLE_1) | instskip(SKIP_2) | instid1(VALU_DEP_1)
	s_or_b32 exec_lo, exec_lo, s13
	v_and_b32_e32 v0, 0xff, v9
	s_mov_b32 s13, exec_lo
	v_cmpx_ne_u16_e32 0, v0
	s_cbranch_execz .LBB6_5870
; %bb.5865:                             ;   in Loop: Header=BB6_4246 Depth=3
	v_bfrev_b32_e32 v16, 1
	s_mov_b32 s44, exec_lo
	v_cmpx_ne_u16_e32 0x80, v0
	s_cbranch_execz .LBB6_5869
; %bb.5866:                             ;   in Loop: Header=BB6_4246 Depth=3
	v_and_b32_e32 v0, 0x7f, v9
	v_mov_b32_e32 v16, 0x7f800001
	s_mov_b32 s45, exec_lo
	s_delay_alu instid0(VALU_DEP_2)
	v_cmpx_ne_u32_e32 0x7f, v0
	s_cbranch_execz .LBB6_5868
; %bb.5867:                             ;   in Loop: Header=BB6_4246 Depth=3
	v_dual_lshrrev_b32 v52, 3, v0 :: v_dual_bitop2_b32 v16, 7, v9 bitop3:0x40
	v_cmp_gt_u32_e32 vcc_lo, 8, v0
	v_mov_b32_e32 v18, v9
	s_delay_alu instid0(VALU_DEP_3) | instskip(NEXT) | instid1(VALU_DEP_1)
	v_clz_i32_u32_e32 v16, v16
	v_min_u32_e32 v16, 32, v16
	s_delay_alu instid0(VALU_DEP_1) | instskip(SKIP_1) | instid1(VALU_DEP_1)
	v_subrev_nc_u32_e32 v0, 28, v16
	v_dual_mov_b32 v19, v3 :: v_dual_sub_nc_u32 v66, 29, v16
	v_dual_cndmask_b32 v0, 0, v0, vcc_lo :: v_dual_cndmask_b32 v16, v52, v66, vcc_lo
	s_delay_alu instid0(VALU_DEP_1) | instskip(SKIP_1) | instid1(VALU_DEP_3)
	v_lshlrev_b64_e32 v[66:67], v0, v[18:19]
	v_lshlrev_b32_e32 v0, 24, v18
	v_lshl_add_u32 v16, v16, 23, 0x3c000000
	s_delay_alu instid0(VALU_DEP_2) | instskip(NEXT) | instid1(VALU_DEP_4)
	v_and_b32_e32 v0, 0x80000000, v0
	v_lshlrev_b32_e32 v18, 20, v66
	s_delay_alu instid0(VALU_DEP_1) | instskip(NEXT) | instid1(VALU_DEP_1)
	v_and_b32_e32 v18, 0x700000, v18
	v_or3_b32 v16, v18, v0, v16
.LBB6_5868:                             ;   in Loop: Header=BB6_4246 Depth=3
	s_or_b32 exec_lo, exec_lo, s45
.LBB6_5869:                             ;   in Loop: Header=BB6_4246 Depth=3
	s_delay_alu instid0(SALU_CYCLE_1)
	s_or_b32 exec_lo, exec_lo, s44
.LBB6_5870:                             ;   in Loop: Header=BB6_4246 Depth=3
	s_delay_alu instid0(SALU_CYCLE_1) | instskip(NEXT) | instid1(VALU_DEP_1)
	s_or_b32 exec_lo, exec_lo, s13
	v_dual_add_f32 v0, v17, v16 :: v_dual_mov_b32 v17, v3
                                        ; implicit-def: $vgpr47
	s_delay_alu instid0(VALU_DEP_1) | instskip(NEXT) | instid1(VALU_DEP_1)
	v_and_b32_e32 v16, 0x7f800000, v0
	v_cmp_ne_u64_e32 vcc_lo, 0x7f800000, v[16:17]
	v_lshrrev_b32_e32 v16, 24, v0
	s_and_saveexec_b32 s13, vcc_lo
	s_delay_alu instid0(SALU_CYCLE_1)
	s_xor_b32 s44, exec_lo, s13
	s_cbranch_execz .LBB6_5884
; %bb.5871:                             ;   in Loop: Header=BB6_4246 Depth=3
	v_and_b32_e32 v18, 0x7fffffff, v0
	v_mov_b32_e32 v19, v3
	v_and_b32_e32 v66, 0x80, v16
                                        ; implicit-def: $vgpr47
	s_mov_b32 s13, exec_lo
	s_delay_alu instid0(VALU_DEP_2)
	v_cmpx_gt_u64_e32 0x43e00001, v[18:19]
	s_xor_b32 s45, exec_lo, s13
	s_cbranch_execz .LBB6_5881
; %bb.5872:                             ;   in Loop: Header=BB6_4246 Depth=3
	v_mov_b32_e32 v47, 0
	s_mov_b32 s74, exec_lo
	v_cmpx_ne_u32_e32 0, v0
	s_cbranch_execz .LBB6_5880
; %bb.5873:                             ;   in Loop: Header=BB6_4246 Depth=3
	v_and_b32_e32 v16, 0x7fffff, v0
	v_bfe_u32 v67, v0, 23, 8
	s_delay_alu instid0(VALU_DEP_2) | instskip(NEXT) | instid1(VALU_DEP_2)
	v_or_b32_e32 v17, 0x800000, v16
	v_cmp_eq_u32_e32 vcc_lo, 0, v67
	v_cmp_gt_u32_e64 s13, 0x7a, v67
	v_sub_nc_u32_e32 v0, 0x79, v67
	s_delay_alu instid0(VALU_DEP_4) | instskip(NEXT) | instid1(VALU_DEP_2)
	v_dual_cndmask_b32 v16, v17, v16 :: v_dual_mov_b32 v17, v3
	v_cndmask_b32_e64 v0, 0, v0, s13
	s_delay_alu instid0(VALU_DEP_1) | instskip(NEXT) | instid1(VALU_DEP_1)
	v_cndmask_b32_e64 v0, v0, 0x78, vcc_lo
	v_dual_add_nc_u32 v18, 20, v0 :: v_dual_add_nc_u32 v52, 19, v0
	s_delay_alu instid0(VALU_DEP_1) | instskip(NEXT) | instid1(VALU_DEP_2)
	v_lshlrev_b64_e64 v[18:19], v18, -1
	v_lshlrev_b64_e64 v[42:43], v52, 1
	s_delay_alu instid0(VALU_DEP_2) | instskip(SKIP_1) | instid1(VALU_DEP_4)
	v_bfi_b32 v18, v18, 0, v16
	v_lshrrev_b64 v[16:17], v0, v[16:17]
	v_bfi_b32 v19, v19, 0, 0
	s_delay_alu instid0(VALU_DEP_1) | instskip(NEXT) | instid1(VALU_DEP_3)
	v_cmp_eq_u64_e64 s13, v[18:19], v[42:43]
	v_mov_b64_e32 v[18:19], v[16:17]
	s_and_saveexec_b32 s75, s13
; %bb.5874:                             ;   in Loop: Header=BB6_4246 Depth=3
	v_bfe_u32 v18, v16, 20, 1
	v_mov_b32_e32 v19, v3
	s_delay_alu instid0(VALU_DEP_1) | instskip(NEXT) | instid1(VALU_DEP_1)
	v_add_nc_u64_e32 v[18:19], v[16:17], v[18:19]
	v_add_nc_u64_e32 v[18:19], -1, v[18:19]
; %bb.5875:                             ;   in Loop: Header=BB6_4246 Depth=3
	s_or_b32 exec_lo, exec_lo, s75
	v_add_nc_u32_e32 v17, 0xffffff81, v67
	v_lshrrev_b32_e32 v19, 23, v16
	s_mov_b32 s13, exec_lo
	s_delay_alu instid0(VALU_DEP_2) | instskip(NEXT) | instid1(VALU_DEP_1)
	v_cndmask_b32_e64 v17, v17, 0xffffff82, vcc_lo
	v_add3_u32 v19, v0, v17, v19
	v_and_b32_e32 v0, 0xfffff, v18
	s_delay_alu instid0(VALU_DEP_2) | instskip(NEXT) | instid1(VALU_DEP_2)
	v_dual_mov_b32 v17, v3 :: v_dual_add_nc_u32 v18, 6, v19
	v_add_nc_u32_e32 v16, v0, v16
                                        ; implicit-def: $vgpr0
	s_delay_alu instid0(VALU_DEP_2)
	v_cmpx_ne_u32_e32 0, v18
	s_xor_b32 s13, exec_lo, s13
; %bb.5876:                             ;   in Loop: Header=BB6_4246 Depth=3
	s_delay_alu instid0(VALU_DEP_2) | instskip(SKIP_1) | instid1(VALU_DEP_1)
	v_cmp_lt_u64_e32 vcc_lo, 0xffffff, v[16:17]
	v_add_nc_u32_e32 v0, 7, v19
	v_cndmask_b32_e32 v0, v18, v0, vcc_lo
	v_cndmask_b32_e64 v18, 0, 1, vcc_lo
	s_delay_alu instid0(VALU_DEP_1)
	v_lshrrev_b64 v[16:17], v18, v[16:17]
; %bb.5877:                             ;   in Loop: Header=BB6_4246 Depth=3
	s_and_not1_saveexec_b32 s13, s13
; %bb.5878:                             ;   in Loop: Header=BB6_4246 Depth=3
	s_delay_alu instid0(VALU_DEP_1)
	v_bfe_u32 v0, v16, 23, 1
; %bb.5879:                             ;   in Loop: Header=BB6_4246 Depth=3
	s_or_b32 exec_lo, exec_lo, s13
	s_delay_alu instid0(VALU_DEP_2) | instskip(NEXT) | instid1(VALU_DEP_2)
	v_lshrrev_b64 v[16:17], 20, v[16:17]
	v_cmp_gt_i32_e32 vcc_lo, 16, v0
	v_min_i32_e32 v18, 15, v0
	v_cmp_eq_u32_e64 s13, 0, v0
	s_delay_alu instid0(VALU_DEP_2) | instskip(SKIP_1) | instid1(VALU_DEP_2)
	v_dual_cndmask_b32 v17, 0, v17 :: v_dual_lshlrev_b32 v18, 3, v18
	v_cndmask_b32_e32 v16, 7, v16, vcc_lo
	v_and_b32_e32 v18, 0xf8, v18
	s_delay_alu instid0(VALU_DEP_2) | instskip(NEXT) | instid1(VALU_DEP_2)
	v_cmp_eq_u64_e32 vcc_lo, 0, v[16:17]
	v_and_or_b32 v0, v16, 7, v18
	s_and_b32 s13, s13, vcc_lo
	s_delay_alu instid0(VALU_DEP_1) | instid1(SALU_CYCLE_1)
	v_cndmask_b32_e64 v0, v0, 0, s13
	s_delay_alu instid0(VALU_DEP_1)
	v_or_b32_e32 v47, v0, v66
.LBB6_5880:                             ;   in Loop: Header=BB6_4246 Depth=3
	s_or_b32 exec_lo, exec_lo, s74
                                        ; implicit-def: $vgpr66
.LBB6_5881:                             ;   in Loop: Header=BB6_4246 Depth=3
	s_and_not1_saveexec_b32 s13, s45
; %bb.5882:                             ;   in Loop: Header=BB6_4246 Depth=3
	v_or_b32_e32 v47, 0x7e, v66
; %bb.5883:                             ;   in Loop: Header=BB6_4246 Depth=3
	s_or_b32 exec_lo, exec_lo, s13
                                        ; implicit-def: $vgpr16
.LBB6_5884:                             ;   in Loop: Header=BB6_4246 Depth=3
	s_and_not1_saveexec_b32 s13, s44
; %bb.5885:                             ;   in Loop: Header=BB6_4246 Depth=3
	v_or_b32_e32 v47, 0x7f, v16
; %bb.5886:                             ;   in Loop: Header=BB6_4246 Depth=3
	s_or_b32 exec_lo, exec_lo, s13
	v_lshrrev_b16 v0, 8, v2
	v_dual_mov_b32 v18, 0 :: v_dual_mov_b32 v19, 0
	s_mov_b32 s13, exec_lo
	s_delay_alu instid0(VALU_DEP_2)
	v_cmpx_ne_u16_e32 0, v0
	s_cbranch_execz .LBB6_5894
; %bb.5887:                             ;   in Loop: Header=BB6_4246 Depth=3
	v_bfrev_b32_e32 v19, 1
	s_mov_b32 s44, exec_lo
	v_cmpx_ne_u16_e32 0x80, v0
	s_cbranch_execz .LBB6_5893
; %bb.5888:                             ;   in Loop: Header=BB6_4246 Depth=3
	v_and_b32_e32 v0, 0xffff, v0
	v_mov_b32_e32 v19, 0x7f800001
	s_mov_b32 s45, exec_lo
	s_delay_alu instid0(VALU_DEP_2) | instskip(NEXT) | instid1(VALU_DEP_1)
	v_and_b32_e32 v52, 0x7f, v0
	v_cmpx_ne_u32_e32 0x7f, v52
	s_cbranch_execz .LBB6_5892
; %bb.5889:                             ;   in Loop: Header=BB6_4246 Depth=3
	v_dual_mov_b32 v17, v3 :: v_dual_bitop2_b32 v16, 7, v0 bitop3:0x40
	v_lshrrev_b32_e32 v0, 3, v52
	s_mov_b32 s74, exec_lo
	v_cmpx_gt_u32_e32 8, v52
; %bb.5890:                             ;   in Loop: Header=BB6_4246 Depth=3
	s_delay_alu instid0(VALU_DEP_3) | instskip(NEXT) | instid1(VALU_DEP_1)
	v_clz_i32_u32_e32 v0, v16
	v_min_u32_e32 v0, 32, v0
	s_delay_alu instid0(VALU_DEP_1) | instskip(SKIP_1) | instid1(VALU_DEP_2)
	v_subrev_nc_u32_e32 v19, 28, v0
	v_sub_nc_u32_e32 v0, 29, v0
	v_lshlrev_b64_e32 v[16:17], v19, v[16:17]
	s_delay_alu instid0(VALU_DEP_1)
	v_and_b32_e32 v16, 7, v16
; %bb.5891:                             ;   in Loop: Header=BB6_4246 Depth=3
	s_or_b32 exec_lo, exec_lo, s74
	s_delay_alu instid0(VALU_DEP_1) | instskip(SKIP_1) | instid1(VALU_DEP_2)
	v_dual_lshlrev_b32 v2, 16, v2 :: v_dual_lshlrev_b32 v16, 20, v16
	v_lshl_add_u32 v0, v0, 23, 0x3c000000
	v_and_b32_e32 v2, 0x80000000, v2
	s_delay_alu instid0(VALU_DEP_1)
	v_or3_b32 v19, v16, v2, v0
.LBB6_5892:                             ;   in Loop: Header=BB6_4246 Depth=3
	s_or_b32 exec_lo, exec_lo, s45
.LBB6_5893:                             ;   in Loop: Header=BB6_4246 Depth=3
	s_delay_alu instid0(SALU_CYCLE_1)
	s_or_b32 exec_lo, exec_lo, s44
.LBB6_5894:                             ;   in Loop: Header=BB6_4246 Depth=3
	s_delay_alu instid0(SALU_CYCLE_1) | instskip(SKIP_2) | instid1(VALU_DEP_1)
	s_or_b32 exec_lo, exec_lo, s13
	v_lshrrev_b16 v0, 8, v9
	s_mov_b32 s13, exec_lo
	v_cmpx_ne_u16_e32 0, v0
	s_cbranch_execz .LBB6_5902
; %bb.5895:                             ;   in Loop: Header=BB6_4246 Depth=3
	v_bfrev_b32_e32 v18, 1
	s_mov_b32 s44, exec_lo
	v_cmpx_ne_u16_e32 0x80, v0
	s_cbranch_execz .LBB6_5901
; %bb.5896:                             ;   in Loop: Header=BB6_4246 Depth=3
	v_and_b32_e32 v0, 0xffff, v0
	v_mov_b32_e32 v18, 0x7f800001
	s_mov_b32 s45, exec_lo
	s_delay_alu instid0(VALU_DEP_2) | instskip(NEXT) | instid1(VALU_DEP_1)
	v_and_b32_e32 v16, 0x7f, v0
	v_cmpx_ne_u32_e32 0x7f, v16
	s_cbranch_execz .LBB6_5900
; %bb.5897:                             ;   in Loop: Header=BB6_4246 Depth=3
	v_and_b32_e32 v2, 7, v0
	v_lshrrev_b32_e32 v0, 3, v16
	v_cmp_gt_u32_e32 vcc_lo, 8, v16
	s_delay_alu instid0(VALU_DEP_3)
	v_mov_b64_e32 v[16:17], v[2:3]
	s_and_saveexec_b32 s74, vcc_lo
; %bb.5898:                             ;   in Loop: Header=BB6_4246 Depth=3
	v_clz_i32_u32_e32 v0, v2
	s_delay_alu instid0(VALU_DEP_1) | instskip(NEXT) | instid1(VALU_DEP_1)
	v_min_u32_e32 v0, 32, v0
	v_subrev_nc_u32_e32 v16, 28, v0
	v_sub_nc_u32_e32 v0, 29, v0
	s_delay_alu instid0(VALU_DEP_2) | instskip(NEXT) | instid1(VALU_DEP_1)
	v_lshlrev_b64_e32 v[16:17], v16, v[2:3]
	v_and_b32_e32 v16, 7, v16
; %bb.5899:                             ;   in Loop: Header=BB6_4246 Depth=3
	s_or_b32 exec_lo, exec_lo, s74
	s_delay_alu instid0(VALU_DEP_1) | instskip(SKIP_1) | instid1(VALU_DEP_2)
	v_dual_lshlrev_b32 v2, 16, v9 :: v_dual_lshlrev_b32 v16, 20, v16
	v_lshl_add_u32 v0, v0, 23, 0x3c000000
	v_and_b32_e32 v2, 0x80000000, v2
	s_delay_alu instid0(VALU_DEP_1)
	v_or3_b32 v18, v16, v2, v0
.LBB6_5900:                             ;   in Loop: Header=BB6_4246 Depth=3
	s_or_b32 exec_lo, exec_lo, s45
.LBB6_5901:                             ;   in Loop: Header=BB6_4246 Depth=3
	s_delay_alu instid0(SALU_CYCLE_1)
	s_or_b32 exec_lo, exec_lo, s44
.LBB6_5902:                             ;   in Loop: Header=BB6_4246 Depth=3
	s_delay_alu instid0(SALU_CYCLE_1) | instskip(NEXT) | instid1(VALU_DEP_1)
	s_or_b32 exec_lo, exec_lo, s13
	v_add_f32_e32 v0, v19, v18
                                        ; implicit-def: $vgpr126
	s_mov_b32 s13, exec_lo
	s_delay_alu instid0(VALU_DEP_1) | instskip(SKIP_1) | instid1(VALU_DEP_2)
	v_and_b32_e32 v2, 0x7f800000, v0
	v_lshrrev_b32_e32 v16, 24, v0
	v_cmpx_ne_u64_e32 0x7f800000, v[2:3]
	s_xor_b32 s44, exec_lo, s13
	s_cbranch_execz .LBB6_5916
; %bb.5903:                             ;   in Loop: Header=BB6_4246 Depth=3
	v_and_b32_e32 v2, 0x7fffffff, v0
	v_and_b32_e32 v66, 0x80, v16
                                        ; implicit-def: $vgpr126
	s_mov_b32 s13, exec_lo
	s_delay_alu instid0(VALU_DEP_2)
	v_cmpx_gt_u64_e32 0x43e00001, v[2:3]
	s_xor_b32 s45, exec_lo, s13
	s_cbranch_execz .LBB6_5913
; %bb.5904:                             ;   in Loop: Header=BB6_4246 Depth=3
	v_mov_b32_e32 v126, 0
	s_mov_b32 s74, exec_lo
	v_cmpx_ne_u32_e32 0, v0
	s_cbranch_execz .LBB6_5912
; %bb.5905:                             ;   in Loop: Header=BB6_4246 Depth=3
	v_bfe_u32 v67, v0, 23, 8
	v_and_b32_e32 v2, 0x7fffff, v0
	s_delay_alu instid0(VALU_DEP_2) | instskip(SKIP_2) | instid1(VALU_DEP_4)
	v_cmp_gt_u32_e64 s13, 0x7a, v67
	v_sub_nc_u32_e32 v0, 0x79, v67
	v_cmp_eq_u32_e32 vcc_lo, 0, v67
	v_or_b32_e32 v16, 0x800000, v2
	s_delay_alu instid0(VALU_DEP_1) | instskip(NEXT) | instid1(VALU_DEP_1)
	v_dual_cndmask_b32 v0, 0, v0, s13 :: v_dual_cndmask_b32 v2, v16, v2, vcc_lo
	v_cndmask_b32_e64 v0, v0, 0x78, vcc_lo
	s_delay_alu instid0(VALU_DEP_1) | instskip(NEXT) | instid1(VALU_DEP_1)
	v_dual_add_nc_u32 v16, 20, v0 :: v_dual_add_nc_u32 v18, 19, v0
	v_lshlrev_b64_e64 v[16:17], v16, -1
	s_delay_alu instid0(VALU_DEP_2) | instskip(NEXT) | instid1(VALU_DEP_2)
	v_lshlrev_b64_e64 v[18:19], v18, 1
	v_bfi_b32 v17, v17, 0, 0
	s_delay_alu instid0(VALU_DEP_3) | instskip(NEXT) | instid1(VALU_DEP_1)
	v_bfi_b32 v16, v16, 0, v2
	v_cmp_eq_u64_e64 s13, v[16:17], v[18:19]
	v_lshrrev_b64 v[16:17], v0, v[2:3]
	s_delay_alu instid0(VALU_DEP_1)
	v_mov_b64_e32 v[18:19], v[16:17]
	s_and_saveexec_b32 s75, s13
; %bb.5906:                             ;   in Loop: Header=BB6_4246 Depth=3
	v_bfe_u32 v2, v16, 20, 1
	s_delay_alu instid0(VALU_DEP_1) | instskip(NEXT) | instid1(VALU_DEP_1)
	v_add_nc_u64_e32 v[18:19], v[16:17], v[2:3]
	v_add_nc_u64_e32 v[18:19], -1, v[18:19]
; %bb.5907:                             ;   in Loop: Header=BB6_4246 Depth=3
	s_or_b32 exec_lo, exec_lo, s75
	v_add_nc_u32_e32 v2, 0xffffff81, v67
	v_lshrrev_b32_e32 v17, 23, v16
	s_mov_b32 s13, exec_lo
	s_delay_alu instid0(VALU_DEP_2) | instskip(NEXT) | instid1(VALU_DEP_1)
	v_cndmask_b32_e64 v2, v2, 0xffffff82, vcc_lo
	v_add3_u32 v19, v0, v2, v17
	v_and_b32_e32 v0, 0xfffff, v18
	s_delay_alu instid0(VALU_DEP_1) | instskip(NEXT) | instid1(VALU_DEP_1)
	v_dual_add_nc_u32 v18, 6, v19 :: v_dual_add_nc_u32 v2, v0, v16
                                        ; implicit-def: $vgpr16_vgpr17
                                        ; implicit-def: $vgpr0
	v_cmpx_ne_u32_e32 0, v18
	s_xor_b32 s13, exec_lo, s13
; %bb.5908:                             ;   in Loop: Header=BB6_4246 Depth=3
	s_delay_alu instid0(VALU_DEP_2) | instskip(SKIP_2) | instid1(VALU_DEP_2)
	v_cmp_lt_u64_e32 vcc_lo, 0xffffff, v[2:3]
	v_add_nc_u32_e32 v0, 7, v19
	v_cndmask_b32_e64 v16, 0, 1, vcc_lo
	v_cndmask_b32_e32 v0, v18, v0, vcc_lo
	s_delay_alu instid0(VALU_DEP_2)
	v_lshrrev_b64 v[16:17], v16, v[2:3]
; %bb.5909:                             ;   in Loop: Header=BB6_4246 Depth=3
	s_and_not1_saveexec_b32 s13, s13
; %bb.5910:                             ;   in Loop: Header=BB6_4246 Depth=3
	v_mov_b64_e32 v[16:17], v[2:3]
	v_bfe_u32 v0, v2, 23, 1
; %bb.5911:                             ;   in Loop: Header=BB6_4246 Depth=3
	s_or_b32 exec_lo, exec_lo, s13
	s_delay_alu instid0(VALU_DEP_2) | instskip(NEXT) | instid1(VALU_DEP_2)
	v_lshrrev_b64 v[16:17], 20, v[16:17]
	v_cmp_gt_i32_e32 vcc_lo, 16, v0
	v_min_i32_e32 v2, 15, v0
	v_cmp_eq_u32_e64 s13, 0, v0
	s_delay_alu instid0(VALU_DEP_2) | instskip(SKIP_1) | instid1(VALU_DEP_2)
	v_dual_cndmask_b32 v17, 0, v17 :: v_dual_lshlrev_b32 v2, 3, v2
	v_cndmask_b32_e32 v16, 7, v16, vcc_lo
	v_and_b32_e32 v2, 0xf8, v2
	s_delay_alu instid0(VALU_DEP_2) | instskip(NEXT) | instid1(VALU_DEP_2)
	v_cmp_eq_u64_e32 vcc_lo, 0, v[16:17]
	v_and_or_b32 v0, v16, 7, v2
	s_and_b32 s13, s13, vcc_lo
	s_delay_alu instid0(VALU_DEP_1) | instid1(SALU_CYCLE_1)
	v_cndmask_b32_e64 v0, v0, 0, s13
	s_delay_alu instid0(VALU_DEP_1)
	v_or_b32_e32 v126, v0, v66
.LBB6_5912:                             ;   in Loop: Header=BB6_4246 Depth=3
	s_or_b32 exec_lo, exec_lo, s74
                                        ; implicit-def: $vgpr66
.LBB6_5913:                             ;   in Loop: Header=BB6_4246 Depth=3
	s_and_not1_saveexec_b32 s13, s45
; %bb.5914:                             ;   in Loop: Header=BB6_4246 Depth=3
	v_or_b32_e32 v126, 0x7e, v66
; %bb.5915:                             ;   in Loop: Header=BB6_4246 Depth=3
	s_or_b32 exec_lo, exec_lo, s13
                                        ; implicit-def: $vgpr16
.LBB6_5916:                             ;   in Loop: Header=BB6_4246 Depth=3
	s_and_not1_saveexec_b32 s13, s44
; %bb.5917:                             ;   in Loop: Header=BB6_4246 Depth=3
	v_or_b32_e32 v126, 0x7f, v16
; %bb.5918:                             ;   in Loop: Header=BB6_4246 Depth=3
	s_or_b32 exec_lo, exec_lo, s13
	v_dual_lshrrev_b32 v0, 16, v13 :: v_dual_mov_b32 v18, 0
	v_mov_b32_e32 v19, 0
	s_mov_b32 s13, exec_lo
	s_delay_alu instid0(VALU_DEP_2) | instskip(NEXT) | instid1(VALU_DEP_1)
	v_and_b32_e32 v2, 0xff, v0
	v_cmpx_ne_u16_e32 0, v2
	s_cbranch_execz .LBB6_5926
; %bb.5919:                             ;   in Loop: Header=BB6_4246 Depth=3
	v_bfrev_b32_e32 v19, 1
	s_mov_b32 s44, exec_lo
	v_cmpx_ne_u16_e32 0x80, v2
	s_cbranch_execz .LBB6_5925
; %bb.5920:                             ;   in Loop: Header=BB6_4246 Depth=3
	v_bfe_u32 v16, v13, 16, 7
	v_mov_b32_e32 v19, 0x7f800001
	s_mov_b32 s45, exec_lo
	s_delay_alu instid0(VALU_DEP_2)
	v_cmpx_ne_u32_e32 0x7f, v16
	s_cbranch_execz .LBB6_5924
; %bb.5921:                             ;   in Loop: Header=BB6_4246 Depth=3
	v_and_b32_e32 v2, 7, v0
	v_lshrrev_b32_e32 v19, 3, v16
	v_cmp_gt_u32_e32 vcc_lo, 8, v16
	s_delay_alu instid0(VALU_DEP_3)
	v_mov_b64_e32 v[16:17], v[2:3]
	s_and_saveexec_b32 s74, vcc_lo
; %bb.5922:                             ;   in Loop: Header=BB6_4246 Depth=3
	v_clz_i32_u32_e32 v16, v2
	s_delay_alu instid0(VALU_DEP_1) | instskip(NEXT) | instid1(VALU_DEP_1)
	v_min_u32_e32 v19, 32, v16
	v_subrev_nc_u32_e32 v16, 28, v19
	s_delay_alu instid0(VALU_DEP_1) | instskip(NEXT) | instid1(VALU_DEP_1)
	v_lshlrev_b64_e32 v[16:17], v16, v[2:3]
	v_dual_sub_nc_u32 v19, 29, v19 :: v_dual_bitop2_b32 v16, 7, v16 bitop3:0x40
; %bb.5923:                             ;   in Loop: Header=BB6_4246 Depth=3
	s_or_b32 exec_lo, exec_lo, s74
	v_lshlrev_b32_e32 v0, 24, v0
	s_delay_alu instid0(VALU_DEP_2) | instskip(NEXT) | instid1(VALU_DEP_3)
	v_lshlrev_b32_e32 v2, 20, v16
	v_lshl_add_u32 v16, v19, 23, 0x3c000000
	s_delay_alu instid0(VALU_DEP_3) | instskip(NEXT) | instid1(VALU_DEP_1)
	v_and_b32_e32 v0, 0x80000000, v0
	v_or3_b32 v19, v2, v0, v16
.LBB6_5924:                             ;   in Loop: Header=BB6_4246 Depth=3
	s_or_b32 exec_lo, exec_lo, s45
.LBB6_5925:                             ;   in Loop: Header=BB6_4246 Depth=3
	s_delay_alu instid0(SALU_CYCLE_1)
	s_or_b32 exec_lo, exec_lo, s44
.LBB6_5926:                             ;   in Loop: Header=BB6_4246 Depth=3
	s_delay_alu instid0(SALU_CYCLE_1) | instskip(SKIP_2) | instid1(VALU_DEP_1)
	s_or_b32 exec_lo, exec_lo, s13
	v_lshrrev_b32_e32 v0, 16, v9
	s_mov_b32 s13, exec_lo
	v_and_b32_e32 v2, 0xff, v0
	s_delay_alu instid0(VALU_DEP_1)
	v_cmpx_ne_u16_e32 0, v2
	s_cbranch_execz .LBB6_5934
; %bb.5927:                             ;   in Loop: Header=BB6_4246 Depth=3
	v_bfrev_b32_e32 v18, 1
	s_mov_b32 s44, exec_lo
	v_cmpx_ne_u16_e32 0x80, v2
	s_cbranch_execz .LBB6_5933
; %bb.5928:                             ;   in Loop: Header=BB6_4246 Depth=3
	v_bfe_u32 v16, v9, 16, 7
	v_mov_b32_e32 v18, 0x7f800001
	s_mov_b32 s45, exec_lo
	s_delay_alu instid0(VALU_DEP_2)
	v_cmpx_ne_u32_e32 0x7f, v16
	s_cbranch_execz .LBB6_5932
; %bb.5929:                             ;   in Loop: Header=BB6_4246 Depth=3
	v_and_b32_e32 v2, 7, v0
	v_lshrrev_b32_e32 v0, 3, v16
	v_cmp_gt_u32_e32 vcc_lo, 8, v16
	s_delay_alu instid0(VALU_DEP_3)
	v_mov_b64_e32 v[16:17], v[2:3]
	s_and_saveexec_b32 s74, vcc_lo
; %bb.5930:                             ;   in Loop: Header=BB6_4246 Depth=3
	v_clz_i32_u32_e32 v0, v2
	s_delay_alu instid0(VALU_DEP_1) | instskip(NEXT) | instid1(VALU_DEP_1)
	v_min_u32_e32 v0, 32, v0
	v_subrev_nc_u32_e32 v16, 28, v0
	v_sub_nc_u32_e32 v0, 29, v0
	s_delay_alu instid0(VALU_DEP_2) | instskip(NEXT) | instid1(VALU_DEP_1)
	v_lshlrev_b64_e32 v[16:17], v16, v[2:3]
	v_and_b32_e32 v16, 7, v16
; %bb.5931:                             ;   in Loop: Header=BB6_4246 Depth=3
	s_or_b32 exec_lo, exec_lo, s74
	s_delay_alu instid0(VALU_DEP_1) | instskip(SKIP_1) | instid1(VALU_DEP_2)
	v_dual_lshlrev_b32 v2, 8, v9 :: v_dual_lshlrev_b32 v16, 20, v16
	v_lshl_add_u32 v0, v0, 23, 0x3c000000
	v_and_b32_e32 v2, 0x80000000, v2
	s_delay_alu instid0(VALU_DEP_1)
	v_or3_b32 v18, v16, v2, v0
.LBB6_5932:                             ;   in Loop: Header=BB6_4246 Depth=3
	s_or_b32 exec_lo, exec_lo, s45
.LBB6_5933:                             ;   in Loop: Header=BB6_4246 Depth=3
	s_delay_alu instid0(SALU_CYCLE_1)
	s_or_b32 exec_lo, exec_lo, s44
.LBB6_5934:                             ;   in Loop: Header=BB6_4246 Depth=3
	s_delay_alu instid0(SALU_CYCLE_1) | instskip(NEXT) | instid1(VALU_DEP_1)
	s_or_b32 exec_lo, exec_lo, s13
	v_add_f32_e32 v0, v19, v18
                                        ; implicit-def: $vgpr16
	s_mov_b32 s13, exec_lo
	s_delay_alu instid0(VALU_DEP_1) | instskip(SKIP_1) | instid1(VALU_DEP_2)
	v_and_b32_e32 v2, 0x7f800000, v0
	v_lshrrev_b32_e32 v17, 24, v0
	v_cmpx_ne_u64_e32 0x7f800000, v[2:3]
	s_xor_b32 s44, exec_lo, s13
	s_cbranch_execz .LBB6_5948
; %bb.5935:                             ;   in Loop: Header=BB6_4246 Depth=3
	v_and_b32_e32 v2, 0x7fffffff, v0
	v_and_b32_e32 v66, 0x80, v17
                                        ; implicit-def: $vgpr16
	s_mov_b32 s13, exec_lo
	s_delay_alu instid0(VALU_DEP_2)
	v_cmpx_gt_u64_e32 0x43e00001, v[2:3]
	s_xor_b32 s45, exec_lo, s13
	s_cbranch_execz .LBB6_5945
; %bb.5936:                             ;   in Loop: Header=BB6_4246 Depth=3
	v_mov_b32_e32 v16, 0
	s_mov_b32 s74, exec_lo
	v_cmpx_ne_u32_e32 0, v0
	s_cbranch_execz .LBB6_5944
; %bb.5937:                             ;   in Loop: Header=BB6_4246 Depth=3
	v_bfe_u32 v67, v0, 23, 8
	v_and_b32_e32 v2, 0x7fffff, v0
	s_delay_alu instid0(VALU_DEP_2) | instskip(SKIP_2) | instid1(VALU_DEP_4)
	v_cmp_gt_u32_e64 s13, 0x7a, v67
	v_sub_nc_u32_e32 v0, 0x79, v67
	v_cmp_eq_u32_e32 vcc_lo, 0, v67
	v_or_b32_e32 v16, 0x800000, v2
	s_delay_alu instid0(VALU_DEP_1) | instskip(NEXT) | instid1(VALU_DEP_1)
	v_dual_cndmask_b32 v0, 0, v0, s13 :: v_dual_cndmask_b32 v2, v16, v2, vcc_lo
	v_cndmask_b32_e64 v0, v0, 0x78, vcc_lo
	s_delay_alu instid0(VALU_DEP_1) | instskip(NEXT) | instid1(VALU_DEP_1)
	v_dual_add_nc_u32 v16, 20, v0 :: v_dual_add_nc_u32 v18, 19, v0
	v_lshlrev_b64_e64 v[16:17], v16, -1
	s_delay_alu instid0(VALU_DEP_2) | instskip(NEXT) | instid1(VALU_DEP_2)
	v_lshlrev_b64_e64 v[18:19], v18, 1
	v_bfi_b32 v17, v17, 0, 0
	s_delay_alu instid0(VALU_DEP_3) | instskip(NEXT) | instid1(VALU_DEP_1)
	v_bfi_b32 v16, v16, 0, v2
	v_cmp_eq_u64_e64 s13, v[16:17], v[18:19]
	v_lshrrev_b64 v[16:17], v0, v[2:3]
	s_delay_alu instid0(VALU_DEP_1)
	v_mov_b64_e32 v[18:19], v[16:17]
	s_and_saveexec_b32 s75, s13
; %bb.5938:                             ;   in Loop: Header=BB6_4246 Depth=3
	v_bfe_u32 v2, v16, 20, 1
	s_delay_alu instid0(VALU_DEP_1) | instskip(NEXT) | instid1(VALU_DEP_1)
	v_add_nc_u64_e32 v[18:19], v[16:17], v[2:3]
	v_add_nc_u64_e32 v[18:19], -1, v[18:19]
; %bb.5939:                             ;   in Loop: Header=BB6_4246 Depth=3
	s_or_b32 exec_lo, exec_lo, s75
	v_add_nc_u32_e32 v2, 0xffffff81, v67
	v_lshrrev_b32_e32 v17, 23, v16
	s_mov_b32 s13, exec_lo
	s_delay_alu instid0(VALU_DEP_2) | instskip(NEXT) | instid1(VALU_DEP_1)
	v_cndmask_b32_e64 v2, v2, 0xffffff82, vcc_lo
	v_add3_u32 v19, v0, v2, v17
	v_and_b32_e32 v0, 0xfffff, v18
	s_delay_alu instid0(VALU_DEP_1) | instskip(NEXT) | instid1(VALU_DEP_1)
	v_dual_add_nc_u32 v18, 6, v19 :: v_dual_add_nc_u32 v2, v0, v16
                                        ; implicit-def: $vgpr16_vgpr17
                                        ; implicit-def: $vgpr0
	v_cmpx_ne_u32_e32 0, v18
	s_xor_b32 s13, exec_lo, s13
; %bb.5940:                             ;   in Loop: Header=BB6_4246 Depth=3
	s_delay_alu instid0(VALU_DEP_2) | instskip(SKIP_2) | instid1(VALU_DEP_2)
	v_cmp_lt_u64_e32 vcc_lo, 0xffffff, v[2:3]
	v_add_nc_u32_e32 v0, 7, v19
	v_cndmask_b32_e64 v16, 0, 1, vcc_lo
	v_cndmask_b32_e32 v0, v18, v0, vcc_lo
	s_delay_alu instid0(VALU_DEP_2)
	v_lshrrev_b64 v[16:17], v16, v[2:3]
; %bb.5941:                             ;   in Loop: Header=BB6_4246 Depth=3
	s_and_not1_saveexec_b32 s13, s13
; %bb.5942:                             ;   in Loop: Header=BB6_4246 Depth=3
	v_mov_b64_e32 v[16:17], v[2:3]
	v_bfe_u32 v0, v2, 23, 1
; %bb.5943:                             ;   in Loop: Header=BB6_4246 Depth=3
	s_or_b32 exec_lo, exec_lo, s13
	s_delay_alu instid0(VALU_DEP_2) | instskip(NEXT) | instid1(VALU_DEP_2)
	v_lshrrev_b64 v[16:17], 20, v[16:17]
	v_cmp_gt_i32_e32 vcc_lo, 16, v0
	v_min_i32_e32 v2, 15, v0
	v_cmp_eq_u32_e64 s13, 0, v0
	s_delay_alu instid0(VALU_DEP_2) | instskip(SKIP_1) | instid1(VALU_DEP_2)
	v_dual_cndmask_b32 v17, 0, v17 :: v_dual_lshlrev_b32 v2, 3, v2
	v_cndmask_b32_e32 v16, 7, v16, vcc_lo
	v_and_b32_e32 v2, 0xf8, v2
	s_delay_alu instid0(VALU_DEP_2) | instskip(NEXT) | instid1(VALU_DEP_2)
	v_cmp_eq_u64_e32 vcc_lo, 0, v[16:17]
	v_and_or_b32 v0, v16, 7, v2
	s_and_b32 s13, s13, vcc_lo
	s_delay_alu instid0(VALU_DEP_1) | instid1(SALU_CYCLE_1)
	v_cndmask_b32_e64 v0, v0, 0, s13
	s_delay_alu instid0(VALU_DEP_1)
	v_or_b32_e32 v16, v0, v66
.LBB6_5944:                             ;   in Loop: Header=BB6_4246 Depth=3
	s_or_b32 exec_lo, exec_lo, s74
                                        ; implicit-def: $vgpr66
.LBB6_5945:                             ;   in Loop: Header=BB6_4246 Depth=3
	s_and_not1_saveexec_b32 s13, s45
; %bb.5946:                             ;   in Loop: Header=BB6_4246 Depth=3
	v_or_b32_e32 v16, 0x7e, v66
; %bb.5947:                             ;   in Loop: Header=BB6_4246 Depth=3
	s_or_b32 exec_lo, exec_lo, s13
                                        ; implicit-def: $vgpr17
.LBB6_5948:                             ;   in Loop: Header=BB6_4246 Depth=3
	s_and_not1_saveexec_b32 s13, s44
; %bb.5949:                             ;   in Loop: Header=BB6_4246 Depth=3
	v_or_b32_e32 v16, 0x7f, v17
; %bb.5950:                             ;   in Loop: Header=BB6_4246 Depth=3
	s_or_b32 exec_lo, exec_lo, s13
	v_cmp_lt_u64_e32 vcc_lo, s[22:23], v[12:13]
	v_dual_mov_b32 v17, 0 :: v_dual_mov_b32 v12, 0
	s_and_saveexec_b32 s13, vcc_lo
	s_cbranch_execz .LBB6_5958
; %bb.5951:                             ;   in Loop: Header=BB6_4246 Depth=3
	v_lshrrev_b32_e32 v0, 24, v13
	v_bfrev_b32_e32 v12, 1
	s_mov_b32 s44, exec_lo
	s_delay_alu instid0(VALU_DEP_2)
	v_cmpx_ne_u32_e32 0x80, v0
	s_cbranch_execz .LBB6_5957
; %bb.5952:                             ;   in Loop: Header=BB6_4246 Depth=3
	v_bfe_u32 v13, v13, 24, 7
	v_mov_b32_e32 v12, 0x7f800001
	s_mov_b32 s45, exec_lo
	s_delay_alu instid0(VALU_DEP_2)
	v_cmpx_ne_u32_e32 0x7f, v13
	s_cbranch_execz .LBB6_5956
; %bb.5953:                             ;   in Loop: Header=BB6_4246 Depth=3
	v_dual_lshrrev_b32 v18, 3, v13 :: v_dual_bitop2_b32 v2, 7, v0 bitop3:0x40
	v_cmp_gt_u32_e32 vcc_lo, 8, v13
	s_delay_alu instid0(VALU_DEP_2)
	v_mov_b64_e32 v[12:13], v[2:3]
	s_and_saveexec_b32 s74, vcc_lo
; %bb.5954:                             ;   in Loop: Header=BB6_4246 Depth=3
	v_clz_i32_u32_e32 v12, v2
	s_delay_alu instid0(VALU_DEP_1) | instskip(NEXT) | instid1(VALU_DEP_1)
	v_min_u32_e32 v18, 32, v12
	v_subrev_nc_u32_e32 v12, 28, v18
	s_delay_alu instid0(VALU_DEP_1) | instskip(NEXT) | instid1(VALU_DEP_1)
	v_lshlrev_b64_e32 v[12:13], v12, v[2:3]
	v_dual_sub_nc_u32 v18, 29, v18 :: v_dual_bitop2_b32 v12, 7, v12 bitop3:0x40
; %bb.5955:                             ;   in Loop: Header=BB6_4246 Depth=3
	s_or_b32 exec_lo, exec_lo, s74
	v_lshlrev_b32_e32 v0, 24, v0
	s_delay_alu instid0(VALU_DEP_2) | instskip(NEXT) | instid1(VALU_DEP_3)
	v_lshlrev_b32_e32 v2, 20, v12
	v_lshl_add_u32 v12, v18, 23, 0x3c000000
	s_delay_alu instid0(VALU_DEP_3) | instskip(NEXT) | instid1(VALU_DEP_1)
	v_and_b32_e32 v0, 0x80000000, v0
	v_or3_b32 v12, v2, v0, v12
.LBB6_5956:                             ;   in Loop: Header=BB6_4246 Depth=3
	s_or_b32 exec_lo, exec_lo, s45
.LBB6_5957:                             ;   in Loop: Header=BB6_4246 Depth=3
	s_delay_alu instid0(SALU_CYCLE_1)
	s_or_b32 exec_lo, exec_lo, s44
.LBB6_5958:                             ;   in Loop: Header=BB6_4246 Depth=3
	s_delay_alu instid0(SALU_CYCLE_1) | instskip(NEXT) | instid1(SALU_CYCLE_1)
	s_or_b32 exec_lo, exec_lo, s13
	s_mov_b32 s13, exec_lo
	v_cmpx_lt_u64_e64 s[22:23], v[8:9]
	s_cbranch_execz .LBB6_5966
; %bb.5959:                             ;   in Loop: Header=BB6_4246 Depth=3
	v_lshrrev_b32_e32 v0, 24, v9
	v_bfrev_b32_e32 v17, 1
	s_mov_b32 s44, exec_lo
	s_delay_alu instid0(VALU_DEP_2)
	v_cmpx_ne_u32_e32 0x80, v0
	s_cbranch_execz .LBB6_5965
; %bb.5960:                             ;   in Loop: Header=BB6_4246 Depth=3
	v_bfe_u32 v8, v9, 24, 7
	v_mov_b32_e32 v17, 0x7f800001
	s_mov_b32 s45, exec_lo
	s_delay_alu instid0(VALU_DEP_2)
	v_cmpx_ne_u32_e32 0x7f, v8
	s_cbranch_execz .LBB6_5964
; %bb.5961:                             ;   in Loop: Header=BB6_4246 Depth=3
	v_and_b32_e32 v2, 7, v0
	v_lshrrev_b32_e32 v13, 3, v8
	v_cmp_gt_u32_e32 vcc_lo, 8, v8
	s_delay_alu instid0(VALU_DEP_3)
	v_mov_b64_e32 v[8:9], v[2:3]
	s_and_saveexec_b32 s74, vcc_lo
; %bb.5962:                             ;   in Loop: Header=BB6_4246 Depth=3
	v_clz_i32_u32_e32 v8, v2
	s_delay_alu instid0(VALU_DEP_1) | instskip(NEXT) | instid1(VALU_DEP_1)
	v_min_u32_e32 v13, 32, v8
	v_subrev_nc_u32_e32 v8, 28, v13
	s_delay_alu instid0(VALU_DEP_1) | instskip(NEXT) | instid1(VALU_DEP_1)
	v_lshlrev_b64_e32 v[8:9], v8, v[2:3]
	v_dual_sub_nc_u32 v13, 29, v13 :: v_dual_bitop2_b32 v8, 7, v8 bitop3:0x40
; %bb.5963:                             ;   in Loop: Header=BB6_4246 Depth=3
	s_or_b32 exec_lo, exec_lo, s74
	v_lshlrev_b32_e32 v0, 24, v0
	s_delay_alu instid0(VALU_DEP_2) | instskip(NEXT) | instid1(VALU_DEP_3)
	v_lshlrev_b32_e32 v2, 20, v8
	v_lshl_add_u32 v8, v13, 23, 0x3c000000
	s_delay_alu instid0(VALU_DEP_3) | instskip(NEXT) | instid1(VALU_DEP_1)
	v_and_b32_e32 v0, 0x80000000, v0
	v_or3_b32 v17, v2, v0, v8
.LBB6_5964:                             ;   in Loop: Header=BB6_4246 Depth=3
	s_or_b32 exec_lo, exec_lo, s45
.LBB6_5965:                             ;   in Loop: Header=BB6_4246 Depth=3
	s_delay_alu instid0(SALU_CYCLE_1)
	s_or_b32 exec_lo, exec_lo, s44
.LBB6_5966:                             ;   in Loop: Header=BB6_4246 Depth=3
	s_delay_alu instid0(SALU_CYCLE_1) | instskip(NEXT) | instid1(VALU_DEP_1)
	s_or_b32 exec_lo, exec_lo, s13
	v_add_f32_e32 v0, v12, v17
                                        ; implicit-def: $vgpr17
	s_mov_b32 s13, exec_lo
	s_delay_alu instid0(VALU_DEP_1) | instskip(SKIP_1) | instid1(VALU_DEP_2)
	v_and_b32_e32 v2, 0x7f800000, v0
	v_lshrrev_b32_e32 v8, 24, v0
	v_cmpx_ne_u64_e32 0x7f800000, v[2:3]
	s_xor_b32 s44, exec_lo, s13
	s_cbranch_execz .LBB6_5980
; %bb.5967:                             ;   in Loop: Header=BB6_4246 Depth=3
	v_and_b32_e32 v2, 0x7fffffff, v0
	v_and_b32_e32 v18, 0x80, v8
                                        ; implicit-def: $vgpr17
	s_mov_b32 s13, exec_lo
	s_delay_alu instid0(VALU_DEP_2)
	v_cmpx_gt_u64_e32 0x43e00001, v[2:3]
	s_xor_b32 s45, exec_lo, s13
	s_cbranch_execz .LBB6_5977
; %bb.5968:                             ;   in Loop: Header=BB6_4246 Depth=3
	v_mov_b32_e32 v17, 0
	s_mov_b32 s74, exec_lo
	v_cmpx_ne_u32_e32 0, v0
	s_cbranch_execz .LBB6_5976
; %bb.5969:                             ;   in Loop: Header=BB6_4246 Depth=3
	v_bfe_u32 v17, v0, 23, 8
	v_and_b32_e32 v2, 0x7fffff, v0
	s_delay_alu instid0(VALU_DEP_2) | instskip(SKIP_2) | instid1(VALU_DEP_4)
	v_cmp_gt_u32_e64 s13, 0x7a, v17
	v_sub_nc_u32_e32 v0, 0x79, v17
	v_cmp_eq_u32_e32 vcc_lo, 0, v17
	v_or_b32_e32 v8, 0x800000, v2
	s_delay_alu instid0(VALU_DEP_1) | instskip(NEXT) | instid1(VALU_DEP_1)
	v_dual_cndmask_b32 v0, 0, v0, s13 :: v_dual_cndmask_b32 v2, v8, v2, vcc_lo
	v_cndmask_b32_e64 v0, v0, 0x78, vcc_lo
	s_delay_alu instid0(VALU_DEP_1) | instskip(NEXT) | instid1(VALU_DEP_1)
	v_dual_add_nc_u32 v8, 20, v0 :: v_dual_add_nc_u32 v12, 19, v0
	v_lshlrev_b64_e64 v[8:9], v8, -1
	s_delay_alu instid0(VALU_DEP_2) | instskip(NEXT) | instid1(VALU_DEP_2)
	v_lshlrev_b64_e64 v[12:13], v12, 1
	v_bfi_b32 v9, v9, 0, 0
	s_delay_alu instid0(VALU_DEP_3) | instskip(NEXT) | instid1(VALU_DEP_1)
	v_bfi_b32 v8, v8, 0, v2
	v_cmp_eq_u64_e64 s13, v[8:9], v[12:13]
	v_lshrrev_b64 v[8:9], v0, v[2:3]
	s_delay_alu instid0(VALU_DEP_1)
	v_mov_b64_e32 v[12:13], v[8:9]
	s_and_saveexec_b32 s75, s13
; %bb.5970:                             ;   in Loop: Header=BB6_4246 Depth=3
	v_bfe_u32 v2, v8, 20, 1
	s_delay_alu instid0(VALU_DEP_1) | instskip(NEXT) | instid1(VALU_DEP_1)
	v_add_nc_u64_e32 v[12:13], v[8:9], v[2:3]
	v_add_nc_u64_e32 v[12:13], -1, v[12:13]
; %bb.5971:                             ;   in Loop: Header=BB6_4246 Depth=3
	s_or_b32 exec_lo, exec_lo, s75
	v_add_nc_u32_e32 v2, 0xffffff81, v17
	v_lshrrev_b32_e32 v9, 23, v8
	s_mov_b32 s13, exec_lo
	s_delay_alu instid0(VALU_DEP_2) | instskip(NEXT) | instid1(VALU_DEP_1)
	v_cndmask_b32_e64 v2, v2, 0xffffff82, vcc_lo
	v_add3_u32 v13, v0, v2, v9
	v_and_b32_e32 v0, 0xfffff, v12
	s_delay_alu instid0(VALU_DEP_1) | instskip(NEXT) | instid1(VALU_DEP_1)
	v_dual_add_nc_u32 v12, 6, v13 :: v_dual_add_nc_u32 v2, v0, v8
                                        ; implicit-def: $vgpr8_vgpr9
                                        ; implicit-def: $vgpr0
	v_cmpx_ne_u32_e32 0, v12
	s_xor_b32 s13, exec_lo, s13
; %bb.5972:                             ;   in Loop: Header=BB6_4246 Depth=3
	s_delay_alu instid0(VALU_DEP_2) | instskip(SKIP_2) | instid1(VALU_DEP_2)
	v_cmp_lt_u64_e32 vcc_lo, 0xffffff, v[2:3]
	v_add_nc_u32_e32 v0, 7, v13
	v_cndmask_b32_e64 v8, 0, 1, vcc_lo
	v_cndmask_b32_e32 v0, v12, v0, vcc_lo
	s_delay_alu instid0(VALU_DEP_2)
	v_lshrrev_b64 v[8:9], v8, v[2:3]
; %bb.5973:                             ;   in Loop: Header=BB6_4246 Depth=3
	s_and_not1_saveexec_b32 s13, s13
; %bb.5974:                             ;   in Loop: Header=BB6_4246 Depth=3
	v_mov_b64_e32 v[8:9], v[2:3]
	v_bfe_u32 v0, v2, 23, 1
; %bb.5975:                             ;   in Loop: Header=BB6_4246 Depth=3
	s_or_b32 exec_lo, exec_lo, s13
	s_delay_alu instid0(VALU_DEP_2) | instskip(NEXT) | instid1(VALU_DEP_2)
	v_lshrrev_b64 v[8:9], 20, v[8:9]
	v_cmp_gt_i32_e32 vcc_lo, 16, v0
	v_min_i32_e32 v2, 15, v0
	v_cmp_eq_u32_e64 s13, 0, v0
	s_delay_alu instid0(VALU_DEP_2) | instskip(SKIP_1) | instid1(VALU_DEP_2)
	v_dual_cndmask_b32 v9, 0, v9 :: v_dual_lshlrev_b32 v2, 3, v2
	v_cndmask_b32_e32 v8, 7, v8, vcc_lo
	v_and_b32_e32 v2, 0xf8, v2
	s_delay_alu instid0(VALU_DEP_2) | instskip(NEXT) | instid1(VALU_DEP_2)
	v_cmp_eq_u64_e32 vcc_lo, 0, v[8:9]
	v_and_or_b32 v0, v8, 7, v2
	s_and_b32 s13, s13, vcc_lo
	s_delay_alu instid0(VALU_DEP_1) | instid1(SALU_CYCLE_1)
	v_cndmask_b32_e64 v0, v0, 0, s13
	s_delay_alu instid0(VALU_DEP_1)
	v_or_b32_e32 v17, v0, v18
.LBB6_5976:                             ;   in Loop: Header=BB6_4246 Depth=3
	s_or_b32 exec_lo, exec_lo, s74
                                        ; implicit-def: $vgpr18
.LBB6_5977:                             ;   in Loop: Header=BB6_4246 Depth=3
	s_and_not1_saveexec_b32 s13, s45
; %bb.5978:                             ;   in Loop: Header=BB6_4246 Depth=3
	v_or_b32_e32 v17, 0x7e, v18
; %bb.5979:                             ;   in Loop: Header=BB6_4246 Depth=3
	s_or_b32 exec_lo, exec_lo, s13
                                        ; implicit-def: $vgpr8
.LBB6_5980:                             ;   in Loop: Header=BB6_4246 Depth=3
	s_and_not1_saveexec_b32 s13, s44
; %bb.5981:                             ;   in Loop: Header=BB6_4246 Depth=3
	v_or_b32_e32 v17, 0x7f, v8
; %bb.5982:                             ;   in Loop: Header=BB6_4246 Depth=3
	s_or_b32 exec_lo, exec_lo, s13
	v_and_b32_e32 v0, 0xff, v14
	v_dual_mov_b32 v2, 0 :: v_dual_mov_b32 v8, 0
	s_mov_b32 s13, exec_lo
	s_delay_alu instid0(VALU_DEP_2)
	v_cmpx_ne_u16_e32 0, v0
	s_cbranch_execz .LBB6_5988
; %bb.5983:                             ;   in Loop: Header=BB6_4246 Depth=3
	v_bfrev_b32_e32 v8, 1
	s_mov_b32 s44, exec_lo
	v_cmpx_ne_u16_e32 0x80, v0
	s_cbranch_execz .LBB6_5987
; %bb.5984:                             ;   in Loop: Header=BB6_4246 Depth=3
	v_and_b32_e32 v0, 0x7f, v14
	v_mov_b32_e32 v8, 0x7f800001
	s_mov_b32 s45, exec_lo
	s_delay_alu instid0(VALU_DEP_2)
	v_cmpx_ne_u32_e32 0x7f, v0
	s_cbranch_execz .LBB6_5986
; %bb.5985:                             ;   in Loop: Header=BB6_4246 Depth=3
	v_dual_lshrrev_b32 v9, 3, v0 :: v_dual_bitop2_b32 v8, 7, v14 bitop3:0x40
	v_cmp_gt_u32_e32 vcc_lo, 8, v0
	s_delay_alu instid0(VALU_DEP_2) | instskip(NEXT) | instid1(VALU_DEP_1)
	v_clz_i32_u32_e32 v0, v8
	v_min_u32_e32 v0, 32, v0
	s_delay_alu instid0(VALU_DEP_1) | instskip(SKIP_1) | instid1(VALU_DEP_2)
	v_subrev_nc_u32_e32 v8, 28, v0
	v_sub_nc_u32_e32 v0, 29, v0
	v_cndmask_b32_e32 v8, 0, v8, vcc_lo
	s_delay_alu instid0(VALU_DEP_2) | instskip(NEXT) | instid1(VALU_DEP_2)
	v_cndmask_b32_e32 v0, v9, v0, vcc_lo
	v_lshlrev_b64_e32 v[8:9], v8, v[14:15]
	v_lshlrev_b32_e32 v9, 24, v14
	s_delay_alu instid0(VALU_DEP_3) | instskip(NEXT) | instid1(VALU_DEP_2)
	v_lshl_add_u32 v0, v0, 23, 0x3c000000
	v_and_b32_e32 v9, 0x80000000, v9
	s_delay_alu instid0(VALU_DEP_4) | instskip(NEXT) | instid1(VALU_DEP_1)
	v_lshlrev_b32_e32 v8, 20, v8
	v_and_b32_e32 v8, 0x700000, v8
	s_delay_alu instid0(VALU_DEP_1)
	v_or3_b32 v8, v8, v9, v0
.LBB6_5986:                             ;   in Loop: Header=BB6_4246 Depth=3
	s_or_b32 exec_lo, exec_lo, s45
.LBB6_5987:                             ;   in Loop: Header=BB6_4246 Depth=3
	s_delay_alu instid0(SALU_CYCLE_1)
	s_or_b32 exec_lo, exec_lo, s44
.LBB6_5988:                             ;   in Loop: Header=BB6_4246 Depth=3
	s_delay_alu instid0(SALU_CYCLE_1) | instskip(SKIP_2) | instid1(VALU_DEP_1)
	s_or_b32 exec_lo, exec_lo, s13
	v_and_b32_e32 v0, 0xff, v10
	s_mov_b32 s13, exec_lo
	v_cmpx_ne_u16_e32 0, v0
	s_cbranch_execz .LBB6_5994
; %bb.5989:                             ;   in Loop: Header=BB6_4246 Depth=3
	v_bfrev_b32_e32 v2, 1
	s_mov_b32 s44, exec_lo
	v_cmpx_ne_u16_e32 0x80, v0
	s_cbranch_execz .LBB6_5993
; %bb.5990:                             ;   in Loop: Header=BB6_4246 Depth=3
	v_and_b32_e32 v0, 0x7f, v10
	v_mov_b32_e32 v2, 0x7f800001
	s_mov_b32 s45, exec_lo
	s_delay_alu instid0(VALU_DEP_2)
	v_cmpx_ne_u32_e32 0x7f, v0
	s_cbranch_execz .LBB6_5992
; %bb.5991:                             ;   in Loop: Header=BB6_4246 Depth=3
	v_dual_lshrrev_b32 v9, 3, v0 :: v_dual_bitop2_b32 v2, 7, v10 bitop3:0x40
	v_cmp_gt_u32_e32 vcc_lo, 8, v0
	s_delay_alu instid0(VALU_DEP_2) | instskip(NEXT) | instid1(VALU_DEP_1)
	v_clz_i32_u32_e32 v0, v2
	v_min_u32_e32 v0, 32, v0
	s_delay_alu instid0(VALU_DEP_1) | instskip(NEXT) | instid1(VALU_DEP_1)
	v_subrev_nc_u32_e32 v2, 28, v0
	v_dual_sub_nc_u32 v0, 29, v0 :: v_dual_cndmask_b32 v2, 0, v2, vcc_lo
	s_delay_alu instid0(VALU_DEP_1) | instskip(NEXT) | instid1(VALU_DEP_2)
	v_dual_cndmask_b32 v0, v9, v0 :: v_dual_lshlrev_b32 v9, 24, v10
	v_lshlrev_b64_e32 v[12:13], v2, v[10:11]
	s_delay_alu instid0(VALU_DEP_2) | instskip(NEXT) | instid1(VALU_DEP_3)
	v_lshl_add_u32 v0, v0, 23, 0x3c000000
	v_and_b32_e32 v9, 0x80000000, v9
	s_delay_alu instid0(VALU_DEP_3) | instskip(NEXT) | instid1(VALU_DEP_1)
	v_lshlrev_b32_e32 v2, 20, v12
	v_and_b32_e32 v2, 0x700000, v2
	s_delay_alu instid0(VALU_DEP_1)
	v_or3_b32 v2, v2, v9, v0
.LBB6_5992:                             ;   in Loop: Header=BB6_4246 Depth=3
	s_or_b32 exec_lo, exec_lo, s45
.LBB6_5993:                             ;   in Loop: Header=BB6_4246 Depth=3
	s_delay_alu instid0(SALU_CYCLE_1)
	s_or_b32 exec_lo, exec_lo, s44
.LBB6_5994:                             ;   in Loop: Header=BB6_4246 Depth=3
	s_delay_alu instid0(SALU_CYCLE_1) | instskip(NEXT) | instid1(VALU_DEP_1)
	s_or_b32 exec_lo, exec_lo, s13
	v_add_f32_e32 v0, v8, v2
                                        ; implicit-def: $vgpr18
	s_mov_b32 s13, exec_lo
	s_delay_alu instid0(VALU_DEP_1) | instskip(SKIP_1) | instid1(VALU_DEP_2)
	v_and_b32_e32 v2, 0x7f800000, v0
	v_lshrrev_b32_e32 v8, 24, v0
	v_cmpx_ne_u64_e32 0x7f800000, v[2:3]
	s_xor_b32 s44, exec_lo, s13
	s_cbranch_execz .LBB6_6008
; %bb.5995:                             ;   in Loop: Header=BB6_4246 Depth=3
	v_and_b32_e32 v2, 0x7fffffff, v0
	v_and_b32_e32 v19, 0x80, v8
                                        ; implicit-def: $vgpr18
	s_mov_b32 s13, exec_lo
	s_delay_alu instid0(VALU_DEP_2)
	v_cmpx_gt_u64_e32 0x43e00001, v[2:3]
	s_xor_b32 s45, exec_lo, s13
	s_cbranch_execz .LBB6_6005
; %bb.5996:                             ;   in Loop: Header=BB6_4246 Depth=3
	v_mov_b32_e32 v18, 0
	s_mov_b32 s74, exec_lo
	v_cmpx_ne_u32_e32 0, v0
	s_cbranch_execz .LBB6_6004
; %bb.5997:                             ;   in Loop: Header=BB6_4246 Depth=3
	v_bfe_u32 v18, v0, 23, 8
	v_and_b32_e32 v2, 0x7fffff, v0
	s_delay_alu instid0(VALU_DEP_2) | instskip(SKIP_2) | instid1(VALU_DEP_4)
	v_cmp_gt_u32_e64 s13, 0x7a, v18
	v_sub_nc_u32_e32 v0, 0x79, v18
	v_cmp_eq_u32_e32 vcc_lo, 0, v18
	v_or_b32_e32 v8, 0x800000, v2
	s_delay_alu instid0(VALU_DEP_1) | instskip(NEXT) | instid1(VALU_DEP_1)
	v_dual_cndmask_b32 v0, 0, v0, s13 :: v_dual_cndmask_b32 v2, v8, v2, vcc_lo
	v_cndmask_b32_e64 v0, v0, 0x78, vcc_lo
	s_delay_alu instid0(VALU_DEP_1) | instskip(NEXT) | instid1(VALU_DEP_1)
	v_dual_add_nc_u32 v8, 20, v0 :: v_dual_add_nc_u32 v12, 19, v0
	v_lshlrev_b64_e64 v[8:9], v8, -1
	s_delay_alu instid0(VALU_DEP_2) | instskip(NEXT) | instid1(VALU_DEP_2)
	v_lshlrev_b64_e64 v[12:13], v12, 1
	v_bfi_b32 v9, v9, 0, 0
	s_delay_alu instid0(VALU_DEP_3) | instskip(NEXT) | instid1(VALU_DEP_1)
	v_bfi_b32 v8, v8, 0, v2
	v_cmp_eq_u64_e64 s13, v[8:9], v[12:13]
	v_lshrrev_b64 v[8:9], v0, v[2:3]
	s_delay_alu instid0(VALU_DEP_1)
	v_mov_b64_e32 v[12:13], v[8:9]
	s_and_saveexec_b32 s75, s13
; %bb.5998:                             ;   in Loop: Header=BB6_4246 Depth=3
	v_bfe_u32 v2, v8, 20, 1
	s_delay_alu instid0(VALU_DEP_1) | instskip(NEXT) | instid1(VALU_DEP_1)
	v_add_nc_u64_e32 v[12:13], v[8:9], v[2:3]
	v_add_nc_u64_e32 v[12:13], -1, v[12:13]
; %bb.5999:                             ;   in Loop: Header=BB6_4246 Depth=3
	s_or_b32 exec_lo, exec_lo, s75
	v_add_nc_u32_e32 v2, 0xffffff81, v18
	v_lshrrev_b32_e32 v9, 23, v8
	s_mov_b32 s13, exec_lo
	s_delay_alu instid0(VALU_DEP_2) | instskip(NEXT) | instid1(VALU_DEP_1)
	v_cndmask_b32_e64 v2, v2, 0xffffff82, vcc_lo
	v_add3_u32 v13, v0, v2, v9
	v_and_b32_e32 v0, 0xfffff, v12
	s_delay_alu instid0(VALU_DEP_1) | instskip(NEXT) | instid1(VALU_DEP_1)
	v_dual_add_nc_u32 v12, 6, v13 :: v_dual_add_nc_u32 v2, v0, v8
                                        ; implicit-def: $vgpr8_vgpr9
                                        ; implicit-def: $vgpr0
	v_cmpx_ne_u32_e32 0, v12
	s_xor_b32 s13, exec_lo, s13
; %bb.6000:                             ;   in Loop: Header=BB6_4246 Depth=3
	s_delay_alu instid0(VALU_DEP_2) | instskip(SKIP_2) | instid1(VALU_DEP_2)
	v_cmp_lt_u64_e32 vcc_lo, 0xffffff, v[2:3]
	v_add_nc_u32_e32 v0, 7, v13
	v_cndmask_b32_e64 v8, 0, 1, vcc_lo
	v_cndmask_b32_e32 v0, v12, v0, vcc_lo
	s_delay_alu instid0(VALU_DEP_2)
	v_lshrrev_b64 v[8:9], v8, v[2:3]
; %bb.6001:                             ;   in Loop: Header=BB6_4246 Depth=3
	s_and_not1_saveexec_b32 s13, s13
; %bb.6002:                             ;   in Loop: Header=BB6_4246 Depth=3
	v_mov_b64_e32 v[8:9], v[2:3]
	v_bfe_u32 v0, v2, 23, 1
; %bb.6003:                             ;   in Loop: Header=BB6_4246 Depth=3
	s_or_b32 exec_lo, exec_lo, s13
	s_delay_alu instid0(VALU_DEP_2) | instskip(NEXT) | instid1(VALU_DEP_2)
	v_lshrrev_b64 v[8:9], 20, v[8:9]
	v_cmp_gt_i32_e32 vcc_lo, 16, v0
	v_min_i32_e32 v2, 15, v0
	v_cmp_eq_u32_e64 s13, 0, v0
	s_delay_alu instid0(VALU_DEP_2) | instskip(SKIP_1) | instid1(VALU_DEP_2)
	v_dual_cndmask_b32 v9, 0, v9 :: v_dual_lshlrev_b32 v2, 3, v2
	v_cndmask_b32_e32 v8, 7, v8, vcc_lo
	v_and_b32_e32 v2, 0xf8, v2
	s_delay_alu instid0(VALU_DEP_2) | instskip(NEXT) | instid1(VALU_DEP_2)
	v_cmp_eq_u64_e32 vcc_lo, 0, v[8:9]
	v_and_or_b32 v0, v8, 7, v2
	s_and_b32 s13, s13, vcc_lo
	s_delay_alu instid0(VALU_DEP_1) | instid1(SALU_CYCLE_1)
	v_cndmask_b32_e64 v0, v0, 0, s13
	s_delay_alu instid0(VALU_DEP_1)
	v_or_b32_e32 v18, v0, v19
.LBB6_6004:                             ;   in Loop: Header=BB6_4246 Depth=3
	s_or_b32 exec_lo, exec_lo, s74
                                        ; implicit-def: $vgpr19
.LBB6_6005:                             ;   in Loop: Header=BB6_4246 Depth=3
	s_and_not1_saveexec_b32 s13, s45
; %bb.6006:                             ;   in Loop: Header=BB6_4246 Depth=3
	v_or_b32_e32 v18, 0x7e, v19
; %bb.6007:                             ;   in Loop: Header=BB6_4246 Depth=3
	s_or_b32 exec_lo, exec_lo, s13
                                        ; implicit-def: $vgpr8
.LBB6_6008:                             ;   in Loop: Header=BB6_4246 Depth=3
	s_and_not1_saveexec_b32 s13, s44
; %bb.6009:                             ;   in Loop: Header=BB6_4246 Depth=3
	v_or_b32_e32 v18, 0x7f, v8
; %bb.6010:                             ;   in Loop: Header=BB6_4246 Depth=3
	s_or_b32 exec_lo, exec_lo, s13
	v_lshrrev_b16 v0, 8, v14
	v_dual_mov_b32 v12, 0 :: v_dual_mov_b32 v13, 0
	s_mov_b32 s13, exec_lo
	s_delay_alu instid0(VALU_DEP_2)
	v_cmpx_ne_u16_e32 0, v0
	s_cbranch_execz .LBB6_6018
; %bb.6011:                             ;   in Loop: Header=BB6_4246 Depth=3
	v_bfrev_b32_e32 v13, 1
	s_mov_b32 s44, exec_lo
	v_cmpx_ne_u16_e32 0x80, v0
	s_cbranch_execz .LBB6_6017
; %bb.6012:                             ;   in Loop: Header=BB6_4246 Depth=3
	v_and_b32_e32 v0, 0xffff, v0
	v_mov_b32_e32 v13, 0x7f800001
	s_mov_b32 s45, exec_lo
	s_delay_alu instid0(VALU_DEP_2) | instskip(NEXT) | instid1(VALU_DEP_1)
	v_and_b32_e32 v8, 0x7f, v0
	v_cmpx_ne_u32_e32 0x7f, v8
	s_cbranch_execz .LBB6_6016
; %bb.6013:                             ;   in Loop: Header=BB6_4246 Depth=3
	v_and_b32_e32 v2, 7, v0
	v_lshrrev_b32_e32 v0, 3, v8
	v_cmp_gt_u32_e32 vcc_lo, 8, v8
	s_delay_alu instid0(VALU_DEP_3)
	v_mov_b64_e32 v[8:9], v[2:3]
	s_and_saveexec_b32 s74, vcc_lo
; %bb.6014:                             ;   in Loop: Header=BB6_4246 Depth=3
	v_clz_i32_u32_e32 v0, v2
	s_delay_alu instid0(VALU_DEP_1) | instskip(NEXT) | instid1(VALU_DEP_1)
	v_min_u32_e32 v0, 32, v0
	v_subrev_nc_u32_e32 v8, 28, v0
	v_sub_nc_u32_e32 v0, 29, v0
	s_delay_alu instid0(VALU_DEP_2) | instskip(NEXT) | instid1(VALU_DEP_1)
	v_lshlrev_b64_e32 v[8:9], v8, v[2:3]
	v_and_b32_e32 v8, 7, v8
; %bb.6015:                             ;   in Loop: Header=BB6_4246 Depth=3
	s_or_b32 exec_lo, exec_lo, s74
	s_delay_alu instid0(VALU_DEP_1) | instskip(SKIP_1) | instid1(VALU_DEP_2)
	v_dual_lshlrev_b32 v2, 16, v14 :: v_dual_lshlrev_b32 v8, 20, v8
	v_lshl_add_u32 v0, v0, 23, 0x3c000000
	v_and_b32_e32 v2, 0x80000000, v2
	s_delay_alu instid0(VALU_DEP_1)
	v_or3_b32 v13, v8, v2, v0
.LBB6_6016:                             ;   in Loop: Header=BB6_4246 Depth=3
	s_or_b32 exec_lo, exec_lo, s45
.LBB6_6017:                             ;   in Loop: Header=BB6_4246 Depth=3
	s_delay_alu instid0(SALU_CYCLE_1)
	s_or_b32 exec_lo, exec_lo, s44
.LBB6_6018:                             ;   in Loop: Header=BB6_4246 Depth=3
	s_delay_alu instid0(SALU_CYCLE_1) | instskip(SKIP_2) | instid1(VALU_DEP_1)
	s_or_b32 exec_lo, exec_lo, s13
	v_lshrrev_b16 v0, 8, v10
	s_mov_b32 s13, exec_lo
	v_cmpx_ne_u16_e32 0, v0
	s_cbranch_execz .LBB6_6026
; %bb.6019:                             ;   in Loop: Header=BB6_4246 Depth=3
	v_bfrev_b32_e32 v12, 1
	s_mov_b32 s44, exec_lo
	v_cmpx_ne_u16_e32 0x80, v0
	s_cbranch_execz .LBB6_6025
; %bb.6020:                             ;   in Loop: Header=BB6_4246 Depth=3
	v_and_b32_e32 v0, 0xffff, v0
	v_mov_b32_e32 v12, 0x7f800001
	s_mov_b32 s45, exec_lo
	s_delay_alu instid0(VALU_DEP_2) | instskip(NEXT) | instid1(VALU_DEP_1)
	v_and_b32_e32 v8, 0x7f, v0
	v_cmpx_ne_u32_e32 0x7f, v8
	s_cbranch_execz .LBB6_6024
; %bb.6021:                             ;   in Loop: Header=BB6_4246 Depth=3
	v_and_b32_e32 v2, 7, v0
	v_lshrrev_b32_e32 v0, 3, v8
	v_cmp_gt_u32_e32 vcc_lo, 8, v8
	s_delay_alu instid0(VALU_DEP_3)
	v_mov_b64_e32 v[8:9], v[2:3]
	s_and_saveexec_b32 s74, vcc_lo
; %bb.6022:                             ;   in Loop: Header=BB6_4246 Depth=3
	v_clz_i32_u32_e32 v0, v2
	s_delay_alu instid0(VALU_DEP_1) | instskip(NEXT) | instid1(VALU_DEP_1)
	v_min_u32_e32 v0, 32, v0
	v_subrev_nc_u32_e32 v8, 28, v0
	v_sub_nc_u32_e32 v0, 29, v0
	s_delay_alu instid0(VALU_DEP_2) | instskip(NEXT) | instid1(VALU_DEP_1)
	v_lshlrev_b64_e32 v[8:9], v8, v[2:3]
	v_and_b32_e32 v8, 7, v8
; %bb.6023:                             ;   in Loop: Header=BB6_4246 Depth=3
	s_or_b32 exec_lo, exec_lo, s74
	s_delay_alu instid0(VALU_DEP_1) | instskip(SKIP_1) | instid1(VALU_DEP_2)
	v_dual_lshlrev_b32 v2, 16, v10 :: v_dual_lshlrev_b32 v8, 20, v8
	v_lshl_add_u32 v0, v0, 23, 0x3c000000
	v_and_b32_e32 v2, 0x80000000, v2
	s_delay_alu instid0(VALU_DEP_1)
	v_or3_b32 v12, v8, v2, v0
.LBB6_6024:                             ;   in Loop: Header=BB6_4246 Depth=3
	s_or_b32 exec_lo, exec_lo, s45
.LBB6_6025:                             ;   in Loop: Header=BB6_4246 Depth=3
	s_delay_alu instid0(SALU_CYCLE_1)
	s_or_b32 exec_lo, exec_lo, s44
.LBB6_6026:                             ;   in Loop: Header=BB6_4246 Depth=3
	s_delay_alu instid0(SALU_CYCLE_1) | instskip(NEXT) | instid1(VALU_DEP_1)
	s_or_b32 exec_lo, exec_lo, s13
	v_add_f32_e32 v0, v13, v12
                                        ; implicit-def: $vgpr19
	s_mov_b32 s13, exec_lo
	s_delay_alu instid0(VALU_DEP_1) | instskip(SKIP_1) | instid1(VALU_DEP_2)
	v_and_b32_e32 v2, 0x7f800000, v0
	v_lshrrev_b32_e32 v8, 24, v0
	v_cmpx_ne_u64_e32 0x7f800000, v[2:3]
	s_xor_b32 s44, exec_lo, s13
	s_cbranch_execz .LBB6_6040
; %bb.6027:                             ;   in Loop: Header=BB6_4246 Depth=3
	v_and_b32_e32 v2, 0x7fffffff, v0
	v_and_b32_e32 v66, 0x80, v8
                                        ; implicit-def: $vgpr19
	s_mov_b32 s13, exec_lo
	s_delay_alu instid0(VALU_DEP_2)
	v_cmpx_gt_u64_e32 0x43e00001, v[2:3]
	s_xor_b32 s45, exec_lo, s13
	s_cbranch_execz .LBB6_6037
; %bb.6028:                             ;   in Loop: Header=BB6_4246 Depth=3
	v_mov_b32_e32 v19, 0
	s_mov_b32 s74, exec_lo
	v_cmpx_ne_u32_e32 0, v0
	s_cbranch_execz .LBB6_6036
; %bb.6029:                             ;   in Loop: Header=BB6_4246 Depth=3
	v_bfe_u32 v19, v0, 23, 8
	v_and_b32_e32 v2, 0x7fffff, v0
	s_delay_alu instid0(VALU_DEP_2) | instskip(SKIP_2) | instid1(VALU_DEP_4)
	v_cmp_gt_u32_e64 s13, 0x7a, v19
	v_sub_nc_u32_e32 v0, 0x79, v19
	v_cmp_eq_u32_e32 vcc_lo, 0, v19
	v_or_b32_e32 v8, 0x800000, v2
	s_delay_alu instid0(VALU_DEP_1) | instskip(NEXT) | instid1(VALU_DEP_1)
	v_dual_cndmask_b32 v0, 0, v0, s13 :: v_dual_cndmask_b32 v2, v8, v2, vcc_lo
	v_cndmask_b32_e64 v0, v0, 0x78, vcc_lo
	s_delay_alu instid0(VALU_DEP_1) | instskip(NEXT) | instid1(VALU_DEP_1)
	v_dual_add_nc_u32 v8, 20, v0 :: v_dual_add_nc_u32 v12, 19, v0
	v_lshlrev_b64_e64 v[8:9], v8, -1
	s_delay_alu instid0(VALU_DEP_2) | instskip(NEXT) | instid1(VALU_DEP_2)
	v_lshlrev_b64_e64 v[12:13], v12, 1
	v_bfi_b32 v9, v9, 0, 0
	s_delay_alu instid0(VALU_DEP_3) | instskip(NEXT) | instid1(VALU_DEP_1)
	v_bfi_b32 v8, v8, 0, v2
	v_cmp_eq_u64_e64 s13, v[8:9], v[12:13]
	v_lshrrev_b64 v[8:9], v0, v[2:3]
	s_delay_alu instid0(VALU_DEP_1)
	v_mov_b64_e32 v[12:13], v[8:9]
	s_and_saveexec_b32 s75, s13
; %bb.6030:                             ;   in Loop: Header=BB6_4246 Depth=3
	v_bfe_u32 v2, v8, 20, 1
	s_delay_alu instid0(VALU_DEP_1) | instskip(NEXT) | instid1(VALU_DEP_1)
	v_add_nc_u64_e32 v[12:13], v[8:9], v[2:3]
	v_add_nc_u64_e32 v[12:13], -1, v[12:13]
; %bb.6031:                             ;   in Loop: Header=BB6_4246 Depth=3
	s_or_b32 exec_lo, exec_lo, s75
	v_add_nc_u32_e32 v2, 0xffffff81, v19
	v_lshrrev_b32_e32 v9, 23, v8
	s_mov_b32 s13, exec_lo
	s_delay_alu instid0(VALU_DEP_2) | instskip(NEXT) | instid1(VALU_DEP_1)
	v_cndmask_b32_e64 v2, v2, 0xffffff82, vcc_lo
	v_add3_u32 v13, v0, v2, v9
	v_and_b32_e32 v0, 0xfffff, v12
	s_delay_alu instid0(VALU_DEP_1) | instskip(NEXT) | instid1(VALU_DEP_1)
	v_dual_add_nc_u32 v12, 6, v13 :: v_dual_add_nc_u32 v2, v0, v8
                                        ; implicit-def: $vgpr8_vgpr9
                                        ; implicit-def: $vgpr0
	v_cmpx_ne_u32_e32 0, v12
	s_xor_b32 s13, exec_lo, s13
; %bb.6032:                             ;   in Loop: Header=BB6_4246 Depth=3
	s_delay_alu instid0(VALU_DEP_2) | instskip(SKIP_2) | instid1(VALU_DEP_2)
	v_cmp_lt_u64_e32 vcc_lo, 0xffffff, v[2:3]
	v_add_nc_u32_e32 v0, 7, v13
	v_cndmask_b32_e64 v8, 0, 1, vcc_lo
	v_cndmask_b32_e32 v0, v12, v0, vcc_lo
	s_delay_alu instid0(VALU_DEP_2)
	v_lshrrev_b64 v[8:9], v8, v[2:3]
; %bb.6033:                             ;   in Loop: Header=BB6_4246 Depth=3
	s_and_not1_saveexec_b32 s13, s13
; %bb.6034:                             ;   in Loop: Header=BB6_4246 Depth=3
	v_mov_b64_e32 v[8:9], v[2:3]
	v_bfe_u32 v0, v2, 23, 1
; %bb.6035:                             ;   in Loop: Header=BB6_4246 Depth=3
	s_or_b32 exec_lo, exec_lo, s13
	s_delay_alu instid0(VALU_DEP_2) | instskip(NEXT) | instid1(VALU_DEP_2)
	v_lshrrev_b64 v[8:9], 20, v[8:9]
	v_cmp_gt_i32_e32 vcc_lo, 16, v0
	v_min_i32_e32 v2, 15, v0
	v_cmp_eq_u32_e64 s13, 0, v0
	s_delay_alu instid0(VALU_DEP_2) | instskip(SKIP_1) | instid1(VALU_DEP_2)
	v_dual_cndmask_b32 v9, 0, v9 :: v_dual_lshlrev_b32 v2, 3, v2
	v_cndmask_b32_e32 v8, 7, v8, vcc_lo
	v_and_b32_e32 v2, 0xf8, v2
	s_delay_alu instid0(VALU_DEP_2) | instskip(NEXT) | instid1(VALU_DEP_2)
	v_cmp_eq_u64_e32 vcc_lo, 0, v[8:9]
	v_and_or_b32 v0, v8, 7, v2
	s_and_b32 s13, s13, vcc_lo
	s_delay_alu instid0(VALU_DEP_1) | instid1(SALU_CYCLE_1)
	v_cndmask_b32_e64 v0, v0, 0, s13
	s_delay_alu instid0(VALU_DEP_1)
	v_or_b32_e32 v19, v0, v66
.LBB6_6036:                             ;   in Loop: Header=BB6_4246 Depth=3
	s_or_b32 exec_lo, exec_lo, s74
                                        ; implicit-def: $vgpr66
.LBB6_6037:                             ;   in Loop: Header=BB6_4246 Depth=3
	s_and_not1_saveexec_b32 s13, s45
; %bb.6038:                             ;   in Loop: Header=BB6_4246 Depth=3
	v_or_b32_e32 v19, 0x7e, v66
; %bb.6039:                             ;   in Loop: Header=BB6_4246 Depth=3
	s_or_b32 exec_lo, exec_lo, s13
                                        ; implicit-def: $vgpr8
.LBB6_6040:                             ;   in Loop: Header=BB6_4246 Depth=3
	s_and_not1_saveexec_b32 s13, s44
; %bb.6041:                             ;   in Loop: Header=BB6_4246 Depth=3
	v_or_b32_e32 v19, 0x7f, v8
; %bb.6042:                             ;   in Loop: Header=BB6_4246 Depth=3
	s_or_b32 exec_lo, exec_lo, s13
	v_dual_lshrrev_b32 v0, 16, v14 :: v_dual_mov_b32 v12, 0
	v_mov_b32_e32 v13, 0
	s_mov_b32 s13, exec_lo
	s_delay_alu instid0(VALU_DEP_2) | instskip(NEXT) | instid1(VALU_DEP_1)
	v_and_b32_e32 v2, 0xff, v0
	v_cmpx_ne_u16_e32 0, v2
	s_cbranch_execz .LBB6_6050
; %bb.6043:                             ;   in Loop: Header=BB6_4246 Depth=3
	v_bfrev_b32_e32 v13, 1
	s_mov_b32 s44, exec_lo
	v_cmpx_ne_u16_e32 0x80, v2
	s_cbranch_execz .LBB6_6049
; %bb.6044:                             ;   in Loop: Header=BB6_4246 Depth=3
	v_bfe_u32 v8, v14, 16, 7
	v_mov_b32_e32 v13, 0x7f800001
	s_mov_b32 s45, exec_lo
	s_delay_alu instid0(VALU_DEP_2)
	v_cmpx_ne_u32_e32 0x7f, v8
	s_cbranch_execz .LBB6_6048
; %bb.6045:                             ;   in Loop: Header=BB6_4246 Depth=3
	v_and_b32_e32 v2, 7, v0
	v_lshrrev_b32_e32 v13, 3, v8
	v_cmp_gt_u32_e32 vcc_lo, 8, v8
	s_delay_alu instid0(VALU_DEP_3)
	v_mov_b64_e32 v[8:9], v[2:3]
	s_and_saveexec_b32 s74, vcc_lo
; %bb.6046:                             ;   in Loop: Header=BB6_4246 Depth=3
	v_clz_i32_u32_e32 v8, v2
	s_delay_alu instid0(VALU_DEP_1) | instskip(NEXT) | instid1(VALU_DEP_1)
	v_min_u32_e32 v13, 32, v8
	v_subrev_nc_u32_e32 v8, 28, v13
	s_delay_alu instid0(VALU_DEP_1) | instskip(NEXT) | instid1(VALU_DEP_1)
	v_lshlrev_b64_e32 v[8:9], v8, v[2:3]
	v_dual_sub_nc_u32 v13, 29, v13 :: v_dual_bitop2_b32 v8, 7, v8 bitop3:0x40
; %bb.6047:                             ;   in Loop: Header=BB6_4246 Depth=3
	s_or_b32 exec_lo, exec_lo, s74
	v_lshlrev_b32_e32 v0, 24, v0
	s_delay_alu instid0(VALU_DEP_2) | instskip(NEXT) | instid1(VALU_DEP_3)
	v_lshlrev_b32_e32 v2, 20, v8
	v_lshl_add_u32 v8, v13, 23, 0x3c000000
	s_delay_alu instid0(VALU_DEP_3) | instskip(NEXT) | instid1(VALU_DEP_1)
	v_and_b32_e32 v0, 0x80000000, v0
	v_or3_b32 v13, v2, v0, v8
.LBB6_6048:                             ;   in Loop: Header=BB6_4246 Depth=3
	s_or_b32 exec_lo, exec_lo, s45
.LBB6_6049:                             ;   in Loop: Header=BB6_4246 Depth=3
	s_delay_alu instid0(SALU_CYCLE_1)
	s_or_b32 exec_lo, exec_lo, s44
.LBB6_6050:                             ;   in Loop: Header=BB6_4246 Depth=3
	s_delay_alu instid0(SALU_CYCLE_1) | instskip(SKIP_2) | instid1(VALU_DEP_1)
	s_or_b32 exec_lo, exec_lo, s13
	v_lshrrev_b32_e32 v0, 16, v10
	s_mov_b32 s13, exec_lo
	v_and_b32_e32 v2, 0xff, v0
	s_delay_alu instid0(VALU_DEP_1)
	v_cmpx_ne_u16_e32 0, v2
	s_cbranch_execz .LBB6_6058
; %bb.6051:                             ;   in Loop: Header=BB6_4246 Depth=3
	v_bfrev_b32_e32 v12, 1
	s_mov_b32 s44, exec_lo
	v_cmpx_ne_u16_e32 0x80, v2
	s_cbranch_execz .LBB6_6057
; %bb.6052:                             ;   in Loop: Header=BB6_4246 Depth=3
	v_bfe_u32 v8, v10, 16, 7
	v_mov_b32_e32 v12, 0x7f800001
	s_mov_b32 s45, exec_lo
	s_delay_alu instid0(VALU_DEP_2)
	v_cmpx_ne_u32_e32 0x7f, v8
	s_cbranch_execz .LBB6_6056
; %bb.6053:                             ;   in Loop: Header=BB6_4246 Depth=3
	v_and_b32_e32 v2, 7, v0
	v_lshrrev_b32_e32 v0, 3, v8
	v_cmp_gt_u32_e32 vcc_lo, 8, v8
	s_delay_alu instid0(VALU_DEP_3)
	v_mov_b64_e32 v[8:9], v[2:3]
	s_and_saveexec_b32 s74, vcc_lo
; %bb.6054:                             ;   in Loop: Header=BB6_4246 Depth=3
	v_clz_i32_u32_e32 v0, v2
	s_delay_alu instid0(VALU_DEP_1) | instskip(NEXT) | instid1(VALU_DEP_1)
	v_min_u32_e32 v0, 32, v0
	v_subrev_nc_u32_e32 v8, 28, v0
	v_sub_nc_u32_e32 v0, 29, v0
	s_delay_alu instid0(VALU_DEP_2) | instskip(NEXT) | instid1(VALU_DEP_1)
	v_lshlrev_b64_e32 v[8:9], v8, v[2:3]
	v_and_b32_e32 v8, 7, v8
; %bb.6055:                             ;   in Loop: Header=BB6_4246 Depth=3
	s_or_b32 exec_lo, exec_lo, s74
	s_delay_alu instid0(VALU_DEP_1) | instskip(SKIP_1) | instid1(VALU_DEP_2)
	v_dual_lshlrev_b32 v2, 8, v10 :: v_dual_lshlrev_b32 v8, 20, v8
	v_lshl_add_u32 v0, v0, 23, 0x3c000000
	v_and_b32_e32 v2, 0x80000000, v2
	s_delay_alu instid0(VALU_DEP_1)
	v_or3_b32 v12, v8, v2, v0
.LBB6_6056:                             ;   in Loop: Header=BB6_4246 Depth=3
	s_or_b32 exec_lo, exec_lo, s45
.LBB6_6057:                             ;   in Loop: Header=BB6_4246 Depth=3
	s_delay_alu instid0(SALU_CYCLE_1)
	s_or_b32 exec_lo, exec_lo, s44
.LBB6_6058:                             ;   in Loop: Header=BB6_4246 Depth=3
	s_delay_alu instid0(SALU_CYCLE_1) | instskip(NEXT) | instid1(VALU_DEP_1)
	s_or_b32 exec_lo, exec_lo, s13
	v_add_f32_e32 v0, v13, v12
                                        ; implicit-def: $vgpr124
	s_mov_b32 s13, exec_lo
	s_delay_alu instid0(VALU_DEP_1) | instskip(SKIP_1) | instid1(VALU_DEP_2)
	v_and_b32_e32 v2, 0x7f800000, v0
	v_lshrrev_b32_e32 v8, 24, v0
	v_cmpx_ne_u64_e32 0x7f800000, v[2:3]
	s_xor_b32 s44, exec_lo, s13
	s_cbranch_execz .LBB6_6072
; %bb.6059:                             ;   in Loop: Header=BB6_4246 Depth=3
	v_and_b32_e32 v2, 0x7fffffff, v0
	v_and_b32_e32 v66, 0x80, v8
                                        ; implicit-def: $vgpr124
	s_mov_b32 s13, exec_lo
	s_delay_alu instid0(VALU_DEP_2)
	v_cmpx_gt_u64_e32 0x43e00001, v[2:3]
	s_xor_b32 s45, exec_lo, s13
	s_cbranch_execz .LBB6_6069
; %bb.6060:                             ;   in Loop: Header=BB6_4246 Depth=3
	v_mov_b32_e32 v124, 0
	s_mov_b32 s74, exec_lo
	v_cmpx_ne_u32_e32 0, v0
	s_cbranch_execz .LBB6_6068
; %bb.6061:                             ;   in Loop: Header=BB6_4246 Depth=3
	v_bfe_u32 v67, v0, 23, 8
	v_and_b32_e32 v2, 0x7fffff, v0
	s_delay_alu instid0(VALU_DEP_2) | instskip(SKIP_2) | instid1(VALU_DEP_4)
	v_cmp_gt_u32_e64 s13, 0x7a, v67
	v_sub_nc_u32_e32 v0, 0x79, v67
	v_cmp_eq_u32_e32 vcc_lo, 0, v67
	v_or_b32_e32 v8, 0x800000, v2
	s_delay_alu instid0(VALU_DEP_1) | instskip(NEXT) | instid1(VALU_DEP_1)
	v_dual_cndmask_b32 v0, 0, v0, s13 :: v_dual_cndmask_b32 v2, v8, v2, vcc_lo
	v_cndmask_b32_e64 v0, v0, 0x78, vcc_lo
	s_delay_alu instid0(VALU_DEP_1) | instskip(NEXT) | instid1(VALU_DEP_1)
	v_dual_add_nc_u32 v8, 20, v0 :: v_dual_add_nc_u32 v12, 19, v0
	v_lshlrev_b64_e64 v[8:9], v8, -1
	s_delay_alu instid0(VALU_DEP_2) | instskip(NEXT) | instid1(VALU_DEP_2)
	v_lshlrev_b64_e64 v[12:13], v12, 1
	v_bfi_b32 v9, v9, 0, 0
	s_delay_alu instid0(VALU_DEP_3) | instskip(NEXT) | instid1(VALU_DEP_1)
	v_bfi_b32 v8, v8, 0, v2
	v_cmp_eq_u64_e64 s13, v[8:9], v[12:13]
	v_lshrrev_b64 v[8:9], v0, v[2:3]
	s_delay_alu instid0(VALU_DEP_1)
	v_mov_b64_e32 v[12:13], v[8:9]
	s_and_saveexec_b32 s75, s13
; %bb.6062:                             ;   in Loop: Header=BB6_4246 Depth=3
	v_bfe_u32 v2, v8, 20, 1
	s_delay_alu instid0(VALU_DEP_1) | instskip(NEXT) | instid1(VALU_DEP_1)
	v_add_nc_u64_e32 v[12:13], v[8:9], v[2:3]
	v_add_nc_u64_e32 v[12:13], -1, v[12:13]
; %bb.6063:                             ;   in Loop: Header=BB6_4246 Depth=3
	s_or_b32 exec_lo, exec_lo, s75
	v_add_nc_u32_e32 v2, 0xffffff81, v67
	v_lshrrev_b32_e32 v9, 23, v8
	s_mov_b32 s13, exec_lo
	s_delay_alu instid0(VALU_DEP_2) | instskip(NEXT) | instid1(VALU_DEP_1)
	v_cndmask_b32_e64 v2, v2, 0xffffff82, vcc_lo
	v_add3_u32 v13, v0, v2, v9
	v_and_b32_e32 v0, 0xfffff, v12
	s_delay_alu instid0(VALU_DEP_1) | instskip(NEXT) | instid1(VALU_DEP_1)
	v_dual_add_nc_u32 v12, 6, v13 :: v_dual_add_nc_u32 v2, v0, v8
                                        ; implicit-def: $vgpr8_vgpr9
                                        ; implicit-def: $vgpr0
	v_cmpx_ne_u32_e32 0, v12
	s_xor_b32 s13, exec_lo, s13
; %bb.6064:                             ;   in Loop: Header=BB6_4246 Depth=3
	s_delay_alu instid0(VALU_DEP_2) | instskip(SKIP_2) | instid1(VALU_DEP_2)
	v_cmp_lt_u64_e32 vcc_lo, 0xffffff, v[2:3]
	v_add_nc_u32_e32 v0, 7, v13
	v_cndmask_b32_e64 v8, 0, 1, vcc_lo
	v_cndmask_b32_e32 v0, v12, v0, vcc_lo
	s_delay_alu instid0(VALU_DEP_2)
	v_lshrrev_b64 v[8:9], v8, v[2:3]
; %bb.6065:                             ;   in Loop: Header=BB6_4246 Depth=3
	s_and_not1_saveexec_b32 s13, s13
; %bb.6066:                             ;   in Loop: Header=BB6_4246 Depth=3
	v_mov_b64_e32 v[8:9], v[2:3]
	v_bfe_u32 v0, v2, 23, 1
; %bb.6067:                             ;   in Loop: Header=BB6_4246 Depth=3
	s_or_b32 exec_lo, exec_lo, s13
	s_delay_alu instid0(VALU_DEP_2) | instskip(NEXT) | instid1(VALU_DEP_2)
	v_lshrrev_b64 v[8:9], 20, v[8:9]
	v_cmp_gt_i32_e32 vcc_lo, 16, v0
	v_min_i32_e32 v2, 15, v0
	v_cmp_eq_u32_e64 s13, 0, v0
	s_delay_alu instid0(VALU_DEP_2) | instskip(SKIP_1) | instid1(VALU_DEP_2)
	v_dual_cndmask_b32 v9, 0, v9 :: v_dual_lshlrev_b32 v2, 3, v2
	v_cndmask_b32_e32 v8, 7, v8, vcc_lo
	v_and_b32_e32 v2, 0xf8, v2
	s_delay_alu instid0(VALU_DEP_2) | instskip(NEXT) | instid1(VALU_DEP_2)
	v_cmp_eq_u64_e32 vcc_lo, 0, v[8:9]
	v_and_or_b32 v0, v8, 7, v2
	s_and_b32 s13, s13, vcc_lo
	s_delay_alu instid0(VALU_DEP_1) | instid1(SALU_CYCLE_1)
	v_cndmask_b32_e64 v0, v0, 0, s13
	s_delay_alu instid0(VALU_DEP_1)
	v_or_b32_e32 v124, v0, v66
.LBB6_6068:                             ;   in Loop: Header=BB6_4246 Depth=3
	s_or_b32 exec_lo, exec_lo, s74
                                        ; implicit-def: $vgpr66
.LBB6_6069:                             ;   in Loop: Header=BB6_4246 Depth=3
	s_and_not1_saveexec_b32 s13, s45
; %bb.6070:                             ;   in Loop: Header=BB6_4246 Depth=3
	v_or_b32_e32 v124, 0x7e, v66
; %bb.6071:                             ;   in Loop: Header=BB6_4246 Depth=3
	s_or_b32 exec_lo, exec_lo, s13
                                        ; implicit-def: $vgpr8
.LBB6_6072:                             ;   in Loop: Header=BB6_4246 Depth=3
	s_and_not1_saveexec_b32 s13, s44
; %bb.6073:                             ;   in Loop: Header=BB6_4246 Depth=3
	v_or_b32_e32 v124, 0x7f, v8
; %bb.6074:                             ;   in Loop: Header=BB6_4246 Depth=3
	s_or_b32 exec_lo, exec_lo, s13
	v_dual_mov_b32 v12, 0 :: v_dual_mov_b32 v13, 0
	s_mov_b32 s13, exec_lo
	v_cmpx_lt_u32_e32 0xffffff, v14
	s_cbranch_execz .LBB6_6082
; %bb.6075:                             ;   in Loop: Header=BB6_4246 Depth=3
	v_lshrrev_b32_e32 v0, 24, v14
	v_bfrev_b32_e32 v13, 1
	s_mov_b32 s44, exec_lo
	s_delay_alu instid0(VALU_DEP_2)
	v_cmpx_ne_u32_e32 0x80, v0
	s_cbranch_execz .LBB6_6081
; %bb.6076:                             ;   in Loop: Header=BB6_4246 Depth=3
	v_bfe_u32 v8, v14, 24, 7
	v_mov_b32_e32 v13, 0x7f800001
	s_mov_b32 s45, exec_lo
	s_delay_alu instid0(VALU_DEP_2)
	v_cmpx_ne_u32_e32 0x7f, v8
	s_cbranch_execz .LBB6_6080
; %bb.6077:                             ;   in Loop: Header=BB6_4246 Depth=3
	v_and_b32_e32 v2, 7, v0
	v_lshrrev_b32_e32 v13, 3, v8
	v_cmp_gt_u32_e32 vcc_lo, 8, v8
	s_delay_alu instid0(VALU_DEP_3)
	v_mov_b64_e32 v[8:9], v[2:3]
	s_and_saveexec_b32 s74, vcc_lo
; %bb.6078:                             ;   in Loop: Header=BB6_4246 Depth=3
	v_clz_i32_u32_e32 v8, v2
	s_delay_alu instid0(VALU_DEP_1) | instskip(NEXT) | instid1(VALU_DEP_1)
	v_min_u32_e32 v13, 32, v8
	v_subrev_nc_u32_e32 v8, 28, v13
	s_delay_alu instid0(VALU_DEP_1) | instskip(NEXT) | instid1(VALU_DEP_1)
	v_lshlrev_b64_e32 v[8:9], v8, v[2:3]
	v_dual_sub_nc_u32 v13, 29, v13 :: v_dual_bitop2_b32 v8, 7, v8 bitop3:0x40
; %bb.6079:                             ;   in Loop: Header=BB6_4246 Depth=3
	s_or_b32 exec_lo, exec_lo, s74
	v_lshlrev_b32_e32 v0, 24, v0
	s_delay_alu instid0(VALU_DEP_2) | instskip(NEXT) | instid1(VALU_DEP_3)
	v_lshlrev_b32_e32 v2, 20, v8
	v_lshl_add_u32 v8, v13, 23, 0x3c000000
	s_delay_alu instid0(VALU_DEP_3) | instskip(NEXT) | instid1(VALU_DEP_1)
	v_and_b32_e32 v0, 0x80000000, v0
	v_or3_b32 v13, v2, v0, v8
.LBB6_6080:                             ;   in Loop: Header=BB6_4246 Depth=3
	s_or_b32 exec_lo, exec_lo, s45
.LBB6_6081:                             ;   in Loop: Header=BB6_4246 Depth=3
	s_delay_alu instid0(SALU_CYCLE_1)
	s_or_b32 exec_lo, exec_lo, s44
.LBB6_6082:                             ;   in Loop: Header=BB6_4246 Depth=3
	s_delay_alu instid0(SALU_CYCLE_1) | instskip(NEXT) | instid1(SALU_CYCLE_1)
	s_or_b32 exec_lo, exec_lo, s13
	s_mov_b32 s13, exec_lo
	v_cmpx_lt_u32_e32 0xffffff, v10
	s_cbranch_execz .LBB6_6090
; %bb.6083:                             ;   in Loop: Header=BB6_4246 Depth=3
	v_lshrrev_b32_e32 v0, 24, v10
	v_bfrev_b32_e32 v12, 1
	s_mov_b32 s44, exec_lo
	s_delay_alu instid0(VALU_DEP_2)
	v_cmpx_ne_u32_e32 0x80, v0
	s_cbranch_execz .LBB6_6089
; %bb.6084:                             ;   in Loop: Header=BB6_4246 Depth=3
	v_bfe_u32 v8, v10, 24, 7
	v_mov_b32_e32 v12, 0x7f800001
	s_mov_b32 s45, exec_lo
	s_delay_alu instid0(VALU_DEP_2)
	v_cmpx_ne_u32_e32 0x7f, v8
	s_cbranch_execz .LBB6_6088
; %bb.6085:                             ;   in Loop: Header=BB6_4246 Depth=3
	v_and_b32_e32 v2, 7, v0
	v_lshrrev_b32_e32 v12, 3, v8
	v_cmp_gt_u32_e32 vcc_lo, 8, v8
	s_delay_alu instid0(VALU_DEP_3)
	v_mov_b64_e32 v[8:9], v[2:3]
	s_and_saveexec_b32 s74, vcc_lo
; %bb.6086:                             ;   in Loop: Header=BB6_4246 Depth=3
	v_clz_i32_u32_e32 v8, v2
	s_delay_alu instid0(VALU_DEP_1) | instskip(NEXT) | instid1(VALU_DEP_1)
	v_min_u32_e32 v12, 32, v8
	v_subrev_nc_u32_e32 v8, 28, v12
	v_sub_nc_u32_e32 v12, 29, v12
	s_delay_alu instid0(VALU_DEP_2) | instskip(NEXT) | instid1(VALU_DEP_1)
	v_lshlrev_b64_e32 v[8:9], v8, v[2:3]
	v_and_b32_e32 v8, 7, v8
; %bb.6087:                             ;   in Loop: Header=BB6_4246 Depth=3
	s_or_b32 exec_lo, exec_lo, s74
	v_lshlrev_b32_e32 v0, 24, v0
	s_delay_alu instid0(VALU_DEP_2) | instskip(SKIP_1) | instid1(VALU_DEP_3)
	v_lshlrev_b32_e32 v2, 20, v8
	v_lshl_add_u32 v8, v12, 23, 0x3c000000
	v_and_b32_e32 v0, 0x80000000, v0
	s_delay_alu instid0(VALU_DEP_1)
	v_or3_b32 v12, v2, v0, v8
.LBB6_6088:                             ;   in Loop: Header=BB6_4246 Depth=3
	s_or_b32 exec_lo, exec_lo, s45
.LBB6_6089:                             ;   in Loop: Header=BB6_4246 Depth=3
	s_delay_alu instid0(SALU_CYCLE_1)
	s_or_b32 exec_lo, exec_lo, s44
.LBB6_6090:                             ;   in Loop: Header=BB6_4246 Depth=3
	s_delay_alu instid0(SALU_CYCLE_1) | instskip(NEXT) | instid1(VALU_DEP_1)
	s_or_b32 exec_lo, exec_lo, s13
	v_add_f32_e32 v0, v13, v12
                                        ; implicit-def: $vgpr42
	s_mov_b32 s13, exec_lo
	s_delay_alu instid0(VALU_DEP_1) | instskip(SKIP_1) | instid1(VALU_DEP_2)
	v_and_b32_e32 v2, 0x7f800000, v0
	v_lshrrev_b32_e32 v8, 24, v0
	v_cmpx_ne_u64_e32 0x7f800000, v[2:3]
	s_xor_b32 s44, exec_lo, s13
	s_cbranch_execz .LBB6_6104
; %bb.6091:                             ;   in Loop: Header=BB6_4246 Depth=3
	v_and_b32_e32 v2, 0x7fffffff, v0
	v_and_b32_e32 v66, 0x80, v8
                                        ; implicit-def: $vgpr42
	s_mov_b32 s13, exec_lo
	s_delay_alu instid0(VALU_DEP_2)
	v_cmpx_gt_u64_e32 0x43e00001, v[2:3]
	s_xor_b32 s45, exec_lo, s13
	s_cbranch_execz .LBB6_6101
; %bb.6092:                             ;   in Loop: Header=BB6_4246 Depth=3
	v_mov_b32_e32 v42, 0
	s_mov_b32 s74, exec_lo
	v_cmpx_ne_u32_e32 0, v0
	s_cbranch_execz .LBB6_6100
; %bb.6093:                             ;   in Loop: Header=BB6_4246 Depth=3
	v_bfe_u32 v67, v0, 23, 8
	v_and_b32_e32 v2, 0x7fffff, v0
	s_delay_alu instid0(VALU_DEP_2) | instskip(SKIP_2) | instid1(VALU_DEP_4)
	v_cmp_gt_u32_e64 s13, 0x7a, v67
	v_sub_nc_u32_e32 v0, 0x79, v67
	v_cmp_eq_u32_e32 vcc_lo, 0, v67
	v_or_b32_e32 v8, 0x800000, v2
	s_delay_alu instid0(VALU_DEP_1) | instskip(NEXT) | instid1(VALU_DEP_1)
	v_dual_cndmask_b32 v0, 0, v0, s13 :: v_dual_cndmask_b32 v2, v8, v2, vcc_lo
	v_cndmask_b32_e64 v0, v0, 0x78, vcc_lo
	s_delay_alu instid0(VALU_DEP_1) | instskip(NEXT) | instid1(VALU_DEP_1)
	v_dual_add_nc_u32 v8, 20, v0 :: v_dual_add_nc_u32 v12, 19, v0
	v_lshlrev_b64_e64 v[8:9], v8, -1
	s_delay_alu instid0(VALU_DEP_2) | instskip(NEXT) | instid1(VALU_DEP_2)
	v_lshlrev_b64_e64 v[12:13], v12, 1
	v_bfi_b32 v9, v9, 0, 0
	s_delay_alu instid0(VALU_DEP_3) | instskip(NEXT) | instid1(VALU_DEP_1)
	v_bfi_b32 v8, v8, 0, v2
	v_cmp_eq_u64_e64 s13, v[8:9], v[12:13]
	v_lshrrev_b64 v[8:9], v0, v[2:3]
	s_delay_alu instid0(VALU_DEP_1)
	v_mov_b64_e32 v[12:13], v[8:9]
	s_and_saveexec_b32 s75, s13
; %bb.6094:                             ;   in Loop: Header=BB6_4246 Depth=3
	v_bfe_u32 v2, v8, 20, 1
	s_delay_alu instid0(VALU_DEP_1) | instskip(NEXT) | instid1(VALU_DEP_1)
	v_add_nc_u64_e32 v[12:13], v[8:9], v[2:3]
	v_add_nc_u64_e32 v[12:13], -1, v[12:13]
; %bb.6095:                             ;   in Loop: Header=BB6_4246 Depth=3
	s_or_b32 exec_lo, exec_lo, s75
	v_add_nc_u32_e32 v2, 0xffffff81, v67
	v_lshrrev_b32_e32 v9, 23, v8
	s_mov_b32 s13, exec_lo
	s_delay_alu instid0(VALU_DEP_2) | instskip(NEXT) | instid1(VALU_DEP_1)
	v_cndmask_b32_e64 v2, v2, 0xffffff82, vcc_lo
	v_add3_u32 v13, v0, v2, v9
	v_and_b32_e32 v0, 0xfffff, v12
	s_delay_alu instid0(VALU_DEP_1) | instskip(NEXT) | instid1(VALU_DEP_1)
	v_dual_add_nc_u32 v12, 6, v13 :: v_dual_add_nc_u32 v2, v0, v8
                                        ; implicit-def: $vgpr8_vgpr9
                                        ; implicit-def: $vgpr0
	v_cmpx_ne_u32_e32 0, v12
	s_xor_b32 s13, exec_lo, s13
; %bb.6096:                             ;   in Loop: Header=BB6_4246 Depth=3
	s_delay_alu instid0(VALU_DEP_2) | instskip(SKIP_2) | instid1(VALU_DEP_2)
	v_cmp_lt_u64_e32 vcc_lo, 0xffffff, v[2:3]
	v_add_nc_u32_e32 v0, 7, v13
	v_cndmask_b32_e64 v8, 0, 1, vcc_lo
	v_cndmask_b32_e32 v0, v12, v0, vcc_lo
	s_delay_alu instid0(VALU_DEP_2)
	v_lshrrev_b64 v[8:9], v8, v[2:3]
; %bb.6097:                             ;   in Loop: Header=BB6_4246 Depth=3
	s_and_not1_saveexec_b32 s13, s13
; %bb.6098:                             ;   in Loop: Header=BB6_4246 Depth=3
	v_mov_b64_e32 v[8:9], v[2:3]
	v_bfe_u32 v0, v2, 23, 1
; %bb.6099:                             ;   in Loop: Header=BB6_4246 Depth=3
	s_or_b32 exec_lo, exec_lo, s13
	s_delay_alu instid0(VALU_DEP_2) | instskip(NEXT) | instid1(VALU_DEP_2)
	v_lshrrev_b64 v[8:9], 20, v[8:9]
	v_cmp_gt_i32_e32 vcc_lo, 16, v0
	v_min_i32_e32 v2, 15, v0
	v_cmp_eq_u32_e64 s13, 0, v0
	s_delay_alu instid0(VALU_DEP_2) | instskip(SKIP_1) | instid1(VALU_DEP_2)
	v_dual_cndmask_b32 v9, 0, v9 :: v_dual_lshlrev_b32 v2, 3, v2
	v_cndmask_b32_e32 v8, 7, v8, vcc_lo
	v_and_b32_e32 v2, 0xf8, v2
	s_delay_alu instid0(VALU_DEP_2) | instskip(NEXT) | instid1(VALU_DEP_2)
	v_cmp_eq_u64_e32 vcc_lo, 0, v[8:9]
	v_and_or_b32 v0, v8, 7, v2
	s_and_b32 s13, s13, vcc_lo
	s_delay_alu instid0(VALU_DEP_1) | instid1(SALU_CYCLE_1)
	v_cndmask_b32_e64 v0, v0, 0, s13
	s_delay_alu instid0(VALU_DEP_1)
	v_or_b32_e32 v42, v0, v66
.LBB6_6100:                             ;   in Loop: Header=BB6_4246 Depth=3
	s_or_b32 exec_lo, exec_lo, s74
                                        ; implicit-def: $vgpr66
.LBB6_6101:                             ;   in Loop: Header=BB6_4246 Depth=3
	s_and_not1_saveexec_b32 s13, s45
; %bb.6102:                             ;   in Loop: Header=BB6_4246 Depth=3
	v_or_b32_e32 v42, 0x7e, v66
; %bb.6103:                             ;   in Loop: Header=BB6_4246 Depth=3
	s_or_b32 exec_lo, exec_lo, s13
                                        ; implicit-def: $vgpr8
.LBB6_6104:                             ;   in Loop: Header=BB6_4246 Depth=3
	s_and_not1_saveexec_b32 s13, s44
; %bb.6105:                             ;   in Loop: Header=BB6_4246 Depth=3
	v_or_b32_e32 v42, 0x7f, v8
; %bb.6106:                             ;   in Loop: Header=BB6_4246 Depth=3
	s_or_b32 exec_lo, exec_lo, s13
	v_and_b32_e32 v0, 0xff, v15
	v_dual_mov_b32 v2, v15 :: v_dual_mov_b32 v8, 0
	v_mov_b32_e32 v9, 0
	s_mov_b32 s13, exec_lo
	s_delay_alu instid0(VALU_DEP_3)
	v_cmpx_ne_u16_e32 0, v0
	s_cbranch_execz .LBB6_6112
; %bb.6107:                             ;   in Loop: Header=BB6_4246 Depth=3
	v_bfrev_b32_e32 v9, 1
	s_mov_b32 s44, exec_lo
	v_cmpx_ne_u16_e32 0x80, v0
	s_cbranch_execz .LBB6_6111
; %bb.6108:                             ;   in Loop: Header=BB6_4246 Depth=3
	v_and_b32_e32 v0, 0x7f, v15
	v_mov_b32_e32 v9, 0x7f800001
	s_mov_b32 s45, exec_lo
	s_delay_alu instid0(VALU_DEP_2)
	v_cmpx_ne_u32_e32 0x7f, v0
	s_cbranch_execz .LBB6_6110
; %bb.6109:                             ;   in Loop: Header=BB6_4246 Depth=3
	v_dual_lshrrev_b32 v12, 3, v0 :: v_dual_bitop2_b32 v9, 7, v15 bitop3:0x40
	v_cmp_gt_u32_e32 vcc_lo, 8, v0
	s_delay_alu instid0(VALU_DEP_2) | instskip(NEXT) | instid1(VALU_DEP_1)
	v_clz_i32_u32_e32 v0, v9
	v_min_u32_e32 v0, 32, v0
	s_delay_alu instid0(VALU_DEP_1) | instskip(NEXT) | instid1(VALU_DEP_1)
	v_subrev_nc_u32_e32 v9, 28, v0
	v_dual_cndmask_b32 v9, 0, v9 :: v_dual_sub_nc_u32 v0, 29, v0
	s_delay_alu instid0(VALU_DEP_1) | instskip(NEXT) | instid1(VALU_DEP_2)
	v_cndmask_b32_e32 v0, v12, v0, vcc_lo
	v_lshlrev_b64_e32 v[12:13], v9, v[2:3]
	s_delay_alu instid0(VALU_DEP_1) | instskip(NEXT) | instid1(VALU_DEP_3)
	v_dual_lshlrev_b32 v9, 20, v12 :: v_dual_lshlrev_b32 v12, 24, v2
	v_lshl_add_u32 v0, v0, 23, 0x3c000000
	s_delay_alu instid0(VALU_DEP_2) | instskip(NEXT) | instid1(VALU_DEP_3)
	v_and_b32_e32 v9, 0x700000, v9
	v_and_b32_e32 v12, 0x80000000, v12
	s_delay_alu instid0(VALU_DEP_1)
	v_or3_b32 v9, v9, v12, v0
.LBB6_6110:                             ;   in Loop: Header=BB6_4246 Depth=3
	s_or_b32 exec_lo, exec_lo, s45
.LBB6_6111:                             ;   in Loop: Header=BB6_4246 Depth=3
	s_delay_alu instid0(SALU_CYCLE_1)
	s_or_b32 exec_lo, exec_lo, s44
.LBB6_6112:                             ;   in Loop: Header=BB6_4246 Depth=3
	s_delay_alu instid0(SALU_CYCLE_1) | instskip(SKIP_2) | instid1(VALU_DEP_1)
	s_or_b32 exec_lo, exec_lo, s13
	v_and_b32_e32 v0, 0xff, v11
	s_mov_b32 s13, exec_lo
	v_cmpx_ne_u16_e32 0, v0
	s_cbranch_execz .LBB6_6118
; %bb.6113:                             ;   in Loop: Header=BB6_4246 Depth=3
	v_bfrev_b32_e32 v8, 1
	s_mov_b32 s44, exec_lo
	v_cmpx_ne_u16_e32 0x80, v0
	s_cbranch_execz .LBB6_6117
; %bb.6114:                             ;   in Loop: Header=BB6_4246 Depth=3
	v_and_b32_e32 v0, 0x7f, v11
	v_mov_b32_e32 v8, 0x7f800001
	s_mov_b32 s45, exec_lo
	s_delay_alu instid0(VALU_DEP_2)
	v_cmpx_ne_u32_e32 0x7f, v0
	s_cbranch_execz .LBB6_6116
; %bb.6115:                             ;   in Loop: Header=BB6_4246 Depth=3
	v_dual_lshrrev_b32 v52, 3, v0 :: v_dual_bitop2_b32 v8, 7, v11 bitop3:0x40
	v_cmp_gt_u32_e32 vcc_lo, 8, v0
	v_mov_b32_e32 v12, v11
	s_delay_alu instid0(VALU_DEP_3) | instskip(NEXT) | instid1(VALU_DEP_1)
	v_clz_i32_u32_e32 v8, v8
	v_min_u32_e32 v8, 32, v8
	s_delay_alu instid0(VALU_DEP_1) | instskip(SKIP_1) | instid1(VALU_DEP_1)
	v_subrev_nc_u32_e32 v0, 28, v8
	v_dual_mov_b32 v13, v3 :: v_dual_sub_nc_u32 v66, 29, v8
	v_dual_cndmask_b32 v0, 0, v0, vcc_lo :: v_dual_cndmask_b32 v8, v52, v66, vcc_lo
	s_delay_alu instid0(VALU_DEP_1) | instskip(SKIP_1) | instid1(VALU_DEP_3)
	v_lshlrev_b64_e32 v[66:67], v0, v[12:13]
	v_lshlrev_b32_e32 v0, 24, v12
	v_lshl_add_u32 v8, v8, 23, 0x3c000000
	s_delay_alu instid0(VALU_DEP_2) | instskip(NEXT) | instid1(VALU_DEP_4)
	v_and_b32_e32 v0, 0x80000000, v0
	v_lshlrev_b32_e32 v12, 20, v66
	s_delay_alu instid0(VALU_DEP_1) | instskip(NEXT) | instid1(VALU_DEP_1)
	v_and_b32_e32 v12, 0x700000, v12
	v_or3_b32 v8, v12, v0, v8
.LBB6_6116:                             ;   in Loop: Header=BB6_4246 Depth=3
	s_or_b32 exec_lo, exec_lo, s45
.LBB6_6117:                             ;   in Loop: Header=BB6_4246 Depth=3
	s_delay_alu instid0(SALU_CYCLE_1)
	s_or_b32 exec_lo, exec_lo, s44
.LBB6_6118:                             ;   in Loop: Header=BB6_4246 Depth=3
	s_delay_alu instid0(SALU_CYCLE_1) | instskip(NEXT) | instid1(VALU_DEP_1)
	s_or_b32 exec_lo, exec_lo, s13
	v_dual_add_f32 v0, v9, v8 :: v_dual_mov_b32 v9, v3
                                        ; implicit-def: $vgpr43
	s_delay_alu instid0(VALU_DEP_1) | instskip(NEXT) | instid1(VALU_DEP_1)
	v_and_b32_e32 v8, 0x7f800000, v0
	v_cmp_ne_u64_e32 vcc_lo, 0x7f800000, v[8:9]
	v_lshrrev_b32_e32 v8, 24, v0
	s_and_saveexec_b32 s13, vcc_lo
	s_delay_alu instid0(SALU_CYCLE_1)
	s_xor_b32 s44, exec_lo, s13
	s_cbranch_execz .LBB6_6132
; %bb.6119:                             ;   in Loop: Header=BB6_4246 Depth=3
	v_and_b32_e32 v12, 0x7fffffff, v0
	v_mov_b32_e32 v13, v3
	v_and_b32_e32 v66, 0x80, v8
                                        ; implicit-def: $vgpr43
	s_mov_b32 s13, exec_lo
	s_delay_alu instid0(VALU_DEP_2)
	v_cmpx_gt_u64_e32 0x43e00001, v[12:13]
	s_xor_b32 s45, exec_lo, s13
	s_cbranch_execz .LBB6_6129
; %bb.6120:                             ;   in Loop: Header=BB6_4246 Depth=3
	v_mov_b32_e32 v43, 0
	s_mov_b32 s74, exec_lo
	v_cmpx_ne_u32_e32 0, v0
	s_cbranch_execz .LBB6_6128
; %bb.6121:                             ;   in Loop: Header=BB6_4246 Depth=3
	v_and_b32_e32 v8, 0x7fffff, v0
	v_bfe_u32 v67, v0, 23, 8
	s_delay_alu instid0(VALU_DEP_2) | instskip(NEXT) | instid1(VALU_DEP_2)
	v_or_b32_e32 v9, 0x800000, v8
	v_cmp_eq_u32_e32 vcc_lo, 0, v67
	v_cmp_gt_u32_e64 s13, 0x7a, v67
	v_sub_nc_u32_e32 v0, 0x79, v67
	s_delay_alu instid0(VALU_DEP_4) | instskip(NEXT) | instid1(VALU_DEP_2)
	v_dual_cndmask_b32 v8, v9, v8 :: v_dual_mov_b32 v9, v3
	v_cndmask_b32_e64 v0, 0, v0, s13
	s_delay_alu instid0(VALU_DEP_1) | instskip(NEXT) | instid1(VALU_DEP_1)
	v_cndmask_b32_e64 v0, v0, 0x78, vcc_lo
	v_dual_add_nc_u32 v12, 20, v0 :: v_dual_add_nc_u32 v52, 19, v0
	s_delay_alu instid0(VALU_DEP_1) | instskip(NEXT) | instid1(VALU_DEP_2)
	v_lshlrev_b64_e64 v[12:13], v12, -1
	v_lshlrev_b64_e64 v[88:89], v52, 1
	s_delay_alu instid0(VALU_DEP_2) | instskip(SKIP_1) | instid1(VALU_DEP_4)
	v_bfi_b32 v12, v12, 0, v8
	v_lshrrev_b64 v[8:9], v0, v[8:9]
	v_bfi_b32 v13, v13, 0, 0
	s_delay_alu instid0(VALU_DEP_1) | instskip(NEXT) | instid1(VALU_DEP_3)
	v_cmp_eq_u64_e64 s13, v[12:13], v[88:89]
	v_mov_b64_e32 v[12:13], v[8:9]
	s_and_saveexec_b32 s75, s13
; %bb.6122:                             ;   in Loop: Header=BB6_4246 Depth=3
	v_bfe_u32 v12, v8, 20, 1
	v_mov_b32_e32 v13, v3
	s_delay_alu instid0(VALU_DEP_1) | instskip(NEXT) | instid1(VALU_DEP_1)
	v_add_nc_u64_e32 v[12:13], v[8:9], v[12:13]
	v_add_nc_u64_e32 v[12:13], -1, v[12:13]
; %bb.6123:                             ;   in Loop: Header=BB6_4246 Depth=3
	s_or_b32 exec_lo, exec_lo, s75
	v_add_nc_u32_e32 v9, 0xffffff81, v67
	v_lshrrev_b32_e32 v13, 23, v8
	s_mov_b32 s13, exec_lo
	s_delay_alu instid0(VALU_DEP_2) | instskip(NEXT) | instid1(VALU_DEP_1)
	v_cndmask_b32_e64 v9, v9, 0xffffff82, vcc_lo
	v_add3_u32 v13, v0, v9, v13
	v_and_b32_e32 v0, 0xfffff, v12
	s_delay_alu instid0(VALU_DEP_2) | instskip(NEXT) | instid1(VALU_DEP_2)
	v_dual_mov_b32 v9, v3 :: v_dual_add_nc_u32 v12, 6, v13
	v_add_nc_u32_e32 v8, v0, v8
                                        ; implicit-def: $vgpr0
	s_delay_alu instid0(VALU_DEP_2)
	v_cmpx_ne_u32_e32 0, v12
	s_xor_b32 s13, exec_lo, s13
; %bb.6124:                             ;   in Loop: Header=BB6_4246 Depth=3
	s_delay_alu instid0(VALU_DEP_2) | instskip(SKIP_1) | instid1(VALU_DEP_1)
	v_cmp_lt_u64_e32 vcc_lo, 0xffffff, v[8:9]
	v_add_nc_u32_e32 v0, 7, v13
	v_cndmask_b32_e32 v0, v12, v0, vcc_lo
	v_cndmask_b32_e64 v12, 0, 1, vcc_lo
	s_delay_alu instid0(VALU_DEP_1)
	v_lshrrev_b64 v[8:9], v12, v[8:9]
; %bb.6125:                             ;   in Loop: Header=BB6_4246 Depth=3
	s_and_not1_saveexec_b32 s13, s13
; %bb.6126:                             ;   in Loop: Header=BB6_4246 Depth=3
	s_delay_alu instid0(VALU_DEP_1)
	v_bfe_u32 v0, v8, 23, 1
; %bb.6127:                             ;   in Loop: Header=BB6_4246 Depth=3
	s_or_b32 exec_lo, exec_lo, s13
	s_delay_alu instid0(VALU_DEP_2) | instskip(NEXT) | instid1(VALU_DEP_2)
	v_lshrrev_b64 v[8:9], 20, v[8:9]
	v_cmp_gt_i32_e32 vcc_lo, 16, v0
	v_min_i32_e32 v12, 15, v0
	v_cmp_eq_u32_e64 s13, 0, v0
	s_delay_alu instid0(VALU_DEP_2) | instskip(SKIP_1) | instid1(VALU_DEP_2)
	v_dual_cndmask_b32 v9, 0, v9 :: v_dual_lshlrev_b32 v12, 3, v12
	v_cndmask_b32_e32 v8, 7, v8, vcc_lo
	v_and_b32_e32 v12, 0xf8, v12
	s_delay_alu instid0(VALU_DEP_2) | instskip(NEXT) | instid1(VALU_DEP_2)
	v_cmp_eq_u64_e32 vcc_lo, 0, v[8:9]
	v_and_or_b32 v0, v8, 7, v12
	s_and_b32 s13, s13, vcc_lo
	s_delay_alu instid0(VALU_DEP_1) | instid1(SALU_CYCLE_1)
	v_cndmask_b32_e64 v0, v0, 0, s13
	s_delay_alu instid0(VALU_DEP_1)
	v_or_b32_e32 v43, v0, v66
.LBB6_6128:                             ;   in Loop: Header=BB6_4246 Depth=3
	s_or_b32 exec_lo, exec_lo, s74
                                        ; implicit-def: $vgpr66
.LBB6_6129:                             ;   in Loop: Header=BB6_4246 Depth=3
	s_and_not1_saveexec_b32 s13, s45
; %bb.6130:                             ;   in Loop: Header=BB6_4246 Depth=3
	v_or_b32_e32 v43, 0x7e, v66
; %bb.6131:                             ;   in Loop: Header=BB6_4246 Depth=3
	s_or_b32 exec_lo, exec_lo, s13
                                        ; implicit-def: $vgpr8
.LBB6_6132:                             ;   in Loop: Header=BB6_4246 Depth=3
	s_and_not1_saveexec_b32 s13, s44
; %bb.6133:                             ;   in Loop: Header=BB6_4246 Depth=3
	v_or_b32_e32 v43, 0x7f, v8
; %bb.6134:                             ;   in Loop: Header=BB6_4246 Depth=3
	s_or_b32 exec_lo, exec_lo, s13
	v_lshrrev_b16 v0, 8, v2
	v_dual_mov_b32 v12, 0 :: v_dual_mov_b32 v13, 0
	s_mov_b32 s13, exec_lo
	s_delay_alu instid0(VALU_DEP_2)
	v_cmpx_ne_u16_e32 0, v0
	s_cbranch_execz .LBB6_6142
; %bb.6135:                             ;   in Loop: Header=BB6_4246 Depth=3
	v_bfrev_b32_e32 v13, 1
	s_mov_b32 s44, exec_lo
	v_cmpx_ne_u16_e32 0x80, v0
	s_cbranch_execz .LBB6_6141
; %bb.6136:                             ;   in Loop: Header=BB6_4246 Depth=3
	v_and_b32_e32 v0, 0xffff, v0
	v_mov_b32_e32 v13, 0x7f800001
	s_mov_b32 s45, exec_lo
	s_delay_alu instid0(VALU_DEP_2) | instskip(NEXT) | instid1(VALU_DEP_1)
	v_and_b32_e32 v52, 0x7f, v0
	v_cmpx_ne_u32_e32 0x7f, v52
	s_cbranch_execz .LBB6_6140
; %bb.6137:                             ;   in Loop: Header=BB6_4246 Depth=3
	v_dual_mov_b32 v9, v3 :: v_dual_bitop2_b32 v8, 7, v0 bitop3:0x40
	v_lshrrev_b32_e32 v0, 3, v52
	s_mov_b32 s74, exec_lo
	v_cmpx_gt_u32_e32 8, v52
; %bb.6138:                             ;   in Loop: Header=BB6_4246 Depth=3
	s_delay_alu instid0(VALU_DEP_3) | instskip(NEXT) | instid1(VALU_DEP_1)
	v_clz_i32_u32_e32 v0, v8
	v_min_u32_e32 v0, 32, v0
	s_delay_alu instid0(VALU_DEP_1) | instskip(SKIP_1) | instid1(VALU_DEP_2)
	v_subrev_nc_u32_e32 v13, 28, v0
	v_sub_nc_u32_e32 v0, 29, v0
	v_lshlrev_b64_e32 v[8:9], v13, v[8:9]
	s_delay_alu instid0(VALU_DEP_1)
	v_and_b32_e32 v8, 7, v8
; %bb.6139:                             ;   in Loop: Header=BB6_4246 Depth=3
	s_or_b32 exec_lo, exec_lo, s74
	s_delay_alu instid0(VALU_DEP_1) | instskip(SKIP_1) | instid1(VALU_DEP_2)
	v_dual_lshlrev_b32 v2, 16, v2 :: v_dual_lshlrev_b32 v8, 20, v8
	v_lshl_add_u32 v0, v0, 23, 0x3c000000
	v_and_b32_e32 v2, 0x80000000, v2
	s_delay_alu instid0(VALU_DEP_1)
	v_or3_b32 v13, v8, v2, v0
.LBB6_6140:                             ;   in Loop: Header=BB6_4246 Depth=3
	s_or_b32 exec_lo, exec_lo, s45
.LBB6_6141:                             ;   in Loop: Header=BB6_4246 Depth=3
	s_delay_alu instid0(SALU_CYCLE_1)
	s_or_b32 exec_lo, exec_lo, s44
.LBB6_6142:                             ;   in Loop: Header=BB6_4246 Depth=3
	s_delay_alu instid0(SALU_CYCLE_1) | instskip(SKIP_2) | instid1(VALU_DEP_1)
	s_or_b32 exec_lo, exec_lo, s13
	v_lshrrev_b16 v0, 8, v11
	s_mov_b32 s13, exec_lo
	v_cmpx_ne_u16_e32 0, v0
	s_cbranch_execz .LBB6_6150
; %bb.6143:                             ;   in Loop: Header=BB6_4246 Depth=3
	v_bfrev_b32_e32 v12, 1
	s_mov_b32 s44, exec_lo
	v_cmpx_ne_u16_e32 0x80, v0
	s_cbranch_execz .LBB6_6149
; %bb.6144:                             ;   in Loop: Header=BB6_4246 Depth=3
	v_and_b32_e32 v0, 0xffff, v0
	v_mov_b32_e32 v12, 0x7f800001
	s_mov_b32 s45, exec_lo
	s_delay_alu instid0(VALU_DEP_2) | instskip(NEXT) | instid1(VALU_DEP_1)
	v_and_b32_e32 v8, 0x7f, v0
	v_cmpx_ne_u32_e32 0x7f, v8
	s_cbranch_execz .LBB6_6148
; %bb.6145:                             ;   in Loop: Header=BB6_4246 Depth=3
	v_and_b32_e32 v2, 7, v0
	v_lshrrev_b32_e32 v0, 3, v8
	v_cmp_gt_u32_e32 vcc_lo, 8, v8
	s_delay_alu instid0(VALU_DEP_3)
	v_mov_b64_e32 v[8:9], v[2:3]
	s_and_saveexec_b32 s74, vcc_lo
; %bb.6146:                             ;   in Loop: Header=BB6_4246 Depth=3
	v_clz_i32_u32_e32 v0, v2
	s_delay_alu instid0(VALU_DEP_1) | instskip(NEXT) | instid1(VALU_DEP_1)
	v_min_u32_e32 v0, 32, v0
	v_subrev_nc_u32_e32 v8, 28, v0
	v_sub_nc_u32_e32 v0, 29, v0
	s_delay_alu instid0(VALU_DEP_2) | instskip(NEXT) | instid1(VALU_DEP_1)
	v_lshlrev_b64_e32 v[8:9], v8, v[2:3]
	v_and_b32_e32 v8, 7, v8
; %bb.6147:                             ;   in Loop: Header=BB6_4246 Depth=3
	s_or_b32 exec_lo, exec_lo, s74
	s_delay_alu instid0(VALU_DEP_1) | instskip(SKIP_1) | instid1(VALU_DEP_2)
	v_dual_lshlrev_b32 v2, 16, v11 :: v_dual_lshlrev_b32 v8, 20, v8
	v_lshl_add_u32 v0, v0, 23, 0x3c000000
	v_and_b32_e32 v2, 0x80000000, v2
	s_delay_alu instid0(VALU_DEP_1)
	v_or3_b32 v12, v8, v2, v0
.LBB6_6148:                             ;   in Loop: Header=BB6_4246 Depth=3
	s_or_b32 exec_lo, exec_lo, s45
.LBB6_6149:                             ;   in Loop: Header=BB6_4246 Depth=3
	s_delay_alu instid0(SALU_CYCLE_1)
	s_or_b32 exec_lo, exec_lo, s44
.LBB6_6150:                             ;   in Loop: Header=BB6_4246 Depth=3
	s_delay_alu instid0(SALU_CYCLE_1) | instskip(NEXT) | instid1(VALU_DEP_1)
	s_or_b32 exec_lo, exec_lo, s13
	v_add_f32_e32 v0, v13, v12
                                        ; implicit-def: $vgpr66
	s_mov_b32 s13, exec_lo
	s_delay_alu instid0(VALU_DEP_1) | instskip(SKIP_1) | instid1(VALU_DEP_2)
	v_and_b32_e32 v2, 0x7f800000, v0
	v_lshrrev_b32_e32 v8, 24, v0
	v_cmpx_ne_u64_e32 0x7f800000, v[2:3]
	s_xor_b32 s44, exec_lo, s13
	s_cbranch_execz .LBB6_6164
; %bb.6151:                             ;   in Loop: Header=BB6_4246 Depth=3
	v_and_b32_e32 v2, 0x7fffffff, v0
	v_and_b32_e32 v67, 0x80, v8
                                        ; implicit-def: $vgpr66
	s_mov_b32 s13, exec_lo
	s_delay_alu instid0(VALU_DEP_2)
	v_cmpx_gt_u64_e32 0x43e00001, v[2:3]
	s_xor_b32 s45, exec_lo, s13
	s_cbranch_execz .LBB6_6161
; %bb.6152:                             ;   in Loop: Header=BB6_4246 Depth=3
	v_mov_b32_e32 v66, 0
	s_mov_b32 s74, exec_lo
	v_cmpx_ne_u32_e32 0, v0
	s_cbranch_execz .LBB6_6160
; %bb.6153:                             ;   in Loop: Header=BB6_4246 Depth=3
	v_bfe_u32 v66, v0, 23, 8
	v_and_b32_e32 v2, 0x7fffff, v0
	s_delay_alu instid0(VALU_DEP_2) | instskip(SKIP_2) | instid1(VALU_DEP_4)
	v_cmp_gt_u32_e64 s13, 0x7a, v66
	v_sub_nc_u32_e32 v0, 0x79, v66
	v_cmp_eq_u32_e32 vcc_lo, 0, v66
	v_or_b32_e32 v8, 0x800000, v2
	s_delay_alu instid0(VALU_DEP_1) | instskip(NEXT) | instid1(VALU_DEP_1)
	v_dual_cndmask_b32 v0, 0, v0, s13 :: v_dual_cndmask_b32 v2, v8, v2, vcc_lo
	v_cndmask_b32_e64 v0, v0, 0x78, vcc_lo
	s_delay_alu instid0(VALU_DEP_1) | instskip(NEXT) | instid1(VALU_DEP_1)
	v_dual_add_nc_u32 v8, 20, v0 :: v_dual_add_nc_u32 v12, 19, v0
	v_lshlrev_b64_e64 v[8:9], v8, -1
	s_delay_alu instid0(VALU_DEP_2) | instskip(NEXT) | instid1(VALU_DEP_2)
	v_lshlrev_b64_e64 v[12:13], v12, 1
	v_bfi_b32 v9, v9, 0, 0
	s_delay_alu instid0(VALU_DEP_3) | instskip(NEXT) | instid1(VALU_DEP_1)
	v_bfi_b32 v8, v8, 0, v2
	v_cmp_eq_u64_e64 s13, v[8:9], v[12:13]
	v_lshrrev_b64 v[8:9], v0, v[2:3]
	s_delay_alu instid0(VALU_DEP_1)
	v_mov_b64_e32 v[12:13], v[8:9]
	s_and_saveexec_b32 s75, s13
; %bb.6154:                             ;   in Loop: Header=BB6_4246 Depth=3
	v_bfe_u32 v2, v8, 20, 1
	s_delay_alu instid0(VALU_DEP_1) | instskip(NEXT) | instid1(VALU_DEP_1)
	v_add_nc_u64_e32 v[12:13], v[8:9], v[2:3]
	v_add_nc_u64_e32 v[12:13], -1, v[12:13]
; %bb.6155:                             ;   in Loop: Header=BB6_4246 Depth=3
	s_or_b32 exec_lo, exec_lo, s75
	v_add_nc_u32_e32 v2, 0xffffff81, v66
	v_lshrrev_b32_e32 v9, 23, v8
	s_mov_b32 s13, exec_lo
	s_delay_alu instid0(VALU_DEP_2) | instskip(NEXT) | instid1(VALU_DEP_1)
	v_cndmask_b32_e64 v2, v2, 0xffffff82, vcc_lo
	v_add3_u32 v13, v0, v2, v9
	v_and_b32_e32 v0, 0xfffff, v12
	s_delay_alu instid0(VALU_DEP_1) | instskip(NEXT) | instid1(VALU_DEP_1)
	v_dual_add_nc_u32 v12, 6, v13 :: v_dual_add_nc_u32 v2, v0, v8
                                        ; implicit-def: $vgpr8_vgpr9
                                        ; implicit-def: $vgpr0
	v_cmpx_ne_u32_e32 0, v12
	s_xor_b32 s13, exec_lo, s13
; %bb.6156:                             ;   in Loop: Header=BB6_4246 Depth=3
	s_delay_alu instid0(VALU_DEP_2) | instskip(SKIP_2) | instid1(VALU_DEP_2)
	v_cmp_lt_u64_e32 vcc_lo, 0xffffff, v[2:3]
	v_add_nc_u32_e32 v0, 7, v13
	v_cndmask_b32_e64 v8, 0, 1, vcc_lo
	v_cndmask_b32_e32 v0, v12, v0, vcc_lo
	s_delay_alu instid0(VALU_DEP_2)
	v_lshrrev_b64 v[8:9], v8, v[2:3]
; %bb.6157:                             ;   in Loop: Header=BB6_4246 Depth=3
	s_and_not1_saveexec_b32 s13, s13
; %bb.6158:                             ;   in Loop: Header=BB6_4246 Depth=3
	v_mov_b64_e32 v[8:9], v[2:3]
	v_bfe_u32 v0, v2, 23, 1
; %bb.6159:                             ;   in Loop: Header=BB6_4246 Depth=3
	s_or_b32 exec_lo, exec_lo, s13
	s_delay_alu instid0(VALU_DEP_2) | instskip(NEXT) | instid1(VALU_DEP_2)
	v_lshrrev_b64 v[8:9], 20, v[8:9]
	v_cmp_gt_i32_e32 vcc_lo, 16, v0
	v_min_i32_e32 v2, 15, v0
	v_cmp_eq_u32_e64 s13, 0, v0
	s_delay_alu instid0(VALU_DEP_2) | instskip(SKIP_1) | instid1(VALU_DEP_2)
	v_dual_cndmask_b32 v9, 0, v9 :: v_dual_lshlrev_b32 v2, 3, v2
	v_cndmask_b32_e32 v8, 7, v8, vcc_lo
	v_and_b32_e32 v2, 0xf8, v2
	s_delay_alu instid0(VALU_DEP_2) | instskip(NEXT) | instid1(VALU_DEP_2)
	v_cmp_eq_u64_e32 vcc_lo, 0, v[8:9]
	v_and_or_b32 v0, v8, 7, v2
	s_and_b32 s13, s13, vcc_lo
	s_delay_alu instid0(VALU_DEP_1) | instid1(SALU_CYCLE_1)
	v_cndmask_b32_e64 v0, v0, 0, s13
	s_delay_alu instid0(VALU_DEP_1)
	v_or_b32_e32 v66, v0, v67
.LBB6_6160:                             ;   in Loop: Header=BB6_4246 Depth=3
	s_or_b32 exec_lo, exec_lo, s74
                                        ; implicit-def: $vgpr67
.LBB6_6161:                             ;   in Loop: Header=BB6_4246 Depth=3
	s_and_not1_saveexec_b32 s13, s45
; %bb.6162:                             ;   in Loop: Header=BB6_4246 Depth=3
	v_or_b32_e32 v66, 0x7e, v67
; %bb.6163:                             ;   in Loop: Header=BB6_4246 Depth=3
	s_or_b32 exec_lo, exec_lo, s13
                                        ; implicit-def: $vgpr8
.LBB6_6164:                             ;   in Loop: Header=BB6_4246 Depth=3
	s_and_not1_saveexec_b32 s13, s44
; %bb.6165:                             ;   in Loop: Header=BB6_4246 Depth=3
	v_or_b32_e32 v66, 0x7f, v8
; %bb.6166:                             ;   in Loop: Header=BB6_4246 Depth=3
	s_or_b32 exec_lo, exec_lo, s13
	v_dual_lshrrev_b32 v0, 16, v15 :: v_dual_mov_b32 v12, 0
	v_mov_b32_e32 v13, 0
	s_mov_b32 s13, exec_lo
	s_delay_alu instid0(VALU_DEP_2) | instskip(NEXT) | instid1(VALU_DEP_1)
	v_and_b32_e32 v2, 0xff, v0
	v_cmpx_ne_u16_e32 0, v2
	s_cbranch_execz .LBB6_6174
; %bb.6167:                             ;   in Loop: Header=BB6_4246 Depth=3
	v_bfrev_b32_e32 v13, 1
	s_mov_b32 s44, exec_lo
	v_cmpx_ne_u16_e32 0x80, v2
	s_cbranch_execz .LBB6_6173
; %bb.6168:                             ;   in Loop: Header=BB6_4246 Depth=3
	v_bfe_u32 v8, v15, 16, 7
	v_mov_b32_e32 v13, 0x7f800001
	s_mov_b32 s45, exec_lo
	s_delay_alu instid0(VALU_DEP_2)
	v_cmpx_ne_u32_e32 0x7f, v8
	s_cbranch_execz .LBB6_6172
; %bb.6169:                             ;   in Loop: Header=BB6_4246 Depth=3
	v_and_b32_e32 v2, 7, v0
	v_lshrrev_b32_e32 v13, 3, v8
	v_cmp_gt_u32_e32 vcc_lo, 8, v8
	s_delay_alu instid0(VALU_DEP_3)
	v_mov_b64_e32 v[8:9], v[2:3]
	s_and_saveexec_b32 s74, vcc_lo
; %bb.6170:                             ;   in Loop: Header=BB6_4246 Depth=3
	v_clz_i32_u32_e32 v8, v2
	s_delay_alu instid0(VALU_DEP_1) | instskip(NEXT) | instid1(VALU_DEP_1)
	v_min_u32_e32 v13, 32, v8
	v_subrev_nc_u32_e32 v8, 28, v13
	s_delay_alu instid0(VALU_DEP_1) | instskip(NEXT) | instid1(VALU_DEP_1)
	v_lshlrev_b64_e32 v[8:9], v8, v[2:3]
	v_dual_sub_nc_u32 v13, 29, v13 :: v_dual_bitop2_b32 v8, 7, v8 bitop3:0x40
; %bb.6171:                             ;   in Loop: Header=BB6_4246 Depth=3
	s_or_b32 exec_lo, exec_lo, s74
	v_lshlrev_b32_e32 v0, 24, v0
	s_delay_alu instid0(VALU_DEP_2) | instskip(NEXT) | instid1(VALU_DEP_3)
	v_lshlrev_b32_e32 v2, 20, v8
	v_lshl_add_u32 v8, v13, 23, 0x3c000000
	s_delay_alu instid0(VALU_DEP_3) | instskip(NEXT) | instid1(VALU_DEP_1)
	v_and_b32_e32 v0, 0x80000000, v0
	v_or3_b32 v13, v2, v0, v8
.LBB6_6172:                             ;   in Loop: Header=BB6_4246 Depth=3
	s_or_b32 exec_lo, exec_lo, s45
.LBB6_6173:                             ;   in Loop: Header=BB6_4246 Depth=3
	s_delay_alu instid0(SALU_CYCLE_1)
	s_or_b32 exec_lo, exec_lo, s44
.LBB6_6174:                             ;   in Loop: Header=BB6_4246 Depth=3
	s_delay_alu instid0(SALU_CYCLE_1) | instskip(SKIP_2) | instid1(VALU_DEP_1)
	s_or_b32 exec_lo, exec_lo, s13
	v_lshrrev_b32_e32 v0, 16, v11
	s_mov_b32 s13, exec_lo
	v_and_b32_e32 v2, 0xff, v0
	s_delay_alu instid0(VALU_DEP_1)
	v_cmpx_ne_u16_e32 0, v2
	s_cbranch_execz .LBB6_6182
; %bb.6175:                             ;   in Loop: Header=BB6_4246 Depth=3
	v_bfrev_b32_e32 v12, 1
	s_mov_b32 s44, exec_lo
	v_cmpx_ne_u16_e32 0x80, v2
	s_cbranch_execz .LBB6_6181
; %bb.6176:                             ;   in Loop: Header=BB6_4246 Depth=3
	v_bfe_u32 v8, v11, 16, 7
	v_mov_b32_e32 v12, 0x7f800001
	s_mov_b32 s45, exec_lo
	s_delay_alu instid0(VALU_DEP_2)
	v_cmpx_ne_u32_e32 0x7f, v8
	s_cbranch_execz .LBB6_6180
; %bb.6177:                             ;   in Loop: Header=BB6_4246 Depth=3
	v_and_b32_e32 v2, 7, v0
	v_lshrrev_b32_e32 v0, 3, v8
	v_cmp_gt_u32_e32 vcc_lo, 8, v8
	s_delay_alu instid0(VALU_DEP_3)
	v_mov_b64_e32 v[8:9], v[2:3]
	s_and_saveexec_b32 s74, vcc_lo
; %bb.6178:                             ;   in Loop: Header=BB6_4246 Depth=3
	v_clz_i32_u32_e32 v0, v2
	s_delay_alu instid0(VALU_DEP_1) | instskip(NEXT) | instid1(VALU_DEP_1)
	v_min_u32_e32 v0, 32, v0
	v_subrev_nc_u32_e32 v8, 28, v0
	v_sub_nc_u32_e32 v0, 29, v0
	s_delay_alu instid0(VALU_DEP_2) | instskip(NEXT) | instid1(VALU_DEP_1)
	v_lshlrev_b64_e32 v[8:9], v8, v[2:3]
	v_and_b32_e32 v8, 7, v8
; %bb.6179:                             ;   in Loop: Header=BB6_4246 Depth=3
	s_or_b32 exec_lo, exec_lo, s74
	s_delay_alu instid0(VALU_DEP_1) | instskip(SKIP_1) | instid1(VALU_DEP_2)
	v_dual_lshlrev_b32 v2, 8, v11 :: v_dual_lshlrev_b32 v8, 20, v8
	v_lshl_add_u32 v0, v0, 23, 0x3c000000
	v_and_b32_e32 v2, 0x80000000, v2
	s_delay_alu instid0(VALU_DEP_1)
	v_or3_b32 v12, v8, v2, v0
.LBB6_6180:                             ;   in Loop: Header=BB6_4246 Depth=3
	s_or_b32 exec_lo, exec_lo, s45
.LBB6_6181:                             ;   in Loop: Header=BB6_4246 Depth=3
	s_delay_alu instid0(SALU_CYCLE_1)
	s_or_b32 exec_lo, exec_lo, s44
.LBB6_6182:                             ;   in Loop: Header=BB6_4246 Depth=3
	s_delay_alu instid0(SALU_CYCLE_1) | instskip(NEXT) | instid1(VALU_DEP_1)
	s_or_b32 exec_lo, exec_lo, s13
	v_add_f32_e32 v0, v13, v12
                                        ; implicit-def: $vgpr12
	s_mov_b32 s13, exec_lo
	s_delay_alu instid0(VALU_DEP_1) | instskip(SKIP_1) | instid1(VALU_DEP_2)
	v_and_b32_e32 v2, 0x7f800000, v0
	v_lshrrev_b32_e32 v8, 24, v0
	v_cmpx_ne_u64_e32 0x7f800000, v[2:3]
	s_xor_b32 s44, exec_lo, s13
	s_cbranch_execz .LBB6_6196
; %bb.6183:                             ;   in Loop: Header=BB6_4246 Depth=3
	v_and_b32_e32 v2, 0x7fffffff, v0
	v_and_b32_e32 v67, 0x80, v8
                                        ; implicit-def: $vgpr12
	s_mov_b32 s13, exec_lo
	s_delay_alu instid0(VALU_DEP_2)
	v_cmpx_gt_u64_e32 0x43e00001, v[2:3]
	s_xor_b32 s45, exec_lo, s13
	s_cbranch_execz .LBB6_6193
; %bb.6184:                             ;   in Loop: Header=BB6_4246 Depth=3
	v_mov_b32_e32 v12, 0
	s_mov_b32 s74, exec_lo
	v_cmpx_ne_u32_e32 0, v0
	s_cbranch_execz .LBB6_6192
; %bb.6185:                             ;   in Loop: Header=BB6_4246 Depth=3
	v_bfe_u32 v123, v0, 23, 8
	v_and_b32_e32 v2, 0x7fffff, v0
	s_delay_alu instid0(VALU_DEP_2) | instskip(SKIP_2) | instid1(VALU_DEP_4)
	v_cmp_gt_u32_e64 s13, 0x7a, v123
	v_sub_nc_u32_e32 v0, 0x79, v123
	v_cmp_eq_u32_e32 vcc_lo, 0, v123
	v_or_b32_e32 v8, 0x800000, v2
	s_delay_alu instid0(VALU_DEP_1) | instskip(NEXT) | instid1(VALU_DEP_1)
	v_dual_cndmask_b32 v0, 0, v0, s13 :: v_dual_cndmask_b32 v2, v8, v2, vcc_lo
	v_cndmask_b32_e64 v0, v0, 0x78, vcc_lo
	s_delay_alu instid0(VALU_DEP_1) | instskip(NEXT) | instid1(VALU_DEP_1)
	v_dual_add_nc_u32 v8, 20, v0 :: v_dual_add_nc_u32 v12, 19, v0
	v_lshlrev_b64_e64 v[8:9], v8, -1
	s_delay_alu instid0(VALU_DEP_2) | instskip(NEXT) | instid1(VALU_DEP_2)
	v_lshlrev_b64_e64 v[12:13], v12, 1
	v_bfi_b32 v9, v9, 0, 0
	s_delay_alu instid0(VALU_DEP_3) | instskip(NEXT) | instid1(VALU_DEP_1)
	v_bfi_b32 v8, v8, 0, v2
	v_cmp_eq_u64_e64 s13, v[8:9], v[12:13]
	v_lshrrev_b64 v[8:9], v0, v[2:3]
	s_delay_alu instid0(VALU_DEP_1)
	v_mov_b64_e32 v[12:13], v[8:9]
	s_and_saveexec_b32 s75, s13
; %bb.6186:                             ;   in Loop: Header=BB6_4246 Depth=3
	v_bfe_u32 v2, v8, 20, 1
	s_delay_alu instid0(VALU_DEP_1) | instskip(NEXT) | instid1(VALU_DEP_1)
	v_add_nc_u64_e32 v[12:13], v[8:9], v[2:3]
	v_add_nc_u64_e32 v[12:13], -1, v[12:13]
; %bb.6187:                             ;   in Loop: Header=BB6_4246 Depth=3
	s_or_b32 exec_lo, exec_lo, s75
	v_add_nc_u32_e32 v2, 0xffffff81, v123
	v_lshrrev_b32_e32 v9, 23, v8
	s_mov_b32 s13, exec_lo
	s_delay_alu instid0(VALU_DEP_2) | instskip(NEXT) | instid1(VALU_DEP_1)
	v_cndmask_b32_e64 v2, v2, 0xffffff82, vcc_lo
	v_add3_u32 v13, v0, v2, v9
	v_and_b32_e32 v0, 0xfffff, v12
	s_delay_alu instid0(VALU_DEP_1) | instskip(NEXT) | instid1(VALU_DEP_1)
	v_dual_add_nc_u32 v12, 6, v13 :: v_dual_add_nc_u32 v2, v0, v8
                                        ; implicit-def: $vgpr8_vgpr9
                                        ; implicit-def: $vgpr0
	v_cmpx_ne_u32_e32 0, v12
	s_xor_b32 s13, exec_lo, s13
; %bb.6188:                             ;   in Loop: Header=BB6_4246 Depth=3
	s_delay_alu instid0(VALU_DEP_2) | instskip(SKIP_2) | instid1(VALU_DEP_2)
	v_cmp_lt_u64_e32 vcc_lo, 0xffffff, v[2:3]
	v_add_nc_u32_e32 v0, 7, v13
	v_cndmask_b32_e64 v8, 0, 1, vcc_lo
	v_cndmask_b32_e32 v0, v12, v0, vcc_lo
	s_delay_alu instid0(VALU_DEP_2)
	v_lshrrev_b64 v[8:9], v8, v[2:3]
; %bb.6189:                             ;   in Loop: Header=BB6_4246 Depth=3
	s_and_not1_saveexec_b32 s13, s13
; %bb.6190:                             ;   in Loop: Header=BB6_4246 Depth=3
	v_mov_b64_e32 v[8:9], v[2:3]
	v_bfe_u32 v0, v2, 23, 1
; %bb.6191:                             ;   in Loop: Header=BB6_4246 Depth=3
	s_or_b32 exec_lo, exec_lo, s13
	s_delay_alu instid0(VALU_DEP_2) | instskip(NEXT) | instid1(VALU_DEP_2)
	v_lshrrev_b64 v[8:9], 20, v[8:9]
	v_cmp_gt_i32_e32 vcc_lo, 16, v0
	v_min_i32_e32 v2, 15, v0
	v_cmp_eq_u32_e64 s13, 0, v0
	s_delay_alu instid0(VALU_DEP_2) | instskip(SKIP_1) | instid1(VALU_DEP_2)
	v_dual_cndmask_b32 v9, 0, v9 :: v_dual_lshlrev_b32 v2, 3, v2
	v_cndmask_b32_e32 v8, 7, v8, vcc_lo
	v_and_b32_e32 v2, 0xf8, v2
	s_delay_alu instid0(VALU_DEP_2) | instskip(NEXT) | instid1(VALU_DEP_2)
	v_cmp_eq_u64_e32 vcc_lo, 0, v[8:9]
	v_and_or_b32 v0, v8, 7, v2
	s_and_b32 s13, s13, vcc_lo
	s_delay_alu instid0(VALU_DEP_1) | instid1(SALU_CYCLE_1)
	v_cndmask_b32_e64 v0, v0, 0, s13
	s_delay_alu instid0(VALU_DEP_1)
	v_or_b32_e32 v12, v0, v67
.LBB6_6192:                             ;   in Loop: Header=BB6_4246 Depth=3
	s_or_b32 exec_lo, exec_lo, s74
                                        ; implicit-def: $vgpr67
.LBB6_6193:                             ;   in Loop: Header=BB6_4246 Depth=3
	s_and_not1_saveexec_b32 s13, s45
; %bb.6194:                             ;   in Loop: Header=BB6_4246 Depth=3
	v_or_b32_e32 v12, 0x7e, v67
; %bb.6195:                             ;   in Loop: Header=BB6_4246 Depth=3
	s_or_b32 exec_lo, exec_lo, s13
                                        ; implicit-def: $vgpr8
.LBB6_6196:                             ;   in Loop: Header=BB6_4246 Depth=3
	s_and_not1_saveexec_b32 s13, s44
; %bb.6197:                             ;   in Loop: Header=BB6_4246 Depth=3
	v_or_b32_e32 v12, 0x7f, v8
; %bb.6198:                             ;   in Loop: Header=BB6_4246 Depth=3
	s_or_b32 exec_lo, exec_lo, s13
	v_cmp_lt_u64_e32 vcc_lo, s[22:23], v[14:15]
	v_dual_mov_b32 v13, 0 :: v_dual_mov_b32 v14, 0
	s_and_saveexec_b32 s13, vcc_lo
	s_cbranch_execz .LBB6_6206
; %bb.6199:                             ;   in Loop: Header=BB6_4246 Depth=3
	v_lshrrev_b32_e32 v0, 24, v15
	v_bfrev_b32_e32 v14, 1
	s_mov_b32 s44, exec_lo
	s_delay_alu instid0(VALU_DEP_2)
	v_cmpx_ne_u32_e32 0x80, v0
	s_cbranch_execz .LBB6_6205
; %bb.6200:                             ;   in Loop: Header=BB6_4246 Depth=3
	v_bfe_u32 v8, v15, 24, 7
	v_mov_b32_e32 v14, 0x7f800001
	s_mov_b32 s45, exec_lo
	s_delay_alu instid0(VALU_DEP_2)
	v_cmpx_ne_u32_e32 0x7f, v8
	s_cbranch_execz .LBB6_6204
; %bb.6201:                             ;   in Loop: Header=BB6_4246 Depth=3
	v_and_b32_e32 v2, 7, v0
	v_lshrrev_b32_e32 v14, 3, v8
	v_cmp_gt_u32_e32 vcc_lo, 8, v8
	s_delay_alu instid0(VALU_DEP_3)
	v_mov_b64_e32 v[8:9], v[2:3]
	s_and_saveexec_b32 s74, vcc_lo
; %bb.6202:                             ;   in Loop: Header=BB6_4246 Depth=3
	v_clz_i32_u32_e32 v8, v2
	s_delay_alu instid0(VALU_DEP_1) | instskip(NEXT) | instid1(VALU_DEP_1)
	v_min_u32_e32 v14, 32, v8
	v_subrev_nc_u32_e32 v8, 28, v14
	s_delay_alu instid0(VALU_DEP_1) | instskip(NEXT) | instid1(VALU_DEP_1)
	v_lshlrev_b64_e32 v[8:9], v8, v[2:3]
	v_dual_sub_nc_u32 v14, 29, v14 :: v_dual_bitop2_b32 v8, 7, v8 bitop3:0x40
; %bb.6203:                             ;   in Loop: Header=BB6_4246 Depth=3
	s_or_b32 exec_lo, exec_lo, s74
	v_lshlrev_b32_e32 v0, 24, v0
	s_delay_alu instid0(VALU_DEP_2) | instskip(NEXT) | instid1(VALU_DEP_3)
	v_lshlrev_b32_e32 v2, 20, v8
	v_lshl_add_u32 v8, v14, 23, 0x3c000000
	s_delay_alu instid0(VALU_DEP_3) | instskip(NEXT) | instid1(VALU_DEP_1)
	v_and_b32_e32 v0, 0x80000000, v0
	v_or3_b32 v14, v2, v0, v8
.LBB6_6204:                             ;   in Loop: Header=BB6_4246 Depth=3
	s_or_b32 exec_lo, exec_lo, s45
.LBB6_6205:                             ;   in Loop: Header=BB6_4246 Depth=3
	s_delay_alu instid0(SALU_CYCLE_1)
	s_or_b32 exec_lo, exec_lo, s44
.LBB6_6206:                             ;   in Loop: Header=BB6_4246 Depth=3
	s_delay_alu instid0(SALU_CYCLE_1) | instskip(NEXT) | instid1(SALU_CYCLE_1)
	s_or_b32 exec_lo, exec_lo, s13
	s_mov_b32 s13, exec_lo
	v_cmpx_lt_u64_e64 s[22:23], v[10:11]
	s_cbranch_execz .LBB6_6214
; %bb.6207:                             ;   in Loop: Header=BB6_4246 Depth=3
	v_lshrrev_b32_e32 v0, 24, v11
	v_bfrev_b32_e32 v13, 1
	s_mov_b32 s44, exec_lo
	s_delay_alu instid0(VALU_DEP_2)
	v_cmpx_ne_u32_e32 0x80, v0
	s_cbranch_execz .LBB6_6213
; %bb.6208:                             ;   in Loop: Header=BB6_4246 Depth=3
	v_bfe_u32 v8, v11, 24, 7
	v_mov_b32_e32 v13, 0x7f800001
	s_mov_b32 s45, exec_lo
	s_delay_alu instid0(VALU_DEP_2)
	v_cmpx_ne_u32_e32 0x7f, v8
	s_cbranch_execz .LBB6_6212
; %bb.6209:                             ;   in Loop: Header=BB6_4246 Depth=3
	v_and_b32_e32 v2, 7, v0
	v_lshrrev_b32_e32 v10, 3, v8
	v_cmp_gt_u32_e32 vcc_lo, 8, v8
	s_delay_alu instid0(VALU_DEP_3)
	v_mov_b64_e32 v[8:9], v[2:3]
	s_and_saveexec_b32 s74, vcc_lo
; %bb.6210:                             ;   in Loop: Header=BB6_4246 Depth=3
	v_clz_i32_u32_e32 v8, v2
	s_delay_alu instid0(VALU_DEP_1) | instskip(NEXT) | instid1(VALU_DEP_1)
	v_min_u32_e32 v10, 32, v8
	v_subrev_nc_u32_e32 v8, 28, v10
	s_delay_alu instid0(VALU_DEP_1) | instskip(NEXT) | instid1(VALU_DEP_1)
	v_lshlrev_b64_e32 v[8:9], v8, v[2:3]
	v_dual_sub_nc_u32 v10, 29, v10 :: v_dual_bitop2_b32 v8, 7, v8 bitop3:0x40
; %bb.6211:                             ;   in Loop: Header=BB6_4246 Depth=3
	s_or_b32 exec_lo, exec_lo, s74
	v_lshlrev_b32_e32 v0, 24, v0
	s_delay_alu instid0(VALU_DEP_2) | instskip(NEXT) | instid1(VALU_DEP_3)
	v_lshlrev_b32_e32 v2, 20, v8
	v_lshl_add_u32 v8, v10, 23, 0x3c000000
	s_delay_alu instid0(VALU_DEP_3) | instskip(NEXT) | instid1(VALU_DEP_1)
	v_and_b32_e32 v0, 0x80000000, v0
	v_or3_b32 v13, v2, v0, v8
.LBB6_6212:                             ;   in Loop: Header=BB6_4246 Depth=3
	s_or_b32 exec_lo, exec_lo, s45
.LBB6_6213:                             ;   in Loop: Header=BB6_4246 Depth=3
	s_delay_alu instid0(SALU_CYCLE_1)
	s_or_b32 exec_lo, exec_lo, s44
.LBB6_6214:                             ;   in Loop: Header=BB6_4246 Depth=3
	s_delay_alu instid0(SALU_CYCLE_1) | instskip(NEXT) | instid1(VALU_DEP_1)
	s_or_b32 exec_lo, exec_lo, s13
	v_add_f32_e32 v0, v14, v13
	s_delay_alu instid0(VALU_DEP_1) | instskip(SKIP_1) | instid1(VALU_DEP_2)
	v_and_b32_e32 v2, 0x7f800000, v0
	v_lshrrev_b32_e32 v8, 24, v0
	v_cmp_ne_u64_e32 vcc_lo, 0x7f800000, v[2:3]
                                        ; implicit-def: $vgpr2
	s_and_saveexec_b32 s13, vcc_lo
	s_delay_alu instid0(SALU_CYCLE_1)
	s_xor_b32 s44, exec_lo, s13
	s_cbranch_execz .LBB6_6228
; %bb.6215:                             ;   in Loop: Header=BB6_4246 Depth=3
	v_and_b32_e32 v2, 0x7fffffff, v0
	v_and_b32_e32 v13, 0x80, v8
	s_delay_alu instid0(VALU_DEP_2) | instskip(SKIP_1) | instid1(SALU_CYCLE_1)
	v_cmp_gt_u64_e32 vcc_lo, 0x43e00001, v[2:3]
                                        ; implicit-def: $vgpr2
	s_and_saveexec_b32 s13, vcc_lo
	s_xor_b32 s45, exec_lo, s13
	s_cbranch_execz .LBB6_6225
; %bb.6216:                             ;   in Loop: Header=BB6_4246 Depth=3
	v_mov_b32_e32 v2, 0
	s_mov_b32 s74, exec_lo
	v_cmpx_ne_u32_e32 0, v0
	s_cbranch_execz .LBB6_6224
; %bb.6217:                             ;   in Loop: Header=BB6_4246 Depth=3
	v_bfe_u32 v14, v0, 23, 8
	v_and_b32_e32 v2, 0x7fffff, v0
	s_delay_alu instid0(VALU_DEP_2) | instskip(SKIP_2) | instid1(VALU_DEP_4)
	v_cmp_gt_u32_e64 s13, 0x7a, v14
	v_sub_nc_u32_e32 v0, 0x79, v14
	v_cmp_eq_u32_e32 vcc_lo, 0, v14
	v_or_b32_e32 v8, 0x800000, v2
	s_delay_alu instid0(VALU_DEP_1) | instskip(NEXT) | instid1(VALU_DEP_1)
	v_dual_cndmask_b32 v0, 0, v0, s13 :: v_dual_cndmask_b32 v2, v8, v2, vcc_lo
	v_cndmask_b32_e64 v0, v0, 0x78, vcc_lo
	s_delay_alu instid0(VALU_DEP_1) | instskip(NEXT) | instid1(VALU_DEP_1)
	v_dual_add_nc_u32 v8, 20, v0 :: v_dual_add_nc_u32 v10, 19, v0
	v_lshlrev_b64_e64 v[8:9], v8, -1
	s_delay_alu instid0(VALU_DEP_2) | instskip(NEXT) | instid1(VALU_DEP_2)
	v_lshlrev_b64_e64 v[10:11], v10, 1
	v_bfi_b32 v9, v9, 0, 0
	s_delay_alu instid0(VALU_DEP_3) | instskip(NEXT) | instid1(VALU_DEP_1)
	v_bfi_b32 v8, v8, 0, v2
	v_cmp_eq_u64_e64 s13, v[8:9], v[10:11]
	v_lshrrev_b64 v[8:9], v0, v[2:3]
	s_delay_alu instid0(VALU_DEP_1)
	v_mov_b64_e32 v[10:11], v[8:9]
	s_and_saveexec_b32 s75, s13
; %bb.6218:                             ;   in Loop: Header=BB6_4246 Depth=3
	v_bfe_u32 v2, v8, 20, 1
	s_delay_alu instid0(VALU_DEP_1) | instskip(NEXT) | instid1(VALU_DEP_1)
	v_add_nc_u64_e32 v[10:11], v[8:9], v[2:3]
	v_add_nc_u64_e32 v[10:11], -1, v[10:11]
; %bb.6219:                             ;   in Loop: Header=BB6_4246 Depth=3
	s_or_b32 exec_lo, exec_lo, s75
	v_add_nc_u32_e32 v2, 0xffffff81, v14
	v_lshrrev_b32_e32 v9, 23, v8
	s_mov_b32 s13, exec_lo
	s_delay_alu instid0(VALU_DEP_2) | instskip(NEXT) | instid1(VALU_DEP_1)
	v_cndmask_b32_e64 v2, v2, 0xffffff82, vcc_lo
	v_add3_u32 v11, v0, v2, v9
	v_and_b32_e32 v0, 0xfffff, v10
	s_delay_alu instid0(VALU_DEP_1) | instskip(NEXT) | instid1(VALU_DEP_1)
	v_dual_add_nc_u32 v10, 6, v11 :: v_dual_add_nc_u32 v2, v0, v8
                                        ; implicit-def: $vgpr8_vgpr9
                                        ; implicit-def: $vgpr0
	v_cmpx_ne_u32_e32 0, v10
	s_xor_b32 s13, exec_lo, s13
; %bb.6220:                             ;   in Loop: Header=BB6_4246 Depth=3
	s_delay_alu instid0(VALU_DEP_2) | instskip(SKIP_2) | instid1(VALU_DEP_2)
	v_cmp_lt_u64_e32 vcc_lo, 0xffffff, v[2:3]
	v_add_nc_u32_e32 v0, 7, v11
	v_cndmask_b32_e64 v8, 0, 1, vcc_lo
	v_cndmask_b32_e32 v0, v10, v0, vcc_lo
	s_delay_alu instid0(VALU_DEP_2)
	v_lshrrev_b64 v[8:9], v8, v[2:3]
; %bb.6221:                             ;   in Loop: Header=BB6_4246 Depth=3
	s_and_not1_saveexec_b32 s13, s13
; %bb.6222:                             ;   in Loop: Header=BB6_4246 Depth=3
	v_mov_b64_e32 v[8:9], v[2:3]
	v_bfe_u32 v0, v2, 23, 1
; %bb.6223:                             ;   in Loop: Header=BB6_4246 Depth=3
	s_or_b32 exec_lo, exec_lo, s13
	s_delay_alu instid0(VALU_DEP_2) | instskip(NEXT) | instid1(VALU_DEP_2)
	v_lshrrev_b64 v[8:9], 20, v[8:9]
	v_cmp_gt_i32_e32 vcc_lo, 16, v0
	v_min_i32_e32 v2, 15, v0
	v_cmp_eq_u32_e64 s13, 0, v0
	s_delay_alu instid0(VALU_DEP_2) | instskip(SKIP_1) | instid1(VALU_DEP_2)
	v_dual_cndmask_b32 v9, 0, v9 :: v_dual_lshlrev_b32 v2, 3, v2
	v_cndmask_b32_e32 v8, 7, v8, vcc_lo
	v_and_b32_e32 v2, 0xf8, v2
	s_delay_alu instid0(VALU_DEP_2) | instskip(NEXT) | instid1(VALU_DEP_2)
	v_cmp_eq_u64_e32 vcc_lo, 0, v[8:9]
	v_and_or_b32 v0, v8, 7, v2
	s_and_b32 s13, s13, vcc_lo
	s_delay_alu instid0(VALU_DEP_1) | instid1(SALU_CYCLE_1)
	v_cndmask_b32_e64 v0, v0, 0, s13
	s_delay_alu instid0(VALU_DEP_1)
	v_or_b32_e32 v2, v0, v13
.LBB6_6224:                             ;   in Loop: Header=BB6_4246 Depth=3
	s_or_b32 exec_lo, exec_lo, s74
                                        ; implicit-def: $vgpr13
.LBB6_6225:                             ;   in Loop: Header=BB6_4246 Depth=3
	s_and_not1_saveexec_b32 s13, s45
; %bb.6226:                             ;   in Loop: Header=BB6_4246 Depth=3
	v_or_b32_e32 v2, 0x7e, v13
; %bb.6227:                             ;   in Loop: Header=BB6_4246 Depth=3
	s_or_b32 exec_lo, exec_lo, s13
                                        ; implicit-def: $vgpr8
.LBB6_6228:                             ;   in Loop: Header=BB6_4246 Depth=3
	s_and_not1_saveexec_b32 s13, s44
	s_cbranch_execz .LBB6_4245
; %bb.6229:                             ;   in Loop: Header=BB6_4246 Depth=3
	v_or_b32_e32 v2, 0x7f, v8
	s_branch .LBB6_4245
.LBB6_6230:                             ;   in Loop: Header=BB6_4163 Depth=2
	s_or_b32 exec_lo, exec_lo, s15
	s_clause 0x2
	scratch_load_b32 v42, off, s33 offset:212
	scratch_load_b32 v95, off, s33 offset:216
	;; [unrolled: 1-line block ×3, first 2 shown]
	v_dual_mov_b32 v43, 1 :: v_dual_mov_b32 v94, 0x90
.LBB6_6231:                             ;   in Loop: Header=BB6_4163 Depth=2
	s_wait_xcnt 0x0
	s_or_b32 exec_lo, exec_lo, s14
	s_wait_loadcnt 0x0
	v_dual_mov_b32 v1, 0 :: v_dual_lshlrev_b32 v28, 11, v0
	s_mov_b32 s13, 0
	s_mov_b32 s74, exec_lo
                                        ; implicit-def: $vgpr4
                                        ; implicit-def: $vgpr5
                                        ; implicit-def: $vgpr2
	s_delay_alu instid0(VALU_DEP_1)
	v_cmpx_ne_u32_e64 v75, v28
	s_cbranch_execz .LBB6_6737
; %bb.6232:                             ;   in Loop: Header=BB6_4163 Depth=2
	scratch_load_b32 v1, off, s33 offset:220 ; 4-byte Folded Reload
	v_dual_lshlrev_b32 v0, 5, v77 :: v_dual_sub_nc_u32 v2, v75, v28
	s_mov_b32 s75, exec_lo
	s_delay_alu instid0(VALU_DEP_1) | instskip(NEXT) | instid1(VALU_DEP_1)
	v_ashrrev_i32_e32 v4, 31, v2
	v_lshrrev_b32_e32 v4, 23, v4
	s_wait_loadcnt 0x0
	v_sub_nc_u32_e32 v0, v1, v0
	s_delay_alu instid0(VALU_DEP_1) | instskip(NEXT) | instid1(VALU_DEP_1)
	v_ashrrev_i32_e32 v1, 31, v0
	v_lshrrev_b32_e32 v1, 27, v1
	s_delay_alu instid0(VALU_DEP_1) | instskip(NEXT) | instid1(VALU_DEP_1)
	v_add_nc_u32_e32 v1, v0, v1
	v_and_b32_e32 v5, 0xffffffe0, v1
	s_delay_alu instid0(VALU_DEP_1) | instskip(NEXT) | instid1(VALU_DEP_1)
	v_dual_add_nc_u32 v4, v2, v4 :: v_dual_sub_nc_u32 v31, v0, v5
	v_and_b32_e32 v29, 0xfffffe00, v4
	v_dual_ashrrev_i32 v5, 5, v1 :: v_dual_ashrrev_i32 v1, 9, v4
	s_delay_alu instid0(VALU_DEP_2) | instskip(NEXT) | instid1(VALU_DEP_1)
	v_dual_lshlrev_b32 v0, 4, v31 :: v_dual_sub_nc_u32 v34, v2, v29
	v_lshl_add_u32 v0, v5, 9, v0
	s_delay_alu instid0(VALU_DEP_2) | instskip(NEXT) | instid1(VALU_DEP_1)
	v_cmp_lt_i32_e64 s13, 15, v34
	v_add_co_ci_u32_e64 v4, null, 0, v1, s13
	s_delay_alu instid0(VALU_DEP_1) | instskip(SKIP_1) | instid1(VALU_DEP_1)
	v_dual_sub_nc_u32 v1, v2, v0 :: v_dual_sub_nc_u32 v35, v4, v5
	s_wait_xcnt 0x0
	v_cmpx_lt_i32_e32 15, v1
	s_cbranch_execz .LBB6_6734
; %bb.6233:                             ;   in Loop: Header=BB6_4163 Depth=2
	s_trap 2
	scratch_load_b64 v[10:11], off, s33 offset:256 ; 8-byte Folded Reload
	v_add_nc_u32_e32 v8, v0, v28
	ds_load_b64 v[4:5], v0
	s_mov_b32 s76, 0
	v_ashrrev_i32_e32 v9, 31, v8
	s_delay_alu instid0(VALU_DEP_1)
	v_add_nc_u64_e32 v[18:19], v[8:9], v[92:93]
	s_wait_dscnt 0x0
	v_add_nc_u64_e32 v[22:23], v[4:5], v[8:9]
	s_wait_loadcnt 0x0
	v_add_nc_u64_e32 v[16:17], v[8:9], v[10:11]
	scratch_load_b64 v[10:11], off, s33 offset:248 ; 8-byte Folded Reload
	s_wait_loadcnt 0x0
	v_add_nc_u64_e32 v[20:21], v[8:9], v[10:11]
.LBB6_6234:                             ;   Parent Loop BB6_47 Depth=1
                                        ;     Parent Loop BB6_4163 Depth=2
                                        ; =>    This Loop Header: Depth=3
                                        ;         Child Loop BB6_6731 Depth 4
	global_load_b128 v[12:15], v[20:21], off th:TH_LOAD_NT
	global_load_b128 v[8:11], v[22:23], off th:TH_LOAD_NT
	v_mov_b32_e32 v2, 0
	s_mov_b32 s14, exec_lo
	s_wait_loadcnt 0x1
	v_and_b32_e32 v0, 0xff, v12
	s_wait_xcnt 0x0
	s_delay_alu instid0(VALU_DEP_1)
	v_cmpx_ne_u16_e32 0, v0
	s_cbranch_execz .LBB6_6240
; %bb.6235:                             ;   in Loop: Header=BB6_6234 Depth=3
	v_bfrev_b32_e32 v2, 1
	s_mov_b32 s15, exec_lo
	v_cmpx_ne_u16_e32 0x80, v0
	s_cbranch_execz .LBB6_6239
; %bb.6236:                             ;   in Loop: Header=BB6_6234 Depth=3
	v_and_b32_e32 v0, 0x7f, v12
	v_mov_b32_e32 v2, 0x7f800001
	s_mov_b32 s44, exec_lo
	s_delay_alu instid0(VALU_DEP_2)
	v_cmpx_ne_u32_e32 0x7f, v0
	s_cbranch_execz .LBB6_6238
; %bb.6237:                             ;   in Loop: Header=BB6_6234 Depth=3
	v_and_b32_e32 v2, 7, v12
	v_cmp_gt_u32_e32 vcc_lo, 8, v0
	s_delay_alu instid0(VALU_DEP_2) | instskip(NEXT) | instid1(VALU_DEP_1)
	v_clz_i32_u32_e32 v2, v2
	v_min_u32_e32 v2, 32, v2
	v_lshrrev_b32_e32 v4, 3, v0
	s_delay_alu instid0(VALU_DEP_2) | instskip(SKIP_1) | instid1(VALU_DEP_1)
	v_subrev_nc_u32_e32 v5, 28, v2
	v_sub_nc_u32_e32 v2, 29, v2
	v_dual_cndmask_b32 v0, v4, v2, vcc_lo :: v_dual_cndmask_b32 v2, 0, v5, vcc_lo
	s_delay_alu instid0(VALU_DEP_1) | instskip(NEXT) | instid1(VALU_DEP_2)
	v_lshl_add_u32 v0, v0, 23, 0x3c000000
	v_lshlrev_b64_e32 v[4:5], v2, v[12:13]
	v_lshlrev_b32_e32 v2, 24, v12
	s_delay_alu instid0(VALU_DEP_1) | instskip(NEXT) | instid1(VALU_DEP_3)
	v_and_b32_e32 v2, 0x80000000, v2
	v_lshlrev_b32_e32 v4, 20, v4
	s_delay_alu instid0(VALU_DEP_1) | instskip(NEXT) | instid1(VALU_DEP_1)
	v_and_b32_e32 v4, 0x700000, v4
	v_or3_b32 v2, v4, v2, v0
.LBB6_6238:                             ;   in Loop: Header=BB6_6234 Depth=3
	s_or_b32 exec_lo, exec_lo, s44
.LBB6_6239:                             ;   in Loop: Header=BB6_6234 Depth=3
	s_delay_alu instid0(SALU_CYCLE_1)
	s_or_b32 exec_lo, exec_lo, s15
.LBB6_6240:                             ;   in Loop: Header=BB6_6234 Depth=3
	s_delay_alu instid0(SALU_CYCLE_1) | instskip(SKIP_4) | instid1(VALU_DEP_1)
	s_or_b32 exec_lo, exec_lo, s14
	s_wait_loadcnt 0x0
	v_and_b32_e32 v4, 0xff, v8
	s_mov_b32 s14, 0
	s_mov_b32 s15, exec_lo
	v_cmpx_lt_i16_e32 0x7f, v4
	s_xor_b32 s15, exec_lo, s15
	s_cbranch_execz .LBB6_6275
; %bb.6241:                             ;   in Loop: Header=BB6_6234 Depth=3
	s_mov_b32 s14, -1
	s_mov_b32 s44, exec_lo
	v_cmpx_eq_u16_e32 0x80, v4
; %bb.6242:                             ;   in Loop: Header=BB6_6234 Depth=3
	s_xor_b32 s14, exec_lo, -1
; %bb.6243:                             ;   in Loop: Header=BB6_6234 Depth=3
	s_or_b32 exec_lo, exec_lo, s44
	s_delay_alu instid0(SALU_CYCLE_1)
	s_and_b32 s14, s14, exec_lo
                                        ; implicit-def: $vgpr4
	s_or_saveexec_b32 s15, s15
	v_bfrev_b32_e32 v0, 1
	s_xor_b32 exec_lo, exec_lo, s15
	s_cbranch_execnz .LBB6_6276
.LBB6_6244:                             ;   in Loop: Header=BB6_6234 Depth=3
	s_or_b32 exec_lo, exec_lo, s15
	s_and_saveexec_b32 s15, s14
	s_cbranch_execz .LBB6_6246
.LBB6_6245:                             ;   in Loop: Header=BB6_6234 Depth=3
	v_and_b32_e32 v24, 0x7f, v8
	v_bfe_u32 v4, v8, 3, 4
	s_delay_alu instid0(VALU_DEP_2) | instskip(SKIP_1) | instid1(VALU_DEP_1)
	v_cmp_gt_u32_e32 vcc_lo, 8, v24
	v_and_b32_e32 v0, 7, v8
	v_clz_i32_u32_e32 v0, v0
	s_delay_alu instid0(VALU_DEP_1) | instskip(NEXT) | instid1(VALU_DEP_1)
	v_min_u32_e32 v0, 32, v0
	v_subrev_nc_u32_e32 v5, 28, v0
	v_sub_nc_u32_e32 v0, 29, v0
	s_delay_alu instid0(VALU_DEP_1) | instskip(SKIP_1) | instid1(VALU_DEP_2)
	v_dual_cndmask_b32 v0, v4, v0, vcc_lo :: v_dual_cndmask_b32 v4, 0, v5, vcc_lo
	v_cmp_ne_u32_e32 vcc_lo, 0x7f, v24
	v_lshl_add_u32 v0, v0, 23, 0x3c000000
	s_delay_alu instid0(VALU_DEP_3) | instskip(SKIP_1) | instid1(VALU_DEP_1)
	v_lshlrev_b64_e32 v[4:5], v4, v[8:9]
	v_lshlrev_b32_e32 v5, 24, v8
	v_and_b32_e32 v5, 0x80000000, v5
	s_delay_alu instid0(VALU_DEP_3) | instskip(NEXT) | instid1(VALU_DEP_1)
	v_lshlrev_b32_e32 v4, 20, v4
	v_and_b32_e32 v4, 0x700000, v4
	s_delay_alu instid0(VALU_DEP_1) | instskip(NEXT) | instid1(VALU_DEP_1)
	v_or3_b32 v0, v4, v5, v0
	v_cndmask_b32_e32 v0, 0x7f800001, v0, vcc_lo
.LBB6_6246:                             ;   in Loop: Header=BB6_6234 Depth=3
	s_or_b32 exec_lo, exec_lo, s15
	s_delay_alu instid0(VALU_DEP_1) | instskip(SKIP_1) | instid1(VALU_DEP_1)
	v_add_f32_e32 v0, v2, v0
                                        ; implicit-def: $vgpr4
	s_mov_b32 s14, exec_lo
	v_and_b32_e32 v2, 0x7f800000, v0
	v_lshrrev_b32_e32 v5, 24, v0
	s_delay_alu instid0(VALU_DEP_2)
	v_cmpx_ne_u64_e32 0x7f800000, v[2:3]
	s_xor_b32 s15, exec_lo, s14
	s_cbranch_execz .LBB6_6260
; %bb.6247:                             ;   in Loop: Header=BB6_6234 Depth=3
	v_and_b32_e32 v2, 0x7fffffff, v0
	v_and_b32_e32 v5, 0x80, v5
                                        ; implicit-def: $vgpr4
	s_mov_b32 s14, exec_lo
	s_delay_alu instid0(VALU_DEP_2)
	v_cmpx_gt_u64_e32 0x43e00001, v[2:3]
	s_xor_b32 s44, exec_lo, s14
	s_cbranch_execz .LBB6_6257
; %bb.6248:                             ;   in Loop: Header=BB6_6234 Depth=3
	v_mov_b32_e32 v4, 0
	s_mov_b32 s45, exec_lo
	v_cmpx_ne_u32_e32 0, v0
	s_cbranch_execz .LBB6_6256
; %bb.6249:                             ;   in Loop: Header=BB6_6234 Depth=3
	v_bfe_u32 v4, v0, 23, 8
	v_and_b32_e32 v0, 0x7fffff, v0
	s_delay_alu instid0(VALU_DEP_2) | instskip(SKIP_1) | instid1(VALU_DEP_3)
	v_sub_nc_u32_e32 v2, 0x79, v4
	v_cmp_gt_u32_e32 vcc_lo, 0x7a, v4
	v_or_b32_e32 v26, 0x800000, v0
	s_delay_alu instid0(VALU_DEP_3) | instskip(SKIP_1) | instid1(VALU_DEP_2)
	v_cndmask_b32_e32 v2, 0, v2, vcc_lo
	v_cmp_eq_u32_e32 vcc_lo, 0, v4
	v_cndmask_b32_e64 v32, v2, 0x78, vcc_lo
	s_delay_alu instid0(VALU_DEP_1) | instskip(NEXT) | instid1(VALU_DEP_1)
	v_dual_add_nc_u32 v2, 20, v32 :: v_dual_add_nc_u32 v27, 19, v32
	v_lshlrev_b64_e64 v[24:25], v2, -1
	v_cndmask_b32_e32 v2, v26, v0, vcc_lo
	s_delay_alu instid0(VALU_DEP_3) | instskip(NEXT) | instid1(VALU_DEP_3)
	v_lshlrev_b64_e64 v[26:27], v27, 1
	v_bfi_b32 v37, v25, 0, 0
	s_delay_alu instid0(VALU_DEP_3) | instskip(SKIP_1) | instid1(VALU_DEP_2)
	v_bfi_b32 v36, v24, 0, v2
	v_lshrrev_b64 v[24:25], v32, v[2:3]
	v_cmp_eq_u64_e64 s14, v[36:37], v[26:27]
	s_delay_alu instid0(VALU_DEP_2)
	v_mov_b64_e32 v[26:27], v[24:25]
	s_and_saveexec_b32 s77, s14
; %bb.6250:                             ;   in Loop: Header=BB6_6234 Depth=3
	v_bfe_u32 v2, v24, 20, 1
	s_delay_alu instid0(VALU_DEP_1) | instskip(NEXT) | instid1(VALU_DEP_1)
	v_add_nc_u64_e32 v[26:27], v[24:25], v[2:3]
	v_add_nc_u64_e32 v[26:27], -1, v[26:27]
; %bb.6251:                             ;   in Loop: Header=BB6_6234 Depth=3
	s_or_b32 exec_lo, exec_lo, s77
	v_add_nc_u32_e32 v0, 0xffffff81, v4
	v_lshrrev_b32_e32 v2, 23, v24
	s_mov_b32 s14, exec_lo
	s_delay_alu instid0(VALU_DEP_2) | instskip(NEXT) | instid1(VALU_DEP_1)
	v_cndmask_b32_e64 v0, v0, 0xffffff82, vcc_lo
	v_add3_u32 v4, v32, v0, v2
	v_and_b32_e32 v0, 0xfffff, v26
	s_delay_alu instid0(VALU_DEP_2) | instskip(NEXT) | instid1(VALU_DEP_2)
	v_add_nc_u32_e32 v26, 6, v4
	v_add_nc_u32_e32 v2, v0, v24
                                        ; implicit-def: $vgpr24_vgpr25
                                        ; implicit-def: $vgpr0
	s_delay_alu instid0(VALU_DEP_2)
	v_cmpx_ne_u32_e32 0, v26
	s_xor_b32 s14, exec_lo, s14
; %bb.6252:                             ;   in Loop: Header=BB6_6234 Depth=3
	s_delay_alu instid0(VALU_DEP_2) | instskip(SKIP_2) | instid1(VALU_DEP_2)
	v_cmp_lt_u64_e32 vcc_lo, 0xffffff, v[2:3]
	v_add_nc_u32_e32 v0, 7, v4
	v_cndmask_b32_e64 v4, 0, 1, vcc_lo
	v_cndmask_b32_e32 v0, v26, v0, vcc_lo
	s_delay_alu instid0(VALU_DEP_2)
	v_lshrrev_b64 v[24:25], v4, v[2:3]
; %bb.6253:                             ;   in Loop: Header=BB6_6234 Depth=3
	s_and_not1_saveexec_b32 s14, s14
; %bb.6254:                             ;   in Loop: Header=BB6_6234 Depth=3
	v_mov_b64_e32 v[24:25], v[2:3]
	v_bfe_u32 v0, v2, 23, 1
; %bb.6255:                             ;   in Loop: Header=BB6_6234 Depth=3
	s_or_b32 exec_lo, exec_lo, s14
	s_delay_alu instid0(VALU_DEP_2) | instskip(NEXT) | instid1(VALU_DEP_2)
	v_lshrrev_b64 v[24:25], 20, v[24:25]
	v_cmp_gt_i32_e32 vcc_lo, 16, v0
	v_min_i32_e32 v2, 15, v0
	v_cmp_eq_u32_e64 s14, 0, v0
	s_delay_alu instid0(VALU_DEP_2) | instskip(SKIP_1) | instid1(VALU_DEP_2)
	v_dual_cndmask_b32 v25, 0, v25 :: v_dual_lshlrev_b32 v2, 3, v2
	v_cndmask_b32_e32 v24, 7, v24, vcc_lo
	v_and_b32_e32 v2, 0xf8, v2
	s_delay_alu instid0(VALU_DEP_2) | instskip(NEXT) | instid1(VALU_DEP_2)
	v_cmp_eq_u64_e32 vcc_lo, 0, v[24:25]
	v_and_or_b32 v0, v24, 7, v2
	s_and_b32 s14, s14, vcc_lo
	s_delay_alu instid0(VALU_DEP_1) | instid1(SALU_CYCLE_1)
	v_cndmask_b32_e64 v0, v0, 0, s14
	s_delay_alu instid0(VALU_DEP_1)
	v_or_b32_e32 v4, v0, v5
.LBB6_6256:                             ;   in Loop: Header=BB6_6234 Depth=3
	s_or_b32 exec_lo, exec_lo, s45
                                        ; implicit-def: $vgpr5
.LBB6_6257:                             ;   in Loop: Header=BB6_6234 Depth=3
	s_and_not1_saveexec_b32 s14, s44
; %bb.6258:                             ;   in Loop: Header=BB6_6234 Depth=3
	v_or_b32_e32 v4, 0x7e, v5
; %bb.6259:                             ;   in Loop: Header=BB6_6234 Depth=3
	s_or_b32 exec_lo, exec_lo, s14
                                        ; implicit-def: $vgpr5
.LBB6_6260:                             ;   in Loop: Header=BB6_6234 Depth=3
	s_and_not1_saveexec_b32 s14, s15
; %bb.6261:                             ;   in Loop: Header=BB6_6234 Depth=3
	v_or_b32_e32 v4, 0x7f, v5
; %bb.6262:                             ;   in Loop: Header=BB6_6234 Depth=3
	s_or_b32 exec_lo, exec_lo, s14
	v_lshrrev_b16 v0, 8, v12
	v_mov_b32_e32 v5, 0
	s_mov_b32 s14, exec_lo
	s_delay_alu instid0(VALU_DEP_2)
	v_cmpx_ne_u16_e32 0, v0
	s_cbranch_execz .LBB6_6270
; %bb.6263:                             ;   in Loop: Header=BB6_6234 Depth=3
	v_bfrev_b32_e32 v5, 1
	s_mov_b32 s15, exec_lo
	v_cmpx_ne_u16_e32 0x80, v0
	s_cbranch_execz .LBB6_6269
; %bb.6264:                             ;   in Loop: Header=BB6_6234 Depth=3
	v_and_b32_e32 v0, 0xffff, v0
	v_mov_b32_e32 v5, 0x7f800001
	s_mov_b32 s44, exec_lo
	s_delay_alu instid0(VALU_DEP_2) | instskip(NEXT) | instid1(VALU_DEP_1)
	v_and_b32_e32 v24, 0x7f, v0
	v_cmpx_ne_u32_e32 0x7f, v24
	s_cbranch_execz .LBB6_6268
; %bb.6265:                             ;   in Loop: Header=BB6_6234 Depth=3
	v_and_b32_e32 v2, 7, v0
	v_lshrrev_b32_e32 v0, 3, v24
	v_cmp_gt_u32_e32 vcc_lo, 8, v24
	s_delay_alu instid0(VALU_DEP_3)
	v_mov_b64_e32 v[24:25], v[2:3]
	s_and_saveexec_b32 s45, vcc_lo
; %bb.6266:                             ;   in Loop: Header=BB6_6234 Depth=3
	v_clz_i32_u32_e32 v0, v2
	s_delay_alu instid0(VALU_DEP_1) | instskip(NEXT) | instid1(VALU_DEP_1)
	v_min_u32_e32 v0, 32, v0
	v_subrev_nc_u32_e32 v5, 28, v0
	v_sub_nc_u32_e32 v0, 29, v0
	s_delay_alu instid0(VALU_DEP_2) | instskip(NEXT) | instid1(VALU_DEP_1)
	v_lshlrev_b64_e32 v[24:25], v5, v[2:3]
	v_and_b32_e32 v24, 7, v24
; %bb.6267:                             ;   in Loop: Header=BB6_6234 Depth=3
	s_or_b32 exec_lo, exec_lo, s45
	v_lshlrev_b32_e32 v2, 16, v12
	s_delay_alu instid0(VALU_DEP_2) | instskip(SKIP_1) | instid1(VALU_DEP_3)
	v_lshlrev_b32_e32 v5, 20, v24
	v_lshl_add_u32 v0, v0, 23, 0x3c000000
	v_and_b32_e32 v2, 0x80000000, v2
	s_delay_alu instid0(VALU_DEP_1)
	v_or3_b32 v5, v5, v2, v0
.LBB6_6268:                             ;   in Loop: Header=BB6_6234 Depth=3
	s_or_b32 exec_lo, exec_lo, s44
.LBB6_6269:                             ;   in Loop: Header=BB6_6234 Depth=3
	s_delay_alu instid0(SALU_CYCLE_1)
	s_or_b32 exec_lo, exec_lo, s15
.LBB6_6270:                             ;   in Loop: Header=BB6_6234 Depth=3
	s_delay_alu instid0(SALU_CYCLE_1) | instskip(SKIP_3) | instid1(VALU_DEP_1)
	s_or_b32 exec_lo, exec_lo, s14
	v_lshrrev_b16 v24, 8, v8
	s_mov_b32 s15, 0
	s_mov_b32 s14, exec_lo
	v_cmpx_lt_i16_e32 0x7f, v24
	s_xor_b32 s14, exec_lo, s14
	s_cbranch_execz .LBB6_6277
; %bb.6271:                             ;   in Loop: Header=BB6_6234 Depth=3
	s_mov_b32 s15, -1
	s_mov_b32 s44, exec_lo
	v_cmpx_eq_u16_e32 0x80, v24
; %bb.6272:                             ;   in Loop: Header=BB6_6234 Depth=3
	s_xor_b32 s15, exec_lo, -1
; %bb.6273:                             ;   in Loop: Header=BB6_6234 Depth=3
	s_or_b32 exec_lo, exec_lo, s44
	s_delay_alu instid0(SALU_CYCLE_1)
	s_and_b32 s15, s15, exec_lo
	s_or_saveexec_b32 s14, s14
	v_bfrev_b32_e32 v0, 1
	s_xor_b32 exec_lo, exec_lo, s14
	s_cbranch_execnz .LBB6_6278
.LBB6_6274:                             ;   in Loop: Header=BB6_6234 Depth=3
	s_or_b32 exec_lo, exec_lo, s14
	s_and_saveexec_b32 s14, s15
	s_cbranch_execnz .LBB6_6279
	s_branch .LBB6_6282
.LBB6_6275:                             ;   in Loop: Header=BB6_6234 Depth=3
	s_or_saveexec_b32 s15, s15
	v_bfrev_b32_e32 v0, 1
	s_xor_b32 exec_lo, exec_lo, s15
	s_cbranch_execz .LBB6_6244
.LBB6_6276:                             ;   in Loop: Header=BB6_6234 Depth=3
	v_cmp_ne_u16_e32 vcc_lo, 0, v4
	v_mov_b32_e32 v0, 0
	s_and_not1_b32 s14, s14, exec_lo
	s_and_b32 s44, vcc_lo, exec_lo
	s_delay_alu instid0(SALU_CYCLE_1)
	s_or_b32 s14, s14, s44
	s_or_b32 exec_lo, exec_lo, s15
	s_and_saveexec_b32 s15, s14
	s_cbranch_execnz .LBB6_6245
	s_branch .LBB6_6246
.LBB6_6277:                             ;   in Loop: Header=BB6_6234 Depth=3
	s_or_saveexec_b32 s14, s14
	v_bfrev_b32_e32 v0, 1
	s_xor_b32 exec_lo, exec_lo, s14
	s_cbranch_execz .LBB6_6274
.LBB6_6278:                             ;   in Loop: Header=BB6_6234 Depth=3
	v_cmp_ne_u16_e32 vcc_lo, 0, v24
	v_mov_b32_e32 v0, 0
	s_and_not1_b32 s15, s15, exec_lo
	s_and_b32 s44, vcc_lo, exec_lo
	s_delay_alu instid0(SALU_CYCLE_1)
	s_or_b32 s15, s15, s44
	s_or_b32 exec_lo, exec_lo, s14
	s_and_saveexec_b32 s14, s15
	s_cbranch_execz .LBB6_6282
.LBB6_6279:                             ;   in Loop: Header=BB6_6234 Depth=3
	v_and_b32_e32 v2, 0xffff, v24
	v_mov_b32_e32 v0, 0x7f800001
	s_mov_b32 s15, exec_lo
	s_delay_alu instid0(VALU_DEP_2) | instskip(NEXT) | instid1(VALU_DEP_1)
	v_and_b32_e32 v25, 0x7f, v2
	v_cmpx_ne_u32_e32 0x7f, v25
	s_cbranch_execz .LBB6_6281
; %bb.6280:                             ;   in Loop: Header=BB6_6234 Depth=3
	v_and_b32_e32 v0, 7, v2
	v_cmp_gt_u32_e32 vcc_lo, 8, v25
	s_delay_alu instid0(VALU_DEP_2) | instskip(NEXT) | instid1(VALU_DEP_1)
	v_clz_i32_u32_e32 v26, v0
	v_min_u32_e32 v32, 32, v26
	s_delay_alu instid0(VALU_DEP_1) | instskip(NEXT) | instid1(VALU_DEP_1)
	v_subrev_nc_u32_e32 v26, 28, v32
	v_lshlrev_b64_e32 v[26:27], v26, v[2:3]
	v_dual_lshrrev_b32 v2, 3, v25 :: v_dual_sub_nc_u32 v27, 29, v32
	s_delay_alu instid0(VALU_DEP_2) | instskip(NEXT) | instid1(VALU_DEP_1)
	v_dual_lshlrev_b32 v24, 24, v24 :: v_dual_bitop2_b32 v25, 7, v26 bitop3:0x40
	v_dual_cndmask_b32 v2, v2, v27, vcc_lo :: v_dual_cndmask_b32 v0, v0, v25, vcc_lo
	s_delay_alu instid0(VALU_DEP_2) | instskip(NEXT) | instid1(VALU_DEP_2)
	v_and_b32_e32 v24, 0x80000000, v24
	v_lshl_add_u32 v2, v2, 23, 0x3c000000
	s_delay_alu instid0(VALU_DEP_3) | instskip(NEXT) | instid1(VALU_DEP_1)
	v_lshlrev_b32_e32 v0, 20, v0
	v_or3_b32 v0, v0, v24, v2
.LBB6_6281:                             ;   in Loop: Header=BB6_6234 Depth=3
	s_or_b32 exec_lo, exec_lo, s15
.LBB6_6282:                             ;   in Loop: Header=BB6_6234 Depth=3
	s_delay_alu instid0(SALU_CYCLE_1) | instskip(NEXT) | instid1(VALU_DEP_1)
	s_or_b32 exec_lo, exec_lo, s14
	v_add_f32_e32 v0, v5, v0
                                        ; implicit-def: $vgpr5
	s_mov_b32 s14, exec_lo
	s_delay_alu instid0(VALU_DEP_1) | instskip(SKIP_1) | instid1(VALU_DEP_2)
	v_and_b32_e32 v2, 0x7f800000, v0
	v_lshrrev_b32_e32 v24, 24, v0
	v_cmpx_ne_u64_e32 0x7f800000, v[2:3]
	s_xor_b32 s15, exec_lo, s14
	s_cbranch_execz .LBB6_6296
; %bb.6283:                             ;   in Loop: Header=BB6_6234 Depth=3
	v_and_b32_e32 v2, 0x7fffffff, v0
	v_and_b32_e32 v32, 0x80, v24
                                        ; implicit-def: $vgpr5
	s_mov_b32 s14, exec_lo
	s_delay_alu instid0(VALU_DEP_2)
	v_cmpx_gt_u64_e32 0x43e00001, v[2:3]
	s_xor_b32 s44, exec_lo, s14
	s_cbranch_execz .LBB6_6293
; %bb.6284:                             ;   in Loop: Header=BB6_6234 Depth=3
	v_mov_b32_e32 v5, 0
	s_mov_b32 s45, exec_lo
	v_cmpx_ne_u32_e32 0, v0
	s_cbranch_execz .LBB6_6292
; %bb.6285:                             ;   in Loop: Header=BB6_6234 Depth=3
	v_bfe_u32 v5, v0, 23, 8
	v_and_b32_e32 v0, 0x7fffff, v0
	s_delay_alu instid0(VALU_DEP_2) | instskip(SKIP_1) | instid1(VALU_DEP_3)
	v_sub_nc_u32_e32 v2, 0x79, v5
	v_cmp_gt_u32_e32 vcc_lo, 0x7a, v5
	v_or_b32_e32 v26, 0x800000, v0
	s_delay_alu instid0(VALU_DEP_3) | instskip(SKIP_1) | instid1(VALU_DEP_2)
	v_cndmask_b32_e32 v2, 0, v2, vcc_lo
	v_cmp_eq_u32_e32 vcc_lo, 0, v5
	v_cndmask_b32_e64 v33, v2, 0x78, vcc_lo
	s_delay_alu instid0(VALU_DEP_1) | instskip(NEXT) | instid1(VALU_DEP_1)
	v_dual_add_nc_u32 v2, 20, v33 :: v_dual_add_nc_u32 v27, 19, v33
	v_lshlrev_b64_e64 v[24:25], v2, -1
	v_cndmask_b32_e32 v2, v26, v0, vcc_lo
	s_delay_alu instid0(VALU_DEP_3) | instskip(NEXT) | instid1(VALU_DEP_3)
	v_lshlrev_b64_e64 v[26:27], v27, 1
	v_bfi_b32 v37, v25, 0, 0
	s_delay_alu instid0(VALU_DEP_3) | instskip(SKIP_1) | instid1(VALU_DEP_2)
	v_bfi_b32 v36, v24, 0, v2
	v_lshrrev_b64 v[24:25], v33, v[2:3]
	v_cmp_eq_u64_e64 s14, v[36:37], v[26:27]
	s_delay_alu instid0(VALU_DEP_2)
	v_mov_b64_e32 v[26:27], v[24:25]
	s_and_saveexec_b32 s77, s14
; %bb.6286:                             ;   in Loop: Header=BB6_6234 Depth=3
	v_bfe_u32 v2, v24, 20, 1
	s_delay_alu instid0(VALU_DEP_1) | instskip(NEXT) | instid1(VALU_DEP_1)
	v_add_nc_u64_e32 v[26:27], v[24:25], v[2:3]
	v_add_nc_u64_e32 v[26:27], -1, v[26:27]
; %bb.6287:                             ;   in Loop: Header=BB6_6234 Depth=3
	s_or_b32 exec_lo, exec_lo, s77
	v_add_nc_u32_e32 v0, 0xffffff81, v5
	v_lshrrev_b32_e32 v2, 23, v24
	s_mov_b32 s14, exec_lo
	s_delay_alu instid0(VALU_DEP_2) | instskip(NEXT) | instid1(VALU_DEP_1)
	v_cndmask_b32_e64 v0, v0, 0xffffff82, vcc_lo
	v_add3_u32 v5, v33, v0, v2
	v_and_b32_e32 v0, 0xfffff, v26
	s_delay_alu instid0(VALU_DEP_1) | instskip(NEXT) | instid1(VALU_DEP_1)
	v_dual_add_nc_u32 v26, 6, v5 :: v_dual_add_nc_u32 v2, v0, v24
                                        ; implicit-def: $vgpr24_vgpr25
                                        ; implicit-def: $vgpr0
	v_cmpx_ne_u32_e32 0, v26
	s_xor_b32 s14, exec_lo, s14
; %bb.6288:                             ;   in Loop: Header=BB6_6234 Depth=3
	s_delay_alu instid0(VALU_DEP_2) | instskip(SKIP_2) | instid1(VALU_DEP_2)
	v_cmp_lt_u64_e32 vcc_lo, 0xffffff, v[2:3]
	v_add_nc_u32_e32 v0, 7, v5
	v_cndmask_b32_e64 v5, 0, 1, vcc_lo
	v_cndmask_b32_e32 v0, v26, v0, vcc_lo
	s_delay_alu instid0(VALU_DEP_2)
	v_lshrrev_b64 v[24:25], v5, v[2:3]
; %bb.6289:                             ;   in Loop: Header=BB6_6234 Depth=3
	s_and_not1_saveexec_b32 s14, s14
; %bb.6290:                             ;   in Loop: Header=BB6_6234 Depth=3
	v_mov_b64_e32 v[24:25], v[2:3]
	v_bfe_u32 v0, v2, 23, 1
; %bb.6291:                             ;   in Loop: Header=BB6_6234 Depth=3
	s_or_b32 exec_lo, exec_lo, s14
	s_delay_alu instid0(VALU_DEP_2) | instskip(NEXT) | instid1(VALU_DEP_2)
	v_lshrrev_b64 v[24:25], 20, v[24:25]
	v_cmp_gt_i32_e32 vcc_lo, 16, v0
	v_min_i32_e32 v2, 15, v0
	v_cmp_eq_u32_e64 s14, 0, v0
	s_delay_alu instid0(VALU_DEP_2) | instskip(SKIP_1) | instid1(VALU_DEP_2)
	v_dual_cndmask_b32 v25, 0, v25 :: v_dual_lshlrev_b32 v2, 3, v2
	v_cndmask_b32_e32 v24, 7, v24, vcc_lo
	v_and_b32_e32 v2, 0xf8, v2
	s_delay_alu instid0(VALU_DEP_2) | instskip(NEXT) | instid1(VALU_DEP_2)
	v_cmp_eq_u64_e32 vcc_lo, 0, v[24:25]
	v_and_or_b32 v0, v24, 7, v2
	s_and_b32 s14, s14, vcc_lo
	s_delay_alu instid0(VALU_DEP_1) | instid1(SALU_CYCLE_1)
	v_cndmask_b32_e64 v0, v0, 0, s14
	s_delay_alu instid0(VALU_DEP_1)
	v_or_b32_e32 v5, v0, v32
.LBB6_6292:                             ;   in Loop: Header=BB6_6234 Depth=3
	s_or_b32 exec_lo, exec_lo, s45
                                        ; implicit-def: $vgpr32
.LBB6_6293:                             ;   in Loop: Header=BB6_6234 Depth=3
	s_and_not1_saveexec_b32 s14, s44
; %bb.6294:                             ;   in Loop: Header=BB6_6234 Depth=3
	v_or_b32_e32 v5, 0x7e, v32
; %bb.6295:                             ;   in Loop: Header=BB6_6234 Depth=3
	s_or_b32 exec_lo, exec_lo, s14
                                        ; implicit-def: $vgpr24
.LBB6_6296:                             ;   in Loop: Header=BB6_6234 Depth=3
	s_and_not1_saveexec_b32 s14, s15
; %bb.6297:                             ;   in Loop: Header=BB6_6234 Depth=3
	v_or_b32_e32 v5, 0x7f, v24
; %bb.6298:                             ;   in Loop: Header=BB6_6234 Depth=3
	s_or_b32 exec_lo, exec_lo, s14
	v_dual_lshrrev_b32 v0, 16, v12 :: v_dual_mov_b32 v24, 0
	s_mov_b32 s14, exec_lo
	s_delay_alu instid0(VALU_DEP_1) | instskip(NEXT) | instid1(VALU_DEP_1)
	v_and_b32_e32 v2, 0xff, v0
	v_cmpx_ne_u16_e32 0, v2
	s_cbranch_execz .LBB6_6306
; %bb.6299:                             ;   in Loop: Header=BB6_6234 Depth=3
	v_bfrev_b32_e32 v24, 1
	s_mov_b32 s15, exec_lo
	v_cmpx_ne_u16_e32 0x80, v2
	s_cbranch_execz .LBB6_6305
; %bb.6300:                             ;   in Loop: Header=BB6_6234 Depth=3
	v_bfe_u32 v25, v12, 16, 7
	v_mov_b32_e32 v24, 0x7f800001
	s_mov_b32 s44, exec_lo
	s_delay_alu instid0(VALU_DEP_2)
	v_cmpx_ne_u32_e32 0x7f, v25
	s_cbranch_execz .LBB6_6304
; %bb.6301:                             ;   in Loop: Header=BB6_6234 Depth=3
	v_dual_lshrrev_b32 v26, 3, v25 :: v_dual_bitop2_b32 v2, 7, v0 bitop3:0x40
	v_cmp_gt_u32_e32 vcc_lo, 8, v25
	s_delay_alu instid0(VALU_DEP_2)
	v_mov_b64_e32 v[24:25], v[2:3]
	s_and_saveexec_b32 s45, vcc_lo
; %bb.6302:                             ;   in Loop: Header=BB6_6234 Depth=3
	v_clz_i32_u32_e32 v24, v2
	s_delay_alu instid0(VALU_DEP_1) | instskip(NEXT) | instid1(VALU_DEP_1)
	v_min_u32_e32 v26, 32, v24
	v_subrev_nc_u32_e32 v24, 28, v26
	s_delay_alu instid0(VALU_DEP_1) | instskip(NEXT) | instid1(VALU_DEP_1)
	v_lshlrev_b64_e32 v[24:25], v24, v[2:3]
	v_dual_sub_nc_u32 v26, 29, v26 :: v_dual_bitop2_b32 v24, 7, v24 bitop3:0x40
; %bb.6303:                             ;   in Loop: Header=BB6_6234 Depth=3
	s_or_b32 exec_lo, exec_lo, s45
	v_lshlrev_b32_e32 v0, 24, v0
	s_delay_alu instid0(VALU_DEP_2) | instskip(NEXT) | instid1(VALU_DEP_3)
	v_lshlrev_b32_e32 v2, 20, v24
	v_lshl_add_u32 v24, v26, 23, 0x3c000000
	s_delay_alu instid0(VALU_DEP_3) | instskip(NEXT) | instid1(VALU_DEP_1)
	v_and_b32_e32 v0, 0x80000000, v0
	v_or3_b32 v24, v2, v0, v24
.LBB6_6304:                             ;   in Loop: Header=BB6_6234 Depth=3
	s_or_b32 exec_lo, exec_lo, s44
.LBB6_6305:                             ;   in Loop: Header=BB6_6234 Depth=3
	s_delay_alu instid0(SALU_CYCLE_1)
	s_or_b32 exec_lo, exec_lo, s15
.LBB6_6306:                             ;   in Loop: Header=BB6_6234 Depth=3
	s_delay_alu instid0(SALU_CYCLE_1) | instskip(SKIP_3) | instid1(VALU_DEP_1)
	s_or_b32 exec_lo, exec_lo, s14
	v_lshrrev_b32_e32 v2, 16, v8
	s_mov_b32 s15, 0
	s_mov_b32 s14, exec_lo
	v_and_b32_e32 v25, 0xff, v2
	s_delay_alu instid0(VALU_DEP_1)
	v_cmpx_lt_i16_e32 0x7f, v25
	s_xor_b32 s14, exec_lo, s14
	s_cbranch_execz .LBB6_6311
; %bb.6307:                             ;   in Loop: Header=BB6_6234 Depth=3
	s_mov_b32 s15, -1
	s_mov_b32 s44, exec_lo
	v_cmpx_eq_u16_e32 0x80, v25
; %bb.6308:                             ;   in Loop: Header=BB6_6234 Depth=3
	s_xor_b32 s15, exec_lo, -1
; %bb.6309:                             ;   in Loop: Header=BB6_6234 Depth=3
	s_or_b32 exec_lo, exec_lo, s44
	s_delay_alu instid0(SALU_CYCLE_1)
	s_and_b32 s15, s15, exec_lo
                                        ; implicit-def: $vgpr25
	s_or_saveexec_b32 s14, s14
	v_bfrev_b32_e32 v0, 1
	s_xor_b32 exec_lo, exec_lo, s14
	s_cbranch_execnz .LBB6_6312
.LBB6_6310:                             ;   in Loop: Header=BB6_6234 Depth=3
	s_or_b32 exec_lo, exec_lo, s14
	s_and_saveexec_b32 s14, s15
	s_cbranch_execnz .LBB6_6313
	s_branch .LBB6_6316
.LBB6_6311:                             ;   in Loop: Header=BB6_6234 Depth=3
	s_or_saveexec_b32 s14, s14
	v_bfrev_b32_e32 v0, 1
	s_xor_b32 exec_lo, exec_lo, s14
	s_cbranch_execz .LBB6_6310
.LBB6_6312:                             ;   in Loop: Header=BB6_6234 Depth=3
	v_cmp_ne_u16_e32 vcc_lo, 0, v25
	v_mov_b32_e32 v0, 0
	s_and_not1_b32 s15, s15, exec_lo
	s_and_b32 s44, vcc_lo, exec_lo
	s_delay_alu instid0(SALU_CYCLE_1)
	s_or_b32 s15, s15, s44
	s_or_b32 exec_lo, exec_lo, s14
	s_and_saveexec_b32 s14, s15
	s_cbranch_execz .LBB6_6316
.LBB6_6313:                             ;   in Loop: Header=BB6_6234 Depth=3
	v_and_b32_e32 v25, 0x7f, v2
	v_mov_b32_e32 v0, 0x7f800001
	s_mov_b32 s15, exec_lo
	s_delay_alu instid0(VALU_DEP_2)
	v_cmpx_ne_u32_e32 0x7f, v25
	s_cbranch_execz .LBB6_6315
; %bb.6314:                             ;   in Loop: Header=BB6_6234 Depth=3
	v_and_b32_e32 v0, 7, v2
	v_cmp_gt_u32_e32 vcc_lo, 8, v25
	s_delay_alu instid0(VALU_DEP_2) | instskip(NEXT) | instid1(VALU_DEP_1)
	v_clz_i32_u32_e32 v26, v0
	v_min_u32_e32 v32, 32, v26
	s_delay_alu instid0(VALU_DEP_1) | instskip(NEXT) | instid1(VALU_DEP_1)
	v_subrev_nc_u32_e32 v26, 28, v32
	v_lshlrev_b64_e32 v[26:27], v26, v[2:3]
	v_dual_lshrrev_b32 v27, 3, v25 :: v_dual_sub_nc_u32 v32, 29, v32
	v_lshlrev_b32_e32 v2, 24, v2
	s_delay_alu instid0(VALU_DEP_2) | instskip(NEXT) | instid1(VALU_DEP_2)
	v_dual_cndmask_b32 v26, v27, v32, vcc_lo :: v_dual_bitop2_b32 v25, 7, v26 bitop3:0x40
	v_and_b32_e32 v2, 0x80000000, v2
	s_delay_alu instid0(VALU_DEP_2) | instskip(NEXT) | instid1(VALU_DEP_3)
	v_cndmask_b32_e32 v0, v0, v25, vcc_lo
	v_lshl_add_u32 v25, v26, 23, 0x3c000000
	s_delay_alu instid0(VALU_DEP_2) | instskip(NEXT) | instid1(VALU_DEP_1)
	v_lshlrev_b32_e32 v0, 20, v0
	v_or3_b32 v0, v0, v2, v25
.LBB6_6315:                             ;   in Loop: Header=BB6_6234 Depth=3
	s_or_b32 exec_lo, exec_lo, s15
.LBB6_6316:                             ;   in Loop: Header=BB6_6234 Depth=3
	s_delay_alu instid0(SALU_CYCLE_1) | instskip(NEXT) | instid1(VALU_DEP_1)
	s_or_b32 exec_lo, exec_lo, s14
	v_add_f32_e32 v0, v24, v0
                                        ; implicit-def: $vgpr36
	s_mov_b32 s14, exec_lo
	s_delay_alu instid0(VALU_DEP_1) | instskip(SKIP_1) | instid1(VALU_DEP_2)
	v_and_b32_e32 v2, 0x7f800000, v0
	v_lshrrev_b32_e32 v24, 24, v0
	v_cmpx_ne_u64_e32 0x7f800000, v[2:3]
	s_xor_b32 s15, exec_lo, s14
	s_cbranch_execz .LBB6_6330
; %bb.6317:                             ;   in Loop: Header=BB6_6234 Depth=3
	v_and_b32_e32 v2, 0x7fffffff, v0
	v_and_b32_e32 v32, 0x80, v24
                                        ; implicit-def: $vgpr36
	s_mov_b32 s14, exec_lo
	s_delay_alu instid0(VALU_DEP_2)
	v_cmpx_gt_u64_e32 0x43e00001, v[2:3]
	s_xor_b32 s44, exec_lo, s14
	s_cbranch_execz .LBB6_6327
; %bb.6318:                             ;   in Loop: Header=BB6_6234 Depth=3
	v_mov_b32_e32 v36, 0
	s_mov_b32 s45, exec_lo
	v_cmpx_ne_u32_e32 0, v0
	s_cbranch_execz .LBB6_6326
; %bb.6319:                             ;   in Loop: Header=BB6_6234 Depth=3
	v_bfe_u32 v33, v0, 23, 8
	v_and_b32_e32 v0, 0x7fffff, v0
	s_delay_alu instid0(VALU_DEP_2) | instskip(SKIP_1) | instid1(VALU_DEP_3)
	v_sub_nc_u32_e32 v2, 0x79, v33
	v_cmp_gt_u32_e32 vcc_lo, 0x7a, v33
	v_or_b32_e32 v26, 0x800000, v0
	s_delay_alu instid0(VALU_DEP_3) | instskip(SKIP_1) | instid1(VALU_DEP_2)
	v_cndmask_b32_e32 v2, 0, v2, vcc_lo
	v_cmp_eq_u32_e32 vcc_lo, 0, v33
	v_cndmask_b32_e64 v36, v2, 0x78, vcc_lo
	s_delay_alu instid0(VALU_DEP_1) | instskip(NEXT) | instid1(VALU_DEP_1)
	v_dual_add_nc_u32 v2, 20, v36 :: v_dual_add_nc_u32 v27, 19, v36
	v_lshlrev_b64_e64 v[24:25], v2, -1
	v_cndmask_b32_e32 v2, v26, v0, vcc_lo
	s_delay_alu instid0(VALU_DEP_3) | instskip(NEXT) | instid1(VALU_DEP_3)
	v_lshlrev_b64_e64 v[26:27], v27, 1
	v_bfi_b32 v39, v25, 0, 0
	s_delay_alu instid0(VALU_DEP_3) | instskip(SKIP_1) | instid1(VALU_DEP_2)
	v_bfi_b32 v38, v24, 0, v2
	v_lshrrev_b64 v[24:25], v36, v[2:3]
	v_cmp_eq_u64_e64 s14, v[38:39], v[26:27]
	s_delay_alu instid0(VALU_DEP_2)
	v_mov_b64_e32 v[26:27], v[24:25]
	s_and_saveexec_b32 s77, s14
; %bb.6320:                             ;   in Loop: Header=BB6_6234 Depth=3
	v_bfe_u32 v2, v24, 20, 1
	s_delay_alu instid0(VALU_DEP_1) | instskip(NEXT) | instid1(VALU_DEP_1)
	v_add_nc_u64_e32 v[26:27], v[24:25], v[2:3]
	v_add_nc_u64_e32 v[26:27], -1, v[26:27]
; %bb.6321:                             ;   in Loop: Header=BB6_6234 Depth=3
	s_or_b32 exec_lo, exec_lo, s77
	v_add_nc_u32_e32 v0, 0xffffff81, v33
	v_lshrrev_b32_e32 v2, 23, v24
	s_mov_b32 s14, exec_lo
	s_delay_alu instid0(VALU_DEP_2) | instskip(NEXT) | instid1(VALU_DEP_1)
	v_cndmask_b32_e64 v0, v0, 0xffffff82, vcc_lo
	v_add3_u32 v27, v36, v0, v2
	v_and_b32_e32 v0, 0xfffff, v26
	s_delay_alu instid0(VALU_DEP_1) | instskip(NEXT) | instid1(VALU_DEP_1)
	v_dual_add_nc_u32 v26, 6, v27 :: v_dual_add_nc_u32 v2, v0, v24
                                        ; implicit-def: $vgpr24_vgpr25
                                        ; implicit-def: $vgpr0
	v_cmpx_ne_u32_e32 0, v26
	s_xor_b32 s14, exec_lo, s14
; %bb.6322:                             ;   in Loop: Header=BB6_6234 Depth=3
	s_delay_alu instid0(VALU_DEP_2) | instskip(SKIP_2) | instid1(VALU_DEP_2)
	v_cmp_lt_u64_e32 vcc_lo, 0xffffff, v[2:3]
	v_add_nc_u32_e32 v0, 7, v27
	v_cndmask_b32_e64 v24, 0, 1, vcc_lo
	v_cndmask_b32_e32 v0, v26, v0, vcc_lo
	s_delay_alu instid0(VALU_DEP_2)
	v_lshrrev_b64 v[24:25], v24, v[2:3]
; %bb.6323:                             ;   in Loop: Header=BB6_6234 Depth=3
	s_and_not1_saveexec_b32 s14, s14
; %bb.6324:                             ;   in Loop: Header=BB6_6234 Depth=3
	v_mov_b64_e32 v[24:25], v[2:3]
	v_bfe_u32 v0, v2, 23, 1
; %bb.6325:                             ;   in Loop: Header=BB6_6234 Depth=3
	s_or_b32 exec_lo, exec_lo, s14
	s_delay_alu instid0(VALU_DEP_2) | instskip(NEXT) | instid1(VALU_DEP_2)
	v_lshrrev_b64 v[24:25], 20, v[24:25]
	v_cmp_gt_i32_e32 vcc_lo, 16, v0
	v_min_i32_e32 v2, 15, v0
	v_cmp_eq_u32_e64 s14, 0, v0
	s_delay_alu instid0(VALU_DEP_2) | instskip(SKIP_1) | instid1(VALU_DEP_2)
	v_dual_cndmask_b32 v25, 0, v25 :: v_dual_lshlrev_b32 v2, 3, v2
	v_cndmask_b32_e32 v24, 7, v24, vcc_lo
	v_and_b32_e32 v2, 0xf8, v2
	s_delay_alu instid0(VALU_DEP_2) | instskip(NEXT) | instid1(VALU_DEP_2)
	v_cmp_eq_u64_e32 vcc_lo, 0, v[24:25]
	v_and_or_b32 v0, v24, 7, v2
	s_and_b32 s14, s14, vcc_lo
	s_delay_alu instid0(VALU_DEP_1) | instid1(SALU_CYCLE_1)
	v_cndmask_b32_e64 v0, v0, 0, s14
	s_delay_alu instid0(VALU_DEP_1)
	v_or_b32_e32 v36, v0, v32
.LBB6_6326:                             ;   in Loop: Header=BB6_6234 Depth=3
	s_or_b32 exec_lo, exec_lo, s45
                                        ; implicit-def: $vgpr32
.LBB6_6327:                             ;   in Loop: Header=BB6_6234 Depth=3
	s_and_not1_saveexec_b32 s14, s44
; %bb.6328:                             ;   in Loop: Header=BB6_6234 Depth=3
	v_or_b32_e32 v36, 0x7e, v32
; %bb.6329:                             ;   in Loop: Header=BB6_6234 Depth=3
	s_or_b32 exec_lo, exec_lo, s14
                                        ; implicit-def: $vgpr24
.LBB6_6330:                             ;   in Loop: Header=BB6_6234 Depth=3
	s_and_not1_saveexec_b32 s14, s15
; %bb.6331:                             ;   in Loop: Header=BB6_6234 Depth=3
	v_or_b32_e32 v36, 0x7f, v24
; %bb.6332:                             ;   in Loop: Header=BB6_6234 Depth=3
	s_or_b32 exec_lo, exec_lo, s14
	v_mov_b32_e32 v0, 0
	s_mov_b32 s14, exec_lo
	v_cmpx_lt_u32_e32 0xffffff, v12
	s_cbranch_execz .LBB6_6340
; %bb.6333:                             ;   in Loop: Header=BB6_6234 Depth=3
	v_lshrrev_b32_e32 v26, 24, v12
	v_bfrev_b32_e32 v0, 1
	s_mov_b32 s15, exec_lo
	s_delay_alu instid0(VALU_DEP_2)
	v_cmpx_ne_u32_e32 0x80, v26
	s_cbranch_execz .LBB6_6339
; %bb.6334:                             ;   in Loop: Header=BB6_6234 Depth=3
	v_bfe_u32 v24, v12, 24, 7
	v_mov_b32_e32 v0, 0x7f800001
	s_mov_b32 s44, exec_lo
	s_delay_alu instid0(VALU_DEP_2)
	v_cmpx_ne_u32_e32 0x7f, v24
	s_cbranch_execz .LBB6_6338
; %bb.6335:                             ;   in Loop: Header=BB6_6234 Depth=3
	v_dual_lshrrev_b32 v0, 3, v24 :: v_dual_bitop2_b32 v2, 7, v26 bitop3:0x40
	v_cmp_gt_u32_e32 vcc_lo, 8, v24
	s_delay_alu instid0(VALU_DEP_2)
	v_mov_b64_e32 v[24:25], v[2:3]
	s_and_saveexec_b32 s45, vcc_lo
; %bb.6336:                             ;   in Loop: Header=BB6_6234 Depth=3
	v_clz_i32_u32_e32 v0, v2
	s_delay_alu instid0(VALU_DEP_1) | instskip(NEXT) | instid1(VALU_DEP_1)
	v_min_u32_e32 v0, 32, v0
	v_subrev_nc_u32_e32 v24, 28, v0
	v_sub_nc_u32_e32 v0, 29, v0
	s_delay_alu instid0(VALU_DEP_2) | instskip(NEXT) | instid1(VALU_DEP_1)
	v_lshlrev_b64_e32 v[24:25], v24, v[2:3]
	v_and_b32_e32 v24, 7, v24
; %bb.6337:                             ;   in Loop: Header=BB6_6234 Depth=3
	s_or_b32 exec_lo, exec_lo, s45
	s_delay_alu instid0(VALU_DEP_1) | instskip(SKIP_1) | instid1(VALU_DEP_2)
	v_dual_lshlrev_b32 v2, 24, v26 :: v_dual_lshlrev_b32 v24, 20, v24
	v_lshl_add_u32 v0, v0, 23, 0x3c000000
	v_and_b32_e32 v2, 0x80000000, v2
	s_delay_alu instid0(VALU_DEP_1)
	v_or3_b32 v0, v24, v2, v0
.LBB6_6338:                             ;   in Loop: Header=BB6_6234 Depth=3
	s_or_b32 exec_lo, exec_lo, s44
.LBB6_6339:                             ;   in Loop: Header=BB6_6234 Depth=3
	s_delay_alu instid0(SALU_CYCLE_1)
	s_or_b32 exec_lo, exec_lo, s15
.LBB6_6340:                             ;   in Loop: Header=BB6_6234 Depth=3
	s_delay_alu instid0(SALU_CYCLE_1) | instskip(SKIP_3) | instid1(VALU_DEP_3)
	s_or_b32 exec_lo, exec_lo, s14
	v_lshrrev_b32_e32 v2, 24, v8
	v_bfe_u32 v24, v8, 24, 7
	v_cmp_gt_u32_e64 s15, 0x1000000, v8
	v_cmp_eq_u32_e32 vcc_lo, 0x80, v2
	s_delay_alu instid0(VALU_DEP_3) | instskip(SKIP_2) | instid1(VALU_DEP_1)
	v_cmp_eq_u32_e64 s14, 0x7f, v24
	v_cndmask_b32_e32 v25, 0x7f800001, v125, vcc_lo
	s_or_b32 s14, vcc_lo, s14
	v_cndmask_b32_e64 v25, v25, 0, s15
	s_nor_b32 s15, s15, s14
	s_delay_alu instid0(SALU_CYCLE_1)
	s_and_saveexec_b32 s14, s15
	s_cbranch_execz .LBB6_6342
; %bb.6341:                             ;   in Loop: Header=BB6_6234 Depth=3
	v_and_b32_e32 v25, 7, v2
	v_cmp_gt_u32_e32 vcc_lo, 8, v24
	s_delay_alu instid0(VALU_DEP_2) | instskip(NEXT) | instid1(VALU_DEP_1)
	v_clz_i32_u32_e32 v26, v25
	v_min_u32_e32 v32, 32, v26
	s_delay_alu instid0(VALU_DEP_1) | instskip(NEXT) | instid1(VALU_DEP_1)
	v_subrev_nc_u32_e32 v26, 28, v32
	v_lshlrev_b64_e32 v[26:27], v26, v[2:3]
	v_lshrrev_b32_e32 v27, 3, v24
	v_dual_sub_nc_u32 v32, 29, v32 :: v_dual_lshlrev_b32 v2, 24, v2
	s_delay_alu instid0(VALU_DEP_1) | instskip(NEXT) | instid1(VALU_DEP_2)
	v_dual_cndmask_b32 v26, v27, v32, vcc_lo :: v_dual_bitop2_b32 v24, 7, v26 bitop3:0x40
	v_and_b32_e32 v2, 0x80000000, v2
	s_delay_alu instid0(VALU_DEP_2) | instskip(NEXT) | instid1(VALU_DEP_3)
	v_cndmask_b32_e32 v24, v25, v24, vcc_lo
	v_lshl_add_u32 v25, v26, 23, 0x3c000000
	s_delay_alu instid0(VALU_DEP_2) | instskip(NEXT) | instid1(VALU_DEP_1)
	v_lshlrev_b32_e32 v24, 20, v24
	v_or3_b32 v25, v24, v2, v25
.LBB6_6342:                             ;   in Loop: Header=BB6_6234 Depth=3
	s_or_b32 exec_lo, exec_lo, s14
	s_delay_alu instid0(VALU_DEP_1) | instskip(SKIP_1) | instid1(VALU_DEP_1)
	v_add_f32_e32 v0, v0, v25
                                        ; implicit-def: $vgpr37
	s_mov_b32 s14, exec_lo
	v_and_b32_e32 v2, 0x7f800000, v0
	v_lshrrev_b32_e32 v24, 24, v0
	s_delay_alu instid0(VALU_DEP_2)
	v_cmpx_ne_u64_e32 0x7f800000, v[2:3]
	s_xor_b32 s15, exec_lo, s14
	s_cbranch_execz .LBB6_6356
; %bb.6343:                             ;   in Loop: Header=BB6_6234 Depth=3
	v_and_b32_e32 v2, 0x7fffffff, v0
	v_and_b32_e32 v32, 0x80, v24
                                        ; implicit-def: $vgpr37
	s_mov_b32 s14, exec_lo
	s_delay_alu instid0(VALU_DEP_2)
	v_cmpx_gt_u64_e32 0x43e00001, v[2:3]
	s_xor_b32 s44, exec_lo, s14
	s_cbranch_execz .LBB6_6353
; %bb.6344:                             ;   in Loop: Header=BB6_6234 Depth=3
	v_mov_b32_e32 v37, 0
	s_mov_b32 s45, exec_lo
	v_cmpx_ne_u32_e32 0, v0
	s_cbranch_execz .LBB6_6352
; %bb.6345:                             ;   in Loop: Header=BB6_6234 Depth=3
	v_bfe_u32 v33, v0, 23, 8
	v_and_b32_e32 v0, 0x7fffff, v0
	s_delay_alu instid0(VALU_DEP_2) | instskip(SKIP_1) | instid1(VALU_DEP_3)
	v_sub_nc_u32_e32 v2, 0x79, v33
	v_cmp_gt_u32_e32 vcc_lo, 0x7a, v33
	v_or_b32_e32 v26, 0x800000, v0
	s_delay_alu instid0(VALU_DEP_3) | instskip(SKIP_1) | instid1(VALU_DEP_2)
	v_cndmask_b32_e32 v2, 0, v2, vcc_lo
	v_cmp_eq_u32_e32 vcc_lo, 0, v33
	v_cndmask_b32_e64 v37, v2, 0x78, vcc_lo
	s_delay_alu instid0(VALU_DEP_1) | instskip(NEXT) | instid1(VALU_DEP_1)
	v_dual_add_nc_u32 v2, 20, v37 :: v_dual_add_nc_u32 v27, 19, v37
	v_lshlrev_b64_e64 v[24:25], v2, -1
	v_cndmask_b32_e32 v2, v26, v0, vcc_lo
	s_delay_alu instid0(VALU_DEP_3) | instskip(NEXT) | instid1(VALU_DEP_3)
	v_lshlrev_b64_e64 v[26:27], v27, 1
	v_bfi_b32 v39, v25, 0, 0
	s_delay_alu instid0(VALU_DEP_3) | instskip(SKIP_1) | instid1(VALU_DEP_2)
	v_bfi_b32 v38, v24, 0, v2
	v_lshrrev_b64 v[24:25], v37, v[2:3]
	v_cmp_eq_u64_e64 s14, v[38:39], v[26:27]
	s_delay_alu instid0(VALU_DEP_2)
	v_mov_b64_e32 v[26:27], v[24:25]
	s_and_saveexec_b32 s77, s14
; %bb.6346:                             ;   in Loop: Header=BB6_6234 Depth=3
	v_bfe_u32 v2, v24, 20, 1
	s_delay_alu instid0(VALU_DEP_1) | instskip(NEXT) | instid1(VALU_DEP_1)
	v_add_nc_u64_e32 v[26:27], v[24:25], v[2:3]
	v_add_nc_u64_e32 v[26:27], -1, v[26:27]
; %bb.6347:                             ;   in Loop: Header=BB6_6234 Depth=3
	s_or_b32 exec_lo, exec_lo, s77
	v_add_nc_u32_e32 v0, 0xffffff81, v33
	v_lshrrev_b32_e32 v2, 23, v24
	s_mov_b32 s14, exec_lo
	s_delay_alu instid0(VALU_DEP_2) | instskip(NEXT) | instid1(VALU_DEP_1)
	v_cndmask_b32_e64 v0, v0, 0xffffff82, vcc_lo
	v_add3_u32 v27, v37, v0, v2
	v_and_b32_e32 v0, 0xfffff, v26
	s_delay_alu instid0(VALU_DEP_1) | instskip(NEXT) | instid1(VALU_DEP_1)
	v_dual_add_nc_u32 v26, 6, v27 :: v_dual_add_nc_u32 v2, v0, v24
                                        ; implicit-def: $vgpr24_vgpr25
                                        ; implicit-def: $vgpr0
	v_cmpx_ne_u32_e32 0, v26
	s_xor_b32 s14, exec_lo, s14
; %bb.6348:                             ;   in Loop: Header=BB6_6234 Depth=3
	s_delay_alu instid0(VALU_DEP_2) | instskip(SKIP_2) | instid1(VALU_DEP_2)
	v_cmp_lt_u64_e32 vcc_lo, 0xffffff, v[2:3]
	v_add_nc_u32_e32 v0, 7, v27
	v_cndmask_b32_e64 v24, 0, 1, vcc_lo
	v_cndmask_b32_e32 v0, v26, v0, vcc_lo
	s_delay_alu instid0(VALU_DEP_2)
	v_lshrrev_b64 v[24:25], v24, v[2:3]
; %bb.6349:                             ;   in Loop: Header=BB6_6234 Depth=3
	s_and_not1_saveexec_b32 s14, s14
; %bb.6350:                             ;   in Loop: Header=BB6_6234 Depth=3
	v_mov_b64_e32 v[24:25], v[2:3]
	v_bfe_u32 v0, v2, 23, 1
; %bb.6351:                             ;   in Loop: Header=BB6_6234 Depth=3
	s_or_b32 exec_lo, exec_lo, s14
	s_delay_alu instid0(VALU_DEP_2) | instskip(NEXT) | instid1(VALU_DEP_2)
	v_lshrrev_b64 v[24:25], 20, v[24:25]
	v_cmp_gt_i32_e32 vcc_lo, 16, v0
	v_min_i32_e32 v2, 15, v0
	v_cmp_eq_u32_e64 s14, 0, v0
	s_delay_alu instid0(VALU_DEP_2) | instskip(SKIP_1) | instid1(VALU_DEP_2)
	v_dual_cndmask_b32 v25, 0, v25 :: v_dual_lshlrev_b32 v2, 3, v2
	v_cndmask_b32_e32 v24, 7, v24, vcc_lo
	v_and_b32_e32 v2, 0xf8, v2
	s_delay_alu instid0(VALU_DEP_2) | instskip(NEXT) | instid1(VALU_DEP_2)
	v_cmp_eq_u64_e32 vcc_lo, 0, v[24:25]
	v_and_or_b32 v0, v24, 7, v2
	s_and_b32 s14, s14, vcc_lo
	s_delay_alu instid0(VALU_DEP_1) | instid1(SALU_CYCLE_1)
	v_cndmask_b32_e64 v0, v0, 0, s14
	s_delay_alu instid0(VALU_DEP_1)
	v_or_b32_e32 v37, v0, v32
.LBB6_6352:                             ;   in Loop: Header=BB6_6234 Depth=3
	s_or_b32 exec_lo, exec_lo, s45
                                        ; implicit-def: $vgpr32
.LBB6_6353:                             ;   in Loop: Header=BB6_6234 Depth=3
	s_and_not1_saveexec_b32 s14, s44
; %bb.6354:                             ;   in Loop: Header=BB6_6234 Depth=3
	v_or_b32_e32 v37, 0x7e, v32
; %bb.6355:                             ;   in Loop: Header=BB6_6234 Depth=3
	s_or_b32 exec_lo, exec_lo, s14
                                        ; implicit-def: $vgpr24
.LBB6_6356:                             ;   in Loop: Header=BB6_6234 Depth=3
	s_and_not1_saveexec_b32 s14, s15
; %bb.6357:                             ;   in Loop: Header=BB6_6234 Depth=3
	v_or_b32_e32 v37, 0x7f, v24
; %bb.6358:                             ;   in Loop: Header=BB6_6234 Depth=3
	s_or_b32 exec_lo, exec_lo, s14
	v_and_b32_e32 v0, 0xff, v13
	v_dual_mov_b32 v2, v13 :: v_dual_mov_b32 v26, 0
	s_mov_b32 s14, exec_lo
	s_delay_alu instid0(VALU_DEP_2)
	v_cmpx_ne_u16_e32 0, v0
	s_cbranch_execz .LBB6_6364
; %bb.6359:                             ;   in Loop: Header=BB6_6234 Depth=3
	v_bfrev_b32_e32 v26, 1
	s_mov_b32 s15, exec_lo
	v_cmpx_ne_u16_e32 0x80, v0
	s_cbranch_execz .LBB6_6363
; %bb.6360:                             ;   in Loop: Header=BB6_6234 Depth=3
	v_and_b32_e32 v0, 0x7f, v13
	v_mov_b32_e32 v26, 0x7f800001
	s_mov_b32 s44, exec_lo
	s_delay_alu instid0(VALU_DEP_2)
	v_cmpx_ne_u32_e32 0x7f, v0
	s_cbranch_execz .LBB6_6362
; %bb.6361:                             ;   in Loop: Header=BB6_6234 Depth=3
	v_dual_lshrrev_b32 v25, 3, v0 :: v_dual_bitop2_b32 v24, 7, v13 bitop3:0x40
	v_cmp_gt_u32_e32 vcc_lo, 8, v0
	s_delay_alu instid0(VALU_DEP_2) | instskip(NEXT) | instid1(VALU_DEP_1)
	v_clz_i32_u32_e32 v24, v24
	v_min_u32_e32 v24, 32, v24
	s_delay_alu instid0(VALU_DEP_1) | instskip(SKIP_1) | instid1(VALU_DEP_1)
	v_subrev_nc_u32_e32 v26, 28, v24
	v_sub_nc_u32_e32 v24, 29, v24
	v_dual_cndmask_b32 v0, v25, v24, vcc_lo :: v_dual_cndmask_b32 v24, 0, v26, vcc_lo
	s_delay_alu instid0(VALU_DEP_1) | instskip(NEXT) | instid1(VALU_DEP_2)
	v_lshl_add_u32 v0, v0, 23, 0x3c000000
	v_lshlrev_b64_e32 v[24:25], v24, v[2:3]
	v_lshlrev_b32_e32 v25, 24, v2
	s_delay_alu instid0(VALU_DEP_1) | instskip(NEXT) | instid1(VALU_DEP_3)
	v_and_b32_e32 v25, 0x80000000, v25
	v_lshlrev_b32_e32 v24, 20, v24
	s_delay_alu instid0(VALU_DEP_1) | instskip(NEXT) | instid1(VALU_DEP_1)
	v_and_b32_e32 v24, 0x700000, v24
	v_or3_b32 v26, v24, v25, v0
.LBB6_6362:                             ;   in Loop: Header=BB6_6234 Depth=3
	s_or_b32 exec_lo, exec_lo, s44
.LBB6_6363:                             ;   in Loop: Header=BB6_6234 Depth=3
	s_delay_alu instid0(SALU_CYCLE_1)
	s_or_b32 exec_lo, exec_lo, s15
.LBB6_6364:                             ;   in Loop: Header=BB6_6234 Depth=3
	s_delay_alu instid0(SALU_CYCLE_1) | instskip(SKIP_4) | instid1(VALU_DEP_2)
	s_or_b32 exec_lo, exec_lo, s14
	v_and_b32_e32 v25, 0xff, v9
	v_mov_b32_e32 v24, v9
	s_mov_b32 s14, 0
	s_mov_b32 s15, exec_lo
	v_cmpx_lt_i16_e32 0x7f, v25
	s_xor_b32 s15, exec_lo, s15
	s_cbranch_execz .LBB6_6399
; %bb.6365:                             ;   in Loop: Header=BB6_6234 Depth=3
	s_mov_b32 s14, -1
	s_mov_b32 s44, exec_lo
	v_cmpx_eq_u16_e32 0x80, v25
; %bb.6366:                             ;   in Loop: Header=BB6_6234 Depth=3
	s_xor_b32 s14, exec_lo, -1
; %bb.6367:                             ;   in Loop: Header=BB6_6234 Depth=3
	s_or_b32 exec_lo, exec_lo, s44
	s_delay_alu instid0(SALU_CYCLE_1)
	s_and_b32 s14, s14, exec_lo
                                        ; implicit-def: $vgpr25
	s_or_saveexec_b32 s15, s15
	v_bfrev_b32_e32 v0, 1
	s_xor_b32 exec_lo, exec_lo, s15
	s_cbranch_execnz .LBB6_6400
.LBB6_6368:                             ;   in Loop: Header=BB6_6234 Depth=3
	s_or_b32 exec_lo, exec_lo, s15
	v_mov_b32_e32 v25, v3
	s_and_saveexec_b32 s15, s14
	s_cbranch_execz .LBB6_6370
.LBB6_6369:                             ;   in Loop: Header=BB6_6234 Depth=3
	v_and_b32_e32 v0, 7, v9
	v_and_b32_e32 v27, 0x7f, v9
	v_bfe_u32 v32, v9, 3, 4
	s_delay_alu instid0(VALU_DEP_3) | instskip(NEXT) | instid1(VALU_DEP_3)
	v_clz_i32_u32_e32 v0, v0
	v_cmp_gt_u32_e32 vcc_lo, 8, v27
	s_delay_alu instid0(VALU_DEP_2) | instskip(NEXT) | instid1(VALU_DEP_1)
	v_min_u32_e32 v0, 32, v0
	v_subrev_nc_u32_e32 v33, 28, v0
	v_sub_nc_u32_e32 v0, 29, v0
	s_delay_alu instid0(VALU_DEP_1) | instskip(SKIP_1) | instid1(VALU_DEP_2)
	v_dual_cndmask_b32 v0, v32, v0, vcc_lo :: v_dual_cndmask_b32 v32, 0, v33, vcc_lo
	v_cmp_ne_u32_e32 vcc_lo, 0x7f, v27
	v_lshl_add_u32 v0, v0, 23, 0x3c000000
	s_delay_alu instid0(VALU_DEP_3) | instskip(SKIP_1) | instid1(VALU_DEP_1)
	v_lshlrev_b64_e32 v[32:33], v32, v[24:25]
	v_lshlrev_b32_e32 v25, 24, v24
	v_and_b32_e32 v25, 0x80000000, v25
	s_delay_alu instid0(VALU_DEP_3) | instskip(NEXT) | instid1(VALU_DEP_1)
	v_lshlrev_b32_e32 v32, 20, v32
	v_and_b32_e32 v32, 0x700000, v32
	s_delay_alu instid0(VALU_DEP_1) | instskip(NEXT) | instid1(VALU_DEP_1)
	v_or3_b32 v0, v32, v25, v0
	v_cndmask_b32_e32 v0, 0x7f800001, v0, vcc_lo
.LBB6_6370:                             ;   in Loop: Header=BB6_6234 Depth=3
	s_or_b32 exec_lo, exec_lo, s15
	s_delay_alu instid0(VALU_DEP_1) | instskip(SKIP_1) | instid1(VALU_DEP_1)
	v_dual_add_f32 v0, v26, v0 :: v_dual_mov_b32 v27, v3
                                        ; implicit-def: $vgpr32
	s_mov_b32 s14, exec_lo
	v_and_b32_e32 v26, 0x7f800000, v0
	v_lshrrev_b32_e32 v25, 24, v0
	s_delay_alu instid0(VALU_DEP_2)
	v_cmpx_ne_u64_e32 0x7f800000, v[26:27]
	s_xor_b32 s15, exec_lo, s14
	s_cbranch_execz .LBB6_6384
; %bb.6371:                             ;   in Loop: Header=BB6_6234 Depth=3
	v_and_b32_e32 v26, 0x7fffffff, v0
	v_mov_b32_e32 v27, v3
	v_and_b32_e32 v25, 0x80, v25
                                        ; implicit-def: $vgpr32
	s_mov_b32 s14, exec_lo
	s_delay_alu instid0(VALU_DEP_2)
	v_cmpx_gt_u64_e32 0x43e00001, v[26:27]
	s_xor_b32 s44, exec_lo, s14
	s_cbranch_execz .LBB6_6381
; %bb.6372:                             ;   in Loop: Header=BB6_6234 Depth=3
	v_mov_b32_e32 v32, 0
	s_mov_b32 s45, exec_lo
	v_cmpx_ne_u32_e32 0, v0
	s_cbranch_execz .LBB6_6380
; %bb.6373:                             ;   in Loop: Header=BB6_6234 Depth=3
	v_bfe_u32 v38, v0, 23, 8
	v_and_b32_e32 v0, 0x7fffff, v0
	s_mov_b32 s77, exec_lo
	s_delay_alu instid0(VALU_DEP_2) | instskip(SKIP_1) | instid1(VALU_DEP_3)
	v_dual_mov_b32 v33, v3 :: v_dual_sub_nc_u32 v26, 0x79, v38
	v_cmp_gt_u32_e32 vcc_lo, 0x7a, v38
	v_or_b32_e32 v32, 0x800000, v0
	s_delay_alu instid0(VALU_DEP_3) | instskip(SKIP_1) | instid1(VALU_DEP_2)
	v_cndmask_b32_e32 v26, 0, v26, vcc_lo
	v_cmp_eq_u32_e32 vcc_lo, 0, v38
	v_cndmask_b32_e64 v39, v26, 0x78, vcc_lo
	s_delay_alu instid0(VALU_DEP_1) | instskip(SKIP_1) | instid1(VALU_DEP_2)
	v_dual_cndmask_b32 v32, v32, v0, vcc_lo :: v_dual_add_nc_u32 v26, 20, v39
	v_add_nc_u32_e32 v48, 19, v39
	v_lshlrev_b64_e64 v[26:27], v26, -1
	s_delay_alu instid0(VALU_DEP_2) | instskip(NEXT) | instid1(VALU_DEP_2)
	v_lshlrev_b64_e64 v[48:49], v48, 1
	v_bfi_b32 v51, v27, 0, 0
	s_delay_alu instid0(VALU_DEP_3) | instskip(SKIP_1) | instid1(VALU_DEP_1)
	v_bfi_b32 v50, v26, 0, v32
	v_lshrrev_b64 v[26:27], v39, v[32:33]
	v_mov_b64_e32 v[32:33], v[26:27]
	s_delay_alu instid0(VALU_DEP_3)
	v_cmpx_eq_u64_e64 v[50:51], v[48:49]
; %bb.6374:                             ;   in Loop: Header=BB6_6234 Depth=3
	v_bfe_u32 v32, v26, 20, 1
	v_mov_b32_e32 v33, v3
	s_delay_alu instid0(VALU_DEP_1) | instskip(NEXT) | instid1(VALU_DEP_1)
	v_add_nc_u64_e32 v[32:33], v[26:27], v[32:33]
	v_add_nc_u64_e32 v[32:33], -1, v[32:33]
; %bb.6375:                             ;   in Loop: Header=BB6_6234 Depth=3
	s_or_b32 exec_lo, exec_lo, s77
	v_add_nc_u32_e32 v0, 0xffffff81, v38
	v_lshrrev_b32_e32 v27, 23, v26
	s_mov_b32 s14, exec_lo
	s_delay_alu instid0(VALU_DEP_2) | instskip(NEXT) | instid1(VALU_DEP_1)
	v_cndmask_b32_e64 v0, v0, 0xffffff82, vcc_lo
	v_add3_u32 v33, v39, v0, v27
	v_and_b32_e32 v0, 0xfffff, v32
	s_delay_alu instid0(VALU_DEP_2) | instskip(NEXT) | instid1(VALU_DEP_2)
	v_dual_mov_b32 v27, v3 :: v_dual_add_nc_u32 v32, 6, v33
	v_add_nc_u32_e32 v26, v0, v26
                                        ; implicit-def: $vgpr0
	s_delay_alu instid0(VALU_DEP_2)
	v_cmpx_ne_u32_e32 0, v32
	s_xor_b32 s14, exec_lo, s14
; %bb.6376:                             ;   in Loop: Header=BB6_6234 Depth=3
	s_delay_alu instid0(VALU_DEP_2) | instskip(SKIP_1) | instid1(VALU_DEP_1)
	v_cmp_lt_u64_e32 vcc_lo, 0xffffff, v[26:27]
	v_add_nc_u32_e32 v0, 7, v33
	v_cndmask_b32_e32 v0, v32, v0, vcc_lo
	v_cndmask_b32_e64 v32, 0, 1, vcc_lo
	s_delay_alu instid0(VALU_DEP_1)
	v_lshrrev_b64 v[26:27], v32, v[26:27]
; %bb.6377:                             ;   in Loop: Header=BB6_6234 Depth=3
	s_and_not1_saveexec_b32 s14, s14
; %bb.6378:                             ;   in Loop: Header=BB6_6234 Depth=3
	s_delay_alu instid0(VALU_DEP_1)
	v_bfe_u32 v0, v26, 23, 1
; %bb.6379:                             ;   in Loop: Header=BB6_6234 Depth=3
	s_or_b32 exec_lo, exec_lo, s14
	s_delay_alu instid0(VALU_DEP_2) | instskip(NEXT) | instid1(VALU_DEP_2)
	v_lshrrev_b64 v[26:27], 20, v[26:27]
	v_cmp_gt_i32_e32 vcc_lo, 16, v0
	v_min_i32_e32 v32, 15, v0
	v_cmp_eq_u32_e64 s14, 0, v0
	s_delay_alu instid0(VALU_DEP_2) | instskip(SKIP_1) | instid1(VALU_DEP_2)
	v_dual_cndmask_b32 v27, 0, v27 :: v_dual_lshlrev_b32 v32, 3, v32
	v_cndmask_b32_e32 v26, 7, v26, vcc_lo
	v_and_b32_e32 v32, 0xf8, v32
	s_delay_alu instid0(VALU_DEP_2) | instskip(NEXT) | instid1(VALU_DEP_2)
	v_cmp_eq_u64_e32 vcc_lo, 0, v[26:27]
	v_and_or_b32 v0, v26, 7, v32
	s_and_b32 s14, s14, vcc_lo
	s_delay_alu instid0(VALU_DEP_1) | instid1(SALU_CYCLE_1)
	v_cndmask_b32_e64 v0, v0, 0, s14
	s_delay_alu instid0(VALU_DEP_1)
	v_or_b32_e32 v32, v0, v25
.LBB6_6380:                             ;   in Loop: Header=BB6_6234 Depth=3
	s_or_b32 exec_lo, exec_lo, s45
                                        ; implicit-def: $vgpr25
.LBB6_6381:                             ;   in Loop: Header=BB6_6234 Depth=3
	s_and_not1_saveexec_b32 s14, s44
; %bb.6382:                             ;   in Loop: Header=BB6_6234 Depth=3
	v_or_b32_e32 v32, 0x7e, v25
; %bb.6383:                             ;   in Loop: Header=BB6_6234 Depth=3
	s_or_b32 exec_lo, exec_lo, s14
                                        ; implicit-def: $vgpr25
.LBB6_6384:                             ;   in Loop: Header=BB6_6234 Depth=3
	s_and_not1_saveexec_b32 s14, s15
; %bb.6385:                             ;   in Loop: Header=BB6_6234 Depth=3
	v_or_b32_e32 v32, 0x7f, v25
; %bb.6386:                             ;   in Loop: Header=BB6_6234 Depth=3
	s_or_b32 exec_lo, exec_lo, s14
	v_lshrrev_b16 v0, 8, v2
	v_mov_b32_e32 v25, 0
	s_mov_b32 s14, exec_lo
	s_delay_alu instid0(VALU_DEP_2)
	v_cmpx_ne_u16_e32 0, v0
	s_cbranch_execz .LBB6_6394
; %bb.6387:                             ;   in Loop: Header=BB6_6234 Depth=3
	v_bfrev_b32_e32 v25, 1
	s_mov_b32 s15, exec_lo
	v_cmpx_ne_u16_e32 0x80, v0
	s_cbranch_execz .LBB6_6393
; %bb.6388:                             ;   in Loop: Header=BB6_6234 Depth=3
	v_and_b32_e32 v0, 0xffff, v0
	v_mov_b32_e32 v25, 0x7f800001
	s_mov_b32 s44, exec_lo
	s_delay_alu instid0(VALU_DEP_2) | instskip(NEXT) | instid1(VALU_DEP_1)
	v_and_b32_e32 v33, 0x7f, v0
	v_cmpx_ne_u32_e32 0x7f, v33
	s_cbranch_execz .LBB6_6392
; %bb.6389:                             ;   in Loop: Header=BB6_6234 Depth=3
	v_dual_mov_b32 v27, v3 :: v_dual_bitop2_b32 v26, 7, v0 bitop3:0x40
	v_lshrrev_b32_e32 v0, 3, v33
	s_mov_b32 s45, exec_lo
	v_cmpx_gt_u32_e32 8, v33
; %bb.6390:                             ;   in Loop: Header=BB6_6234 Depth=3
	s_delay_alu instid0(VALU_DEP_3) | instskip(NEXT) | instid1(VALU_DEP_1)
	v_clz_i32_u32_e32 v0, v26
	v_min_u32_e32 v0, 32, v0
	s_delay_alu instid0(VALU_DEP_1) | instskip(NEXT) | instid1(VALU_DEP_1)
	v_subrev_nc_u32_e32 v25, 28, v0
	v_lshlrev_b64_e32 v[26:27], v25, v[26:27]
	s_delay_alu instid0(VALU_DEP_1)
	v_dual_sub_nc_u32 v0, 29, v0 :: v_dual_bitop2_b32 v26, 7, v26 bitop3:0x40
; %bb.6391:                             ;   in Loop: Header=BB6_6234 Depth=3
	s_or_b32 exec_lo, exec_lo, s45
	v_lshlrev_b32_e32 v2, 16, v2
	s_delay_alu instid0(VALU_DEP_2) | instskip(NEXT) | instid1(VALU_DEP_3)
	v_lshlrev_b32_e32 v25, 20, v26
	v_lshl_add_u32 v0, v0, 23, 0x3c000000
	s_delay_alu instid0(VALU_DEP_3) | instskip(NEXT) | instid1(VALU_DEP_1)
	v_and_b32_e32 v2, 0x80000000, v2
	v_or3_b32 v25, v25, v2, v0
.LBB6_6392:                             ;   in Loop: Header=BB6_6234 Depth=3
	s_or_b32 exec_lo, exec_lo, s44
.LBB6_6393:                             ;   in Loop: Header=BB6_6234 Depth=3
	s_delay_alu instid0(SALU_CYCLE_1)
	s_or_b32 exec_lo, exec_lo, s15
.LBB6_6394:                             ;   in Loop: Header=BB6_6234 Depth=3
	s_delay_alu instid0(SALU_CYCLE_1) | instskip(SKIP_3) | instid1(VALU_DEP_1)
	s_or_b32 exec_lo, exec_lo, s14
	v_lshrrev_b16 v24, 8, v24
	s_mov_b32 s15, 0
	s_mov_b32 s14, exec_lo
	v_cmpx_lt_i16_e32 0x7f, v24
	s_xor_b32 s14, exec_lo, s14
	s_cbranch_execz .LBB6_6401
; %bb.6395:                             ;   in Loop: Header=BB6_6234 Depth=3
	s_mov_b32 s15, -1
	s_mov_b32 s44, exec_lo
	v_cmpx_eq_u16_e32 0x80, v24
; %bb.6396:                             ;   in Loop: Header=BB6_6234 Depth=3
	s_xor_b32 s15, exec_lo, -1
; %bb.6397:                             ;   in Loop: Header=BB6_6234 Depth=3
	s_or_b32 exec_lo, exec_lo, s44
	s_delay_alu instid0(SALU_CYCLE_1)
	s_and_b32 s15, s15, exec_lo
	s_or_saveexec_b32 s14, s14
	v_bfrev_b32_e32 v0, 1
	s_xor_b32 exec_lo, exec_lo, s14
	s_cbranch_execnz .LBB6_6402
.LBB6_6398:                             ;   in Loop: Header=BB6_6234 Depth=3
	s_or_b32 exec_lo, exec_lo, s14
	s_and_saveexec_b32 s14, s15
	s_cbranch_execnz .LBB6_6403
	s_branch .LBB6_6406
.LBB6_6399:                             ;   in Loop: Header=BB6_6234 Depth=3
	s_or_saveexec_b32 s15, s15
	v_bfrev_b32_e32 v0, 1
	s_xor_b32 exec_lo, exec_lo, s15
	s_cbranch_execz .LBB6_6368
.LBB6_6400:                             ;   in Loop: Header=BB6_6234 Depth=3
	v_cmp_ne_u16_e32 vcc_lo, 0, v25
	v_mov_b32_e32 v0, 0
	s_and_not1_b32 s14, s14, exec_lo
	s_and_b32 s44, vcc_lo, exec_lo
	s_delay_alu instid0(SALU_CYCLE_1)
	s_or_b32 s14, s14, s44
	s_or_b32 exec_lo, exec_lo, s15
	v_mov_b32_e32 v25, v3
	s_and_saveexec_b32 s15, s14
	s_cbranch_execnz .LBB6_6369
	s_branch .LBB6_6370
.LBB6_6401:                             ;   in Loop: Header=BB6_6234 Depth=3
	s_or_saveexec_b32 s14, s14
	v_bfrev_b32_e32 v0, 1
	s_xor_b32 exec_lo, exec_lo, s14
	s_cbranch_execz .LBB6_6398
.LBB6_6402:                             ;   in Loop: Header=BB6_6234 Depth=3
	v_cmp_ne_u16_e32 vcc_lo, 0, v24
	v_mov_b32_e32 v0, 0
	s_and_not1_b32 s15, s15, exec_lo
	s_and_b32 s44, vcc_lo, exec_lo
	s_delay_alu instid0(SALU_CYCLE_1)
	s_or_b32 s15, s15, s44
	s_or_b32 exec_lo, exec_lo, s14
	s_and_saveexec_b32 s14, s15
	s_cbranch_execz .LBB6_6406
.LBB6_6403:                             ;   in Loop: Header=BB6_6234 Depth=3
	v_and_b32_e32 v2, 0xffff, v24
	v_mov_b32_e32 v0, 0x7f800001
	s_mov_b32 s15, exec_lo
	s_delay_alu instid0(VALU_DEP_2) | instskip(NEXT) | instid1(VALU_DEP_1)
	v_and_b32_e32 v26, 0x7f, v2
	v_cmpx_ne_u32_e32 0x7f, v26
	s_cbranch_execz .LBB6_6405
; %bb.6404:                             ;   in Loop: Header=BB6_6234 Depth=3
	v_and_b32_e32 v0, 7, v2
	v_cmp_gt_u32_e32 vcc_lo, 8, v26
	v_lshlrev_b32_e32 v24, 24, v24
	s_delay_alu instid0(VALU_DEP_3) | instskip(NEXT) | instid1(VALU_DEP_2)
	v_clz_i32_u32_e32 v27, v0
	v_and_b32_e32 v24, 0x80000000, v24
	s_delay_alu instid0(VALU_DEP_2) | instskip(NEXT) | instid1(VALU_DEP_1)
	v_min_u32_e32 v27, 32, v27
	v_subrev_nc_u32_e32 v33, 28, v27
	v_sub_nc_u32_e32 v27, 29, v27
	s_delay_alu instid0(VALU_DEP_2) | instskip(SKIP_1) | instid1(VALU_DEP_1)
	v_lshlrev_b64_e32 v[38:39], v33, v[2:3]
	v_lshrrev_b32_e32 v2, 3, v26
	v_dual_cndmask_b32 v2, v2, v27, vcc_lo :: v_dual_bitop2_b32 v26, 7, v38 bitop3:0x40
	s_delay_alu instid0(VALU_DEP_1) | instskip(NEXT) | instid1(VALU_DEP_2)
	v_lshl_add_u32 v2, v2, 23, 0x3c000000
	v_cndmask_b32_e32 v0, v0, v26, vcc_lo
	s_delay_alu instid0(VALU_DEP_1) | instskip(NEXT) | instid1(VALU_DEP_1)
	v_lshlrev_b32_e32 v0, 20, v0
	v_or3_b32 v0, v0, v24, v2
.LBB6_6405:                             ;   in Loop: Header=BB6_6234 Depth=3
	s_or_b32 exec_lo, exec_lo, s15
.LBB6_6406:                             ;   in Loop: Header=BB6_6234 Depth=3
	s_delay_alu instid0(SALU_CYCLE_1) | instskip(NEXT) | instid1(VALU_DEP_1)
	s_or_b32 exec_lo, exec_lo, s14
	v_add_f32_e32 v0, v25, v0
                                        ; implicit-def: $vgpr33
	s_mov_b32 s14, exec_lo
	s_delay_alu instid0(VALU_DEP_1) | instskip(SKIP_1) | instid1(VALU_DEP_2)
	v_and_b32_e32 v2, 0x7f800000, v0
	v_lshrrev_b32_e32 v24, 24, v0
	v_cmpx_ne_u64_e32 0x7f800000, v[2:3]
	s_xor_b32 s15, exec_lo, s14
	s_cbranch_execz .LBB6_6420
; %bb.6407:                             ;   in Loop: Header=BB6_6234 Depth=3
	v_and_b32_e32 v2, 0x7fffffff, v0
	v_and_b32_e32 v38, 0x80, v24
                                        ; implicit-def: $vgpr33
	s_mov_b32 s14, exec_lo
	s_delay_alu instid0(VALU_DEP_2)
	v_cmpx_gt_u64_e32 0x43e00001, v[2:3]
	s_xor_b32 s44, exec_lo, s14
	s_cbranch_execz .LBB6_6417
; %bb.6408:                             ;   in Loop: Header=BB6_6234 Depth=3
	v_mov_b32_e32 v33, 0
	s_mov_b32 s45, exec_lo
	v_cmpx_ne_u32_e32 0, v0
	s_cbranch_execz .LBB6_6416
; %bb.6409:                             ;   in Loop: Header=BB6_6234 Depth=3
	v_bfe_u32 v33, v0, 23, 8
	v_and_b32_e32 v0, 0x7fffff, v0
	s_delay_alu instid0(VALU_DEP_2) | instskip(SKIP_1) | instid1(VALU_DEP_3)
	v_sub_nc_u32_e32 v2, 0x79, v33
	v_cmp_gt_u32_e32 vcc_lo, 0x7a, v33
	v_or_b32_e32 v26, 0x800000, v0
	s_delay_alu instid0(VALU_DEP_3) | instskip(SKIP_1) | instid1(VALU_DEP_2)
	v_cndmask_b32_e32 v2, 0, v2, vcc_lo
	v_cmp_eq_u32_e32 vcc_lo, 0, v33
	v_cndmask_b32_e64 v39, v2, 0x78, vcc_lo
	s_delay_alu instid0(VALU_DEP_1) | instskip(NEXT) | instid1(VALU_DEP_1)
	v_dual_add_nc_u32 v2, 20, v39 :: v_dual_add_nc_u32 v27, 19, v39
	v_lshlrev_b64_e64 v[24:25], v2, -1
	v_cndmask_b32_e32 v2, v26, v0, vcc_lo
	s_delay_alu instid0(VALU_DEP_3) | instskip(NEXT) | instid1(VALU_DEP_3)
	v_lshlrev_b64_e64 v[26:27], v27, 1
	v_bfi_b32 v49, v25, 0, 0
	s_delay_alu instid0(VALU_DEP_3) | instskip(SKIP_1) | instid1(VALU_DEP_2)
	v_bfi_b32 v48, v24, 0, v2
	v_lshrrev_b64 v[24:25], v39, v[2:3]
	v_cmp_eq_u64_e64 s14, v[48:49], v[26:27]
	s_delay_alu instid0(VALU_DEP_2)
	v_mov_b64_e32 v[26:27], v[24:25]
	s_and_saveexec_b32 s77, s14
; %bb.6410:                             ;   in Loop: Header=BB6_6234 Depth=3
	v_bfe_u32 v2, v24, 20, 1
	s_delay_alu instid0(VALU_DEP_1) | instskip(NEXT) | instid1(VALU_DEP_1)
	v_add_nc_u64_e32 v[26:27], v[24:25], v[2:3]
	v_add_nc_u64_e32 v[26:27], -1, v[26:27]
; %bb.6411:                             ;   in Loop: Header=BB6_6234 Depth=3
	s_or_b32 exec_lo, exec_lo, s77
	v_add_nc_u32_e32 v0, 0xffffff81, v33
	v_lshrrev_b32_e32 v2, 23, v24
	s_mov_b32 s14, exec_lo
	s_delay_alu instid0(VALU_DEP_2) | instskip(NEXT) | instid1(VALU_DEP_1)
	v_cndmask_b32_e64 v0, v0, 0xffffff82, vcc_lo
	v_add3_u32 v27, v39, v0, v2
	v_and_b32_e32 v0, 0xfffff, v26
	s_delay_alu instid0(VALU_DEP_1) | instskip(NEXT) | instid1(VALU_DEP_1)
	v_dual_add_nc_u32 v26, 6, v27 :: v_dual_add_nc_u32 v2, v0, v24
                                        ; implicit-def: $vgpr24_vgpr25
                                        ; implicit-def: $vgpr0
	v_cmpx_ne_u32_e32 0, v26
	s_xor_b32 s14, exec_lo, s14
; %bb.6412:                             ;   in Loop: Header=BB6_6234 Depth=3
	s_delay_alu instid0(VALU_DEP_2) | instskip(SKIP_2) | instid1(VALU_DEP_2)
	v_cmp_lt_u64_e32 vcc_lo, 0xffffff, v[2:3]
	v_add_nc_u32_e32 v0, 7, v27
	v_cndmask_b32_e64 v24, 0, 1, vcc_lo
	v_cndmask_b32_e32 v0, v26, v0, vcc_lo
	s_delay_alu instid0(VALU_DEP_2)
	v_lshrrev_b64 v[24:25], v24, v[2:3]
; %bb.6413:                             ;   in Loop: Header=BB6_6234 Depth=3
	s_and_not1_saveexec_b32 s14, s14
; %bb.6414:                             ;   in Loop: Header=BB6_6234 Depth=3
	v_mov_b64_e32 v[24:25], v[2:3]
	v_bfe_u32 v0, v2, 23, 1
; %bb.6415:                             ;   in Loop: Header=BB6_6234 Depth=3
	s_or_b32 exec_lo, exec_lo, s14
	s_delay_alu instid0(VALU_DEP_2) | instskip(NEXT) | instid1(VALU_DEP_2)
	v_lshrrev_b64 v[24:25], 20, v[24:25]
	v_cmp_gt_i32_e32 vcc_lo, 16, v0
	v_min_i32_e32 v2, 15, v0
	v_cmp_eq_u32_e64 s14, 0, v0
	s_delay_alu instid0(VALU_DEP_2) | instskip(SKIP_1) | instid1(VALU_DEP_2)
	v_dual_cndmask_b32 v25, 0, v25 :: v_dual_lshlrev_b32 v2, 3, v2
	v_cndmask_b32_e32 v24, 7, v24, vcc_lo
	v_and_b32_e32 v2, 0xf8, v2
	s_delay_alu instid0(VALU_DEP_2) | instskip(NEXT) | instid1(VALU_DEP_2)
	v_cmp_eq_u64_e32 vcc_lo, 0, v[24:25]
	v_and_or_b32 v0, v24, 7, v2
	s_and_b32 s14, s14, vcc_lo
	s_delay_alu instid0(VALU_DEP_1) | instid1(SALU_CYCLE_1)
	v_cndmask_b32_e64 v0, v0, 0, s14
	s_delay_alu instid0(VALU_DEP_1)
	v_or_b32_e32 v33, v0, v38
.LBB6_6416:                             ;   in Loop: Header=BB6_6234 Depth=3
	s_or_b32 exec_lo, exec_lo, s45
                                        ; implicit-def: $vgpr38
.LBB6_6417:                             ;   in Loop: Header=BB6_6234 Depth=3
	s_and_not1_saveexec_b32 s14, s44
; %bb.6418:                             ;   in Loop: Header=BB6_6234 Depth=3
	v_or_b32_e32 v33, 0x7e, v38
; %bb.6419:                             ;   in Loop: Header=BB6_6234 Depth=3
	s_or_b32 exec_lo, exec_lo, s14
                                        ; implicit-def: $vgpr24
.LBB6_6420:                             ;   in Loop: Header=BB6_6234 Depth=3
	s_and_not1_saveexec_b32 s14, s15
; %bb.6421:                             ;   in Loop: Header=BB6_6234 Depth=3
	v_or_b32_e32 v33, 0x7f, v24
; %bb.6422:                             ;   in Loop: Header=BB6_6234 Depth=3
	s_or_b32 exec_lo, exec_lo, s14
	v_dual_lshrrev_b32 v0, 16, v13 :: v_dual_mov_b32 v24, 0
	s_mov_b32 s14, exec_lo
	s_delay_alu instid0(VALU_DEP_1) | instskip(NEXT) | instid1(VALU_DEP_1)
	v_and_b32_e32 v2, 0xff, v0
	v_cmpx_ne_u16_e32 0, v2
	s_cbranch_execz .LBB6_6430
; %bb.6423:                             ;   in Loop: Header=BB6_6234 Depth=3
	v_bfrev_b32_e32 v24, 1
	s_mov_b32 s15, exec_lo
	v_cmpx_ne_u16_e32 0x80, v2
	s_cbranch_execz .LBB6_6429
; %bb.6424:                             ;   in Loop: Header=BB6_6234 Depth=3
	v_bfe_u32 v25, v13, 16, 7
	v_mov_b32_e32 v24, 0x7f800001
	s_mov_b32 s44, exec_lo
	s_delay_alu instid0(VALU_DEP_2)
	v_cmpx_ne_u32_e32 0x7f, v25
	s_cbranch_execz .LBB6_6428
; %bb.6425:                             ;   in Loop: Header=BB6_6234 Depth=3
	v_dual_lshrrev_b32 v26, 3, v25 :: v_dual_bitop2_b32 v2, 7, v0 bitop3:0x40
	v_cmp_gt_u32_e32 vcc_lo, 8, v25
	s_delay_alu instid0(VALU_DEP_2)
	v_mov_b64_e32 v[24:25], v[2:3]
	s_and_saveexec_b32 s45, vcc_lo
; %bb.6426:                             ;   in Loop: Header=BB6_6234 Depth=3
	v_clz_i32_u32_e32 v24, v2
	s_delay_alu instid0(VALU_DEP_1) | instskip(NEXT) | instid1(VALU_DEP_1)
	v_min_u32_e32 v26, 32, v24
	v_subrev_nc_u32_e32 v24, 28, v26
	s_delay_alu instid0(VALU_DEP_1) | instskip(NEXT) | instid1(VALU_DEP_1)
	v_lshlrev_b64_e32 v[24:25], v24, v[2:3]
	v_dual_sub_nc_u32 v26, 29, v26 :: v_dual_bitop2_b32 v24, 7, v24 bitop3:0x40
; %bb.6427:                             ;   in Loop: Header=BB6_6234 Depth=3
	s_or_b32 exec_lo, exec_lo, s45
	v_lshlrev_b32_e32 v0, 24, v0
	s_delay_alu instid0(VALU_DEP_2) | instskip(NEXT) | instid1(VALU_DEP_3)
	v_lshlrev_b32_e32 v2, 20, v24
	v_lshl_add_u32 v24, v26, 23, 0x3c000000
	s_delay_alu instid0(VALU_DEP_3) | instskip(NEXT) | instid1(VALU_DEP_1)
	v_and_b32_e32 v0, 0x80000000, v0
	v_or3_b32 v24, v2, v0, v24
.LBB6_6428:                             ;   in Loop: Header=BB6_6234 Depth=3
	s_or_b32 exec_lo, exec_lo, s44
.LBB6_6429:                             ;   in Loop: Header=BB6_6234 Depth=3
	s_delay_alu instid0(SALU_CYCLE_1)
	s_or_b32 exec_lo, exec_lo, s15
.LBB6_6430:                             ;   in Loop: Header=BB6_6234 Depth=3
	s_delay_alu instid0(SALU_CYCLE_1) | instskip(SKIP_3) | instid1(VALU_DEP_1)
	s_or_b32 exec_lo, exec_lo, s14
	v_lshrrev_b32_e32 v2, 16, v9
	s_mov_b32 s15, 0
	s_mov_b32 s14, exec_lo
	v_and_b32_e32 v25, 0xff, v2
	s_delay_alu instid0(VALU_DEP_1)
	v_cmpx_lt_i16_e32 0x7f, v25
	s_xor_b32 s14, exec_lo, s14
	s_cbranch_execz .LBB6_6435
; %bb.6431:                             ;   in Loop: Header=BB6_6234 Depth=3
	s_mov_b32 s15, -1
	s_mov_b32 s44, exec_lo
	v_cmpx_eq_u16_e32 0x80, v25
; %bb.6432:                             ;   in Loop: Header=BB6_6234 Depth=3
	s_xor_b32 s15, exec_lo, -1
; %bb.6433:                             ;   in Loop: Header=BB6_6234 Depth=3
	s_or_b32 exec_lo, exec_lo, s44
	s_delay_alu instid0(SALU_CYCLE_1)
	s_and_b32 s15, s15, exec_lo
                                        ; implicit-def: $vgpr25
	s_or_saveexec_b32 s14, s14
	v_bfrev_b32_e32 v0, 1
	s_xor_b32 exec_lo, exec_lo, s14
	s_cbranch_execnz .LBB6_6436
.LBB6_6434:                             ;   in Loop: Header=BB6_6234 Depth=3
	s_or_b32 exec_lo, exec_lo, s14
	s_and_saveexec_b32 s14, s15
	s_cbranch_execnz .LBB6_6437
	s_branch .LBB6_6440
.LBB6_6435:                             ;   in Loop: Header=BB6_6234 Depth=3
	s_or_saveexec_b32 s14, s14
	v_bfrev_b32_e32 v0, 1
	s_xor_b32 exec_lo, exec_lo, s14
	s_cbranch_execz .LBB6_6434
.LBB6_6436:                             ;   in Loop: Header=BB6_6234 Depth=3
	v_cmp_ne_u16_e32 vcc_lo, 0, v25
	v_mov_b32_e32 v0, 0
	s_and_not1_b32 s15, s15, exec_lo
	s_and_b32 s44, vcc_lo, exec_lo
	s_delay_alu instid0(SALU_CYCLE_1)
	s_or_b32 s15, s15, s44
	s_or_b32 exec_lo, exec_lo, s14
	s_and_saveexec_b32 s14, s15
	s_cbranch_execz .LBB6_6440
.LBB6_6437:                             ;   in Loop: Header=BB6_6234 Depth=3
	v_and_b32_e32 v25, 0x7f, v2
	v_mov_b32_e32 v0, 0x7f800001
	s_mov_b32 s15, exec_lo
	s_delay_alu instid0(VALU_DEP_2)
	v_cmpx_ne_u32_e32 0x7f, v25
	s_cbranch_execz .LBB6_6439
; %bb.6438:                             ;   in Loop: Header=BB6_6234 Depth=3
	v_and_b32_e32 v0, 7, v2
	v_cmp_gt_u32_e32 vcc_lo, 8, v25
	s_delay_alu instid0(VALU_DEP_2) | instskip(NEXT) | instid1(VALU_DEP_1)
	v_clz_i32_u32_e32 v26, v0
	v_min_u32_e32 v38, 32, v26
	s_delay_alu instid0(VALU_DEP_1) | instskip(NEXT) | instid1(VALU_DEP_1)
	v_subrev_nc_u32_e32 v26, 28, v38
	v_lshlrev_b64_e32 v[26:27], v26, v[2:3]
	v_dual_lshrrev_b32 v27, 3, v25 :: v_dual_lshlrev_b32 v2, 24, v2
	s_delay_alu instid0(VALU_DEP_1) | instskip(NEXT) | instid1(VALU_DEP_3)
	v_and_b32_e32 v2, 0x80000000, v2
	v_and_b32_e32 v25, 7, v26
	s_delay_alu instid0(VALU_DEP_1) | instskip(NEXT) | instid1(VALU_DEP_1)
	v_dual_sub_nc_u32 v38, 29, v38 :: v_dual_cndmask_b32 v0, v0, v25, vcc_lo
	v_dual_cndmask_b32 v26, v27, v38, vcc_lo :: v_dual_lshlrev_b32 v0, 20, v0
	s_delay_alu instid0(VALU_DEP_1) | instskip(NEXT) | instid1(VALU_DEP_1)
	v_lshl_add_u32 v25, v26, 23, 0x3c000000
	v_or3_b32 v0, v0, v2, v25
.LBB6_6439:                             ;   in Loop: Header=BB6_6234 Depth=3
	s_or_b32 exec_lo, exec_lo, s15
.LBB6_6440:                             ;   in Loop: Header=BB6_6234 Depth=3
	s_delay_alu instid0(SALU_CYCLE_1) | instskip(NEXT) | instid1(VALU_DEP_1)
	s_or_b32 exec_lo, exec_lo, s14
	v_add_f32_e32 v0, v24, v0
                                        ; implicit-def: $vgpr26
	s_mov_b32 s14, exec_lo
	s_delay_alu instid0(VALU_DEP_1) | instskip(SKIP_1) | instid1(VALU_DEP_2)
	v_and_b32_e32 v2, 0x7f800000, v0
	v_lshrrev_b32_e32 v24, 24, v0
	v_cmpx_ne_u64_e32 0x7f800000, v[2:3]
	s_xor_b32 s15, exec_lo, s14
	s_cbranch_execz .LBB6_6454
; %bb.6441:                             ;   in Loop: Header=BB6_6234 Depth=3
	v_and_b32_e32 v2, 0x7fffffff, v0
	v_and_b32_e32 v38, 0x80, v24
                                        ; implicit-def: $vgpr26
	s_mov_b32 s14, exec_lo
	s_delay_alu instid0(VALU_DEP_2)
	v_cmpx_gt_u64_e32 0x43e00001, v[2:3]
	s_xor_b32 s44, exec_lo, s14
	s_cbranch_execz .LBB6_6451
; %bb.6442:                             ;   in Loop: Header=BB6_6234 Depth=3
	v_mov_b32_e32 v26, 0
	s_mov_b32 s45, exec_lo
	v_cmpx_ne_u32_e32 0, v0
	s_cbranch_execz .LBB6_6450
; %bb.6443:                             ;   in Loop: Header=BB6_6234 Depth=3
	v_bfe_u32 v39, v0, 23, 8
	v_and_b32_e32 v0, 0x7fffff, v0
	s_delay_alu instid0(VALU_DEP_2) | instskip(SKIP_1) | instid1(VALU_DEP_3)
	v_sub_nc_u32_e32 v2, 0x79, v39
	v_cmp_gt_u32_e32 vcc_lo, 0x7a, v39
	v_or_b32_e32 v26, 0x800000, v0
	s_delay_alu instid0(VALU_DEP_3) | instskip(SKIP_1) | instid1(VALU_DEP_2)
	v_cndmask_b32_e32 v2, 0, v2, vcc_lo
	v_cmp_eq_u32_e32 vcc_lo, 0, v39
	v_cndmask_b32_e64 v48, v2, 0x78, vcc_lo
	s_delay_alu instid0(VALU_DEP_1) | instskip(NEXT) | instid1(VALU_DEP_1)
	v_dual_add_nc_u32 v2, 20, v48 :: v_dual_add_nc_u32 v27, 19, v48
	v_lshlrev_b64_e64 v[24:25], v2, -1
	v_cndmask_b32_e32 v2, v26, v0, vcc_lo
	s_delay_alu instid0(VALU_DEP_3) | instskip(NEXT) | instid1(VALU_DEP_3)
	v_lshlrev_b64_e64 v[26:27], v27, 1
	v_bfi_b32 v51, v25, 0, 0
	s_delay_alu instid0(VALU_DEP_3) | instskip(SKIP_1) | instid1(VALU_DEP_2)
	v_bfi_b32 v50, v24, 0, v2
	v_lshrrev_b64 v[24:25], v48, v[2:3]
	v_cmp_eq_u64_e64 s14, v[50:51], v[26:27]
	s_delay_alu instid0(VALU_DEP_2)
	v_mov_b64_e32 v[26:27], v[24:25]
	s_and_saveexec_b32 s77, s14
; %bb.6444:                             ;   in Loop: Header=BB6_6234 Depth=3
	v_bfe_u32 v2, v24, 20, 1
	s_delay_alu instid0(VALU_DEP_1) | instskip(NEXT) | instid1(VALU_DEP_1)
	v_add_nc_u64_e32 v[26:27], v[24:25], v[2:3]
	v_add_nc_u64_e32 v[26:27], -1, v[26:27]
; %bb.6445:                             ;   in Loop: Header=BB6_6234 Depth=3
	s_or_b32 exec_lo, exec_lo, s77
	v_add_nc_u32_e32 v0, 0xffffff81, v39
	v_lshrrev_b32_e32 v2, 23, v24
	s_mov_b32 s14, exec_lo
	s_delay_alu instid0(VALU_DEP_2) | instskip(NEXT) | instid1(VALU_DEP_1)
	v_cndmask_b32_e64 v0, v0, 0xffffff82, vcc_lo
	v_add3_u32 v27, v48, v0, v2
	v_and_b32_e32 v0, 0xfffff, v26
	s_delay_alu instid0(VALU_DEP_1) | instskip(NEXT) | instid1(VALU_DEP_1)
	v_dual_add_nc_u32 v26, 6, v27 :: v_dual_add_nc_u32 v2, v0, v24
                                        ; implicit-def: $vgpr24_vgpr25
                                        ; implicit-def: $vgpr0
	v_cmpx_ne_u32_e32 0, v26
	s_xor_b32 s14, exec_lo, s14
; %bb.6446:                             ;   in Loop: Header=BB6_6234 Depth=3
	s_delay_alu instid0(VALU_DEP_2) | instskip(SKIP_2) | instid1(VALU_DEP_2)
	v_cmp_lt_u64_e32 vcc_lo, 0xffffff, v[2:3]
	v_add_nc_u32_e32 v0, 7, v27
	v_cndmask_b32_e64 v24, 0, 1, vcc_lo
	v_cndmask_b32_e32 v0, v26, v0, vcc_lo
	s_delay_alu instid0(VALU_DEP_2)
	v_lshrrev_b64 v[24:25], v24, v[2:3]
; %bb.6447:                             ;   in Loop: Header=BB6_6234 Depth=3
	s_and_not1_saveexec_b32 s14, s14
; %bb.6448:                             ;   in Loop: Header=BB6_6234 Depth=3
	v_mov_b64_e32 v[24:25], v[2:3]
	v_bfe_u32 v0, v2, 23, 1
; %bb.6449:                             ;   in Loop: Header=BB6_6234 Depth=3
	s_or_b32 exec_lo, exec_lo, s14
	s_delay_alu instid0(VALU_DEP_2) | instskip(NEXT) | instid1(VALU_DEP_2)
	v_lshrrev_b64 v[24:25], 20, v[24:25]
	v_cmp_gt_i32_e32 vcc_lo, 16, v0
	v_min_i32_e32 v2, 15, v0
	v_cmp_eq_u32_e64 s14, 0, v0
	s_delay_alu instid0(VALU_DEP_2) | instskip(SKIP_1) | instid1(VALU_DEP_2)
	v_dual_cndmask_b32 v25, 0, v25 :: v_dual_lshlrev_b32 v2, 3, v2
	v_cndmask_b32_e32 v24, 7, v24, vcc_lo
	v_and_b32_e32 v2, 0xf8, v2
	s_delay_alu instid0(VALU_DEP_2) | instskip(NEXT) | instid1(VALU_DEP_2)
	v_cmp_eq_u64_e32 vcc_lo, 0, v[24:25]
	v_and_or_b32 v0, v24, 7, v2
	s_and_b32 s14, s14, vcc_lo
	s_delay_alu instid0(VALU_DEP_1) | instid1(SALU_CYCLE_1)
	v_cndmask_b32_e64 v0, v0, 0, s14
	s_delay_alu instid0(VALU_DEP_1)
	v_or_b32_e32 v26, v0, v38
.LBB6_6450:                             ;   in Loop: Header=BB6_6234 Depth=3
	s_or_b32 exec_lo, exec_lo, s45
                                        ; implicit-def: $vgpr38
.LBB6_6451:                             ;   in Loop: Header=BB6_6234 Depth=3
	s_and_not1_saveexec_b32 s14, s44
; %bb.6452:                             ;   in Loop: Header=BB6_6234 Depth=3
	v_or_b32_e32 v26, 0x7e, v38
; %bb.6453:                             ;   in Loop: Header=BB6_6234 Depth=3
	s_or_b32 exec_lo, exec_lo, s14
                                        ; implicit-def: $vgpr24
.LBB6_6454:                             ;   in Loop: Header=BB6_6234 Depth=3
	s_and_not1_saveexec_b32 s14, s15
; %bb.6455:                             ;   in Loop: Header=BB6_6234 Depth=3
	v_or_b32_e32 v26, 0x7f, v24
; %bb.6456:                             ;   in Loop: Header=BB6_6234 Depth=3
	s_or_b32 exec_lo, exec_lo, s14
	v_cmp_lt_u64_e32 vcc_lo, s[22:23], v[12:13]
	v_mov_b32_e32 v12, 0
	s_and_saveexec_b32 s14, vcc_lo
	s_cbranch_execz .LBB6_6464
; %bb.6457:                             ;   in Loop: Header=BB6_6234 Depth=3
	v_lshrrev_b32_e32 v0, 24, v13
	v_bfrev_b32_e32 v12, 1
	s_mov_b32 s15, exec_lo
	s_delay_alu instid0(VALU_DEP_2)
	v_cmpx_ne_u32_e32 0x80, v0
	s_cbranch_execz .LBB6_6463
; %bb.6458:                             ;   in Loop: Header=BB6_6234 Depth=3
	v_bfe_u32 v13, v13, 24, 7
	v_mov_b32_e32 v12, 0x7f800001
	s_mov_b32 s44, exec_lo
	s_delay_alu instid0(VALU_DEP_2)
	v_cmpx_ne_u32_e32 0x7f, v13
	s_cbranch_execz .LBB6_6462
; %bb.6459:                             ;   in Loop: Header=BB6_6234 Depth=3
	v_dual_lshrrev_b32 v24, 3, v13 :: v_dual_bitop2_b32 v2, 7, v0 bitop3:0x40
	v_cmp_gt_u32_e32 vcc_lo, 8, v13
	s_delay_alu instid0(VALU_DEP_2)
	v_mov_b64_e32 v[12:13], v[2:3]
	s_and_saveexec_b32 s45, vcc_lo
; %bb.6460:                             ;   in Loop: Header=BB6_6234 Depth=3
	v_clz_i32_u32_e32 v12, v2
	s_delay_alu instid0(VALU_DEP_1) | instskip(NEXT) | instid1(VALU_DEP_1)
	v_min_u32_e32 v24, 32, v12
	v_subrev_nc_u32_e32 v12, 28, v24
	v_sub_nc_u32_e32 v24, 29, v24
	s_delay_alu instid0(VALU_DEP_2) | instskip(NEXT) | instid1(VALU_DEP_1)
	v_lshlrev_b64_e32 v[12:13], v12, v[2:3]
	v_and_b32_e32 v12, 7, v12
; %bb.6461:                             ;   in Loop: Header=BB6_6234 Depth=3
	s_or_b32 exec_lo, exec_lo, s45
	v_lshlrev_b32_e32 v0, 24, v0
	s_delay_alu instid0(VALU_DEP_2) | instskip(SKIP_1) | instid1(VALU_DEP_3)
	v_lshlrev_b32_e32 v2, 20, v12
	v_lshl_add_u32 v12, v24, 23, 0x3c000000
	v_and_b32_e32 v0, 0x80000000, v0
	s_delay_alu instid0(VALU_DEP_1)
	v_or3_b32 v12, v2, v0, v12
.LBB6_6462:                             ;   in Loop: Header=BB6_6234 Depth=3
	s_or_b32 exec_lo, exec_lo, s44
.LBB6_6463:                             ;   in Loop: Header=BB6_6234 Depth=3
	s_delay_alu instid0(SALU_CYCLE_1)
	s_or_b32 exec_lo, exec_lo, s15
.LBB6_6464:                             ;   in Loop: Header=BB6_6234 Depth=3
	s_delay_alu instid0(SALU_CYCLE_1) | instskip(SKIP_3) | instid1(VALU_DEP_3)
	s_or_b32 exec_lo, exec_lo, s14
	v_lshrrev_b32_e32 v2, 24, v9
	v_bfe_u32 v0, v9, 24, 7
	v_cmp_gt_u64_e64 s15, s[24:25], v[8:9]
	v_cmp_eq_u32_e64 s14, 0x80, v2
	s_delay_alu instid0(VALU_DEP_3) | instskip(NEXT) | instid1(VALU_DEP_2)
	v_cmp_eq_u32_e32 vcc_lo, 0x7f, v0
	v_cndmask_b32_e64 v13, 0x7f800001, v125, s14
	s_or_b32 s14, s14, vcc_lo
	s_delay_alu instid0(VALU_DEP_1) | instskip(SKIP_1) | instid1(SALU_CYCLE_1)
	v_cndmask_b32_e64 v8, v13, 0, s15
	s_nor_b32 s15, s15, s14
	s_and_saveexec_b32 s14, s15
	s_cbranch_execz .LBB6_6466
; %bb.6465:                             ;   in Loop: Header=BB6_6234 Depth=3
	v_and_b32_e32 v13, 7, v2
	v_cmp_gt_u32_e32 vcc_lo, 8, v0
	s_delay_alu instid0(VALU_DEP_2) | instskip(NEXT) | instid1(VALU_DEP_1)
	v_clz_i32_u32_e32 v8, v13
	v_min_u32_e32 v24, 32, v8
	s_delay_alu instid0(VALU_DEP_1) | instskip(SKIP_1) | instid1(VALU_DEP_2)
	v_subrev_nc_u32_e32 v8, 28, v24
	v_sub_nc_u32_e32 v24, 29, v24
	v_lshlrev_b64_e32 v[8:9], v8, v[2:3]
	v_dual_lshrrev_b32 v9, 3, v0 :: v_dual_lshlrev_b32 v2, 24, v2
	s_delay_alu instid0(VALU_DEP_1) | instskip(NEXT) | instid1(VALU_DEP_3)
	v_and_b32_e32 v2, 0x80000000, v2
	v_and_b32_e32 v0, 7, v8
	s_delay_alu instid0(VALU_DEP_3) | instskip(NEXT) | instid1(VALU_DEP_2)
	v_cndmask_b32_e32 v8, v9, v24, vcc_lo
	v_cndmask_b32_e32 v0, v13, v0, vcc_lo
	s_delay_alu instid0(VALU_DEP_2) | instskip(NEXT) | instid1(VALU_DEP_2)
	v_lshl_add_u32 v8, v8, 23, 0x3c000000
	v_lshlrev_b32_e32 v0, 20, v0
	s_delay_alu instid0(VALU_DEP_1)
	v_or3_b32 v8, v0, v2, v8
.LBB6_6466:                             ;   in Loop: Header=BB6_6234 Depth=3
	s_or_b32 exec_lo, exec_lo, s14
	s_delay_alu instid0(VALU_DEP_1) | instskip(SKIP_1) | instid1(VALU_DEP_1)
	v_add_f32_e32 v0, v12, v8
                                        ; implicit-def: $vgpr27
	s_mov_b32 s14, exec_lo
	v_and_b32_e32 v2, 0x7f800000, v0
	v_lshrrev_b32_e32 v8, 24, v0
	s_delay_alu instid0(VALU_DEP_2)
	v_cmpx_ne_u64_e32 0x7f800000, v[2:3]
	s_xor_b32 s15, exec_lo, s14
	s_cbranch_execz .LBB6_6480
; %bb.6467:                             ;   in Loop: Header=BB6_6234 Depth=3
	v_and_b32_e32 v2, 0x7fffffff, v0
	v_and_b32_e32 v24, 0x80, v8
                                        ; implicit-def: $vgpr27
	s_mov_b32 s14, exec_lo
	s_delay_alu instid0(VALU_DEP_2)
	v_cmpx_gt_u64_e32 0x43e00001, v[2:3]
	s_xor_b32 s44, exec_lo, s14
	s_cbranch_execz .LBB6_6477
; %bb.6468:                             ;   in Loop: Header=BB6_6234 Depth=3
	v_mov_b32_e32 v27, 0
	s_mov_b32 s45, exec_lo
	v_cmpx_ne_u32_e32 0, v0
	s_cbranch_execz .LBB6_6476
; %bb.6469:                             ;   in Loop: Header=BB6_6234 Depth=3
	v_bfe_u32 v25, v0, 23, 8
	v_and_b32_e32 v0, 0x7fffff, v0
	s_delay_alu instid0(VALU_DEP_2) | instskip(SKIP_1) | instid1(VALU_DEP_3)
	v_sub_nc_u32_e32 v2, 0x79, v25
	v_cmp_gt_u32_e32 vcc_lo, 0x7a, v25
	v_or_b32_e32 v12, 0x800000, v0
	s_delay_alu instid0(VALU_DEP_3) | instskip(SKIP_1) | instid1(VALU_DEP_2)
	v_cndmask_b32_e32 v2, 0, v2, vcc_lo
	v_cmp_eq_u32_e32 vcc_lo, 0, v25
	v_cndmask_b32_e64 v27, v2, 0x78, vcc_lo
	s_delay_alu instid0(VALU_DEP_1) | instskip(NEXT) | instid1(VALU_DEP_1)
	v_dual_add_nc_u32 v2, 20, v27 :: v_dual_add_nc_u32 v13, 19, v27
	v_lshlrev_b64_e64 v[8:9], v2, -1
	v_cndmask_b32_e32 v2, v12, v0, vcc_lo
	s_delay_alu instid0(VALU_DEP_3) | instskip(NEXT) | instid1(VALU_DEP_3)
	v_lshlrev_b64_e64 v[12:13], v13, 1
	v_bfi_b32 v39, v9, 0, 0
	s_delay_alu instid0(VALU_DEP_3) | instskip(SKIP_1) | instid1(VALU_DEP_2)
	v_bfi_b32 v38, v8, 0, v2
	v_lshrrev_b64 v[8:9], v27, v[2:3]
	v_cmp_eq_u64_e64 s14, v[38:39], v[12:13]
	s_delay_alu instid0(VALU_DEP_2)
	v_mov_b64_e32 v[12:13], v[8:9]
	s_and_saveexec_b32 s77, s14
; %bb.6470:                             ;   in Loop: Header=BB6_6234 Depth=3
	v_bfe_u32 v2, v8, 20, 1
	s_delay_alu instid0(VALU_DEP_1) | instskip(NEXT) | instid1(VALU_DEP_1)
	v_add_nc_u64_e32 v[12:13], v[8:9], v[2:3]
	v_add_nc_u64_e32 v[12:13], -1, v[12:13]
; %bb.6471:                             ;   in Loop: Header=BB6_6234 Depth=3
	s_or_b32 exec_lo, exec_lo, s77
	v_add_nc_u32_e32 v0, 0xffffff81, v25
	v_lshrrev_b32_e32 v2, 23, v8
	s_mov_b32 s14, exec_lo
	s_delay_alu instid0(VALU_DEP_2) | instskip(NEXT) | instid1(VALU_DEP_1)
	v_cndmask_b32_e64 v0, v0, 0xffffff82, vcc_lo
	v_add3_u32 v13, v27, v0, v2
	v_and_b32_e32 v0, 0xfffff, v12
	s_delay_alu instid0(VALU_DEP_1) | instskip(NEXT) | instid1(VALU_DEP_1)
	v_dual_add_nc_u32 v12, 6, v13 :: v_dual_add_nc_u32 v2, v0, v8
                                        ; implicit-def: $vgpr8_vgpr9
                                        ; implicit-def: $vgpr0
	v_cmpx_ne_u32_e32 0, v12
	s_xor_b32 s14, exec_lo, s14
; %bb.6472:                             ;   in Loop: Header=BB6_6234 Depth=3
	s_delay_alu instid0(VALU_DEP_2) | instskip(SKIP_2) | instid1(VALU_DEP_2)
	v_cmp_lt_u64_e32 vcc_lo, 0xffffff, v[2:3]
	v_add_nc_u32_e32 v0, 7, v13
	v_cndmask_b32_e64 v8, 0, 1, vcc_lo
	v_cndmask_b32_e32 v0, v12, v0, vcc_lo
	s_delay_alu instid0(VALU_DEP_2)
	v_lshrrev_b64 v[8:9], v8, v[2:3]
; %bb.6473:                             ;   in Loop: Header=BB6_6234 Depth=3
	s_and_not1_saveexec_b32 s14, s14
; %bb.6474:                             ;   in Loop: Header=BB6_6234 Depth=3
	v_mov_b64_e32 v[8:9], v[2:3]
	v_bfe_u32 v0, v2, 23, 1
; %bb.6475:                             ;   in Loop: Header=BB6_6234 Depth=3
	s_or_b32 exec_lo, exec_lo, s14
	s_delay_alu instid0(VALU_DEP_2) | instskip(NEXT) | instid1(VALU_DEP_2)
	v_lshrrev_b64 v[8:9], 20, v[8:9]
	v_cmp_gt_i32_e32 vcc_lo, 16, v0
	v_min_i32_e32 v2, 15, v0
	v_cmp_eq_u32_e64 s14, 0, v0
	s_delay_alu instid0(VALU_DEP_2) | instskip(SKIP_1) | instid1(VALU_DEP_2)
	v_dual_cndmask_b32 v9, 0, v9 :: v_dual_lshlrev_b32 v2, 3, v2
	v_cndmask_b32_e32 v8, 7, v8, vcc_lo
	v_and_b32_e32 v2, 0xf8, v2
	s_delay_alu instid0(VALU_DEP_2) | instskip(NEXT) | instid1(VALU_DEP_2)
	v_cmp_eq_u64_e32 vcc_lo, 0, v[8:9]
	v_and_or_b32 v0, v8, 7, v2
	s_and_b32 s14, s14, vcc_lo
	s_delay_alu instid0(VALU_DEP_1) | instid1(SALU_CYCLE_1)
	v_cndmask_b32_e64 v0, v0, 0, s14
	s_delay_alu instid0(VALU_DEP_1)
	v_or_b32_e32 v27, v0, v24
.LBB6_6476:                             ;   in Loop: Header=BB6_6234 Depth=3
	s_or_b32 exec_lo, exec_lo, s45
                                        ; implicit-def: $vgpr24
.LBB6_6477:                             ;   in Loop: Header=BB6_6234 Depth=3
	s_and_not1_saveexec_b32 s14, s44
; %bb.6478:                             ;   in Loop: Header=BB6_6234 Depth=3
	v_or_b32_e32 v27, 0x7e, v24
; %bb.6479:                             ;   in Loop: Header=BB6_6234 Depth=3
	s_or_b32 exec_lo, exec_lo, s14
                                        ; implicit-def: $vgpr8
.LBB6_6480:                             ;   in Loop: Header=BB6_6234 Depth=3
	s_and_not1_saveexec_b32 s14, s15
; %bb.6481:                             ;   in Loop: Header=BB6_6234 Depth=3
	v_or_b32_e32 v27, 0x7f, v8
; %bb.6482:                             ;   in Loop: Header=BB6_6234 Depth=3
	s_or_b32 exec_lo, exec_lo, s14
	v_and_b32_e32 v0, 0xff, v14
	v_mov_b32_e32 v2, 0
	s_mov_b32 s14, exec_lo
	s_delay_alu instid0(VALU_DEP_2)
	v_cmpx_ne_u16_e32 0, v0
	s_cbranch_execz .LBB6_6488
; %bb.6483:                             ;   in Loop: Header=BB6_6234 Depth=3
	v_bfrev_b32_e32 v2, 1
	s_mov_b32 s15, exec_lo
	v_cmpx_ne_u16_e32 0x80, v0
	s_cbranch_execz .LBB6_6487
; %bb.6484:                             ;   in Loop: Header=BB6_6234 Depth=3
	v_and_b32_e32 v0, 0x7f, v14
	v_mov_b32_e32 v2, 0x7f800001
	s_mov_b32 s44, exec_lo
	s_delay_alu instid0(VALU_DEP_2)
	v_cmpx_ne_u32_e32 0x7f, v0
	s_cbranch_execz .LBB6_6486
; %bb.6485:                             ;   in Loop: Header=BB6_6234 Depth=3
	v_dual_lshrrev_b32 v8, 3, v0 :: v_dual_bitop2_b32 v2, 7, v14 bitop3:0x40
	v_cmp_gt_u32_e32 vcc_lo, 8, v0
	s_delay_alu instid0(VALU_DEP_2) | instskip(NEXT) | instid1(VALU_DEP_1)
	v_clz_i32_u32_e32 v2, v2
	v_min_u32_e32 v2, 32, v2
	s_delay_alu instid0(VALU_DEP_1) | instskip(SKIP_1) | instid1(VALU_DEP_1)
	v_subrev_nc_u32_e32 v9, 28, v2
	v_sub_nc_u32_e32 v2, 29, v2
	v_dual_cndmask_b32 v0, v8, v2, vcc_lo :: v_dual_cndmask_b32 v2, 0, v9, vcc_lo
	s_delay_alu instid0(VALU_DEP_1) | instskip(NEXT) | instid1(VALU_DEP_2)
	v_lshl_add_u32 v0, v0, 23, 0x3c000000
	v_lshlrev_b64_e32 v[8:9], v2, v[14:15]
	v_lshlrev_b32_e32 v2, 24, v14
	s_delay_alu instid0(VALU_DEP_1) | instskip(NEXT) | instid1(VALU_DEP_3)
	v_and_b32_e32 v2, 0x80000000, v2
	v_lshlrev_b32_e32 v8, 20, v8
	s_delay_alu instid0(VALU_DEP_1) | instskip(NEXT) | instid1(VALU_DEP_1)
	v_and_b32_e32 v8, 0x700000, v8
	v_or3_b32 v2, v8, v2, v0
.LBB6_6486:                             ;   in Loop: Header=BB6_6234 Depth=3
	s_or_b32 exec_lo, exec_lo, s44
.LBB6_6487:                             ;   in Loop: Header=BB6_6234 Depth=3
	s_delay_alu instid0(SALU_CYCLE_1)
	s_or_b32 exec_lo, exec_lo, s15
.LBB6_6488:                             ;   in Loop: Header=BB6_6234 Depth=3
	s_delay_alu instid0(SALU_CYCLE_1) | instskip(SKIP_3) | instid1(VALU_DEP_1)
	s_or_b32 exec_lo, exec_lo, s14
	v_and_b32_e32 v8, 0xff, v10
	s_mov_b32 s14, 0
	s_mov_b32 s15, exec_lo
	v_cmpx_lt_i16_e32 0x7f, v8
	s_xor_b32 s15, exec_lo, s15
	s_cbranch_execz .LBB6_6523
; %bb.6489:                             ;   in Loop: Header=BB6_6234 Depth=3
	s_mov_b32 s14, -1
	s_mov_b32 s44, exec_lo
	v_cmpx_eq_u16_e32 0x80, v8
; %bb.6490:                             ;   in Loop: Header=BB6_6234 Depth=3
	s_xor_b32 s14, exec_lo, -1
; %bb.6491:                             ;   in Loop: Header=BB6_6234 Depth=3
	s_or_b32 exec_lo, exec_lo, s44
	s_delay_alu instid0(SALU_CYCLE_1)
	s_and_b32 s14, s14, exec_lo
                                        ; implicit-def: $vgpr8
	s_or_saveexec_b32 s15, s15
	v_bfrev_b32_e32 v0, 1
	s_xor_b32 exec_lo, exec_lo, s15
	s_cbranch_execnz .LBB6_6524
.LBB6_6492:                             ;   in Loop: Header=BB6_6234 Depth=3
	s_or_b32 exec_lo, exec_lo, s15
	s_and_saveexec_b32 s15, s14
	s_cbranch_execz .LBB6_6494
.LBB6_6493:                             ;   in Loop: Header=BB6_6234 Depth=3
	v_and_b32_e32 v12, 0x7f, v10
	v_bfe_u32 v8, v10, 3, 4
	s_delay_alu instid0(VALU_DEP_2) | instskip(SKIP_1) | instid1(VALU_DEP_1)
	v_cmp_gt_u32_e32 vcc_lo, 8, v12
	v_and_b32_e32 v0, 7, v10
	v_clz_i32_u32_e32 v0, v0
	s_delay_alu instid0(VALU_DEP_1) | instskip(NEXT) | instid1(VALU_DEP_1)
	v_min_u32_e32 v0, 32, v0
	v_subrev_nc_u32_e32 v9, 28, v0
	v_sub_nc_u32_e32 v0, 29, v0
	s_delay_alu instid0(VALU_DEP_1) | instskip(SKIP_1) | instid1(VALU_DEP_2)
	v_dual_cndmask_b32 v0, v8, v0, vcc_lo :: v_dual_cndmask_b32 v8, 0, v9, vcc_lo
	v_cmp_ne_u32_e32 vcc_lo, 0x7f, v12
	v_lshl_add_u32 v0, v0, 23, 0x3c000000
	s_delay_alu instid0(VALU_DEP_3) | instskip(SKIP_1) | instid1(VALU_DEP_1)
	v_lshlrev_b64_e32 v[8:9], v8, v[10:11]
	v_lshlrev_b32_e32 v9, 24, v10
	v_and_b32_e32 v9, 0x80000000, v9
	s_delay_alu instid0(VALU_DEP_3) | instskip(NEXT) | instid1(VALU_DEP_1)
	v_lshlrev_b32_e32 v8, 20, v8
	v_and_b32_e32 v8, 0x700000, v8
	s_delay_alu instid0(VALU_DEP_1) | instskip(NEXT) | instid1(VALU_DEP_1)
	v_or3_b32 v0, v8, v9, v0
	v_cndmask_b32_e32 v0, 0x7f800001, v0, vcc_lo
.LBB6_6494:                             ;   in Loop: Header=BB6_6234 Depth=3
	s_or_b32 exec_lo, exec_lo, s15
	s_delay_alu instid0(VALU_DEP_1) | instskip(SKIP_1) | instid1(VALU_DEP_1)
	v_add_f32_e32 v0, v2, v0
                                        ; implicit-def: $vgpr38
	s_mov_b32 s14, exec_lo
	v_and_b32_e32 v2, 0x7f800000, v0
	v_lshrrev_b32_e32 v8, 24, v0
	s_delay_alu instid0(VALU_DEP_2)
	v_cmpx_ne_u64_e32 0x7f800000, v[2:3]
	s_xor_b32 s15, exec_lo, s14
	s_cbranch_execz .LBB6_6508
; %bb.6495:                             ;   in Loop: Header=BB6_6234 Depth=3
	v_and_b32_e32 v2, 0x7fffffff, v0
	v_and_b32_e32 v24, 0x80, v8
                                        ; implicit-def: $vgpr38
	s_mov_b32 s14, exec_lo
	s_delay_alu instid0(VALU_DEP_2)
	v_cmpx_gt_u64_e32 0x43e00001, v[2:3]
	s_xor_b32 s44, exec_lo, s14
	s_cbranch_execz .LBB6_6505
; %bb.6496:                             ;   in Loop: Header=BB6_6234 Depth=3
	v_mov_b32_e32 v38, 0
	s_mov_b32 s45, exec_lo
	v_cmpx_ne_u32_e32 0, v0
	s_cbranch_execz .LBB6_6504
; %bb.6497:                             ;   in Loop: Header=BB6_6234 Depth=3
	v_bfe_u32 v25, v0, 23, 8
	v_and_b32_e32 v0, 0x7fffff, v0
	s_delay_alu instid0(VALU_DEP_2) | instskip(SKIP_1) | instid1(VALU_DEP_3)
	v_sub_nc_u32_e32 v2, 0x79, v25
	v_cmp_gt_u32_e32 vcc_lo, 0x7a, v25
	v_or_b32_e32 v12, 0x800000, v0
	s_delay_alu instid0(VALU_DEP_3) | instskip(SKIP_1) | instid1(VALU_DEP_2)
	v_cndmask_b32_e32 v2, 0, v2, vcc_lo
	v_cmp_eq_u32_e32 vcc_lo, 0, v25
	v_cndmask_b32_e64 v38, v2, 0x78, vcc_lo
	s_delay_alu instid0(VALU_DEP_1) | instskip(NEXT) | instid1(VALU_DEP_1)
	v_dual_add_nc_u32 v2, 20, v38 :: v_dual_add_nc_u32 v13, 19, v38
	v_lshlrev_b64_e64 v[8:9], v2, -1
	v_cndmask_b32_e32 v2, v12, v0, vcc_lo
	s_delay_alu instid0(VALU_DEP_3) | instskip(NEXT) | instid1(VALU_DEP_3)
	v_lshlrev_b64_e64 v[12:13], v13, 1
	v_bfi_b32 v49, v9, 0, 0
	s_delay_alu instid0(VALU_DEP_3) | instskip(SKIP_1) | instid1(VALU_DEP_2)
	v_bfi_b32 v48, v8, 0, v2
	v_lshrrev_b64 v[8:9], v38, v[2:3]
	v_cmp_eq_u64_e64 s14, v[48:49], v[12:13]
	s_delay_alu instid0(VALU_DEP_2)
	v_mov_b64_e32 v[12:13], v[8:9]
	s_and_saveexec_b32 s77, s14
; %bb.6498:                             ;   in Loop: Header=BB6_6234 Depth=3
	v_bfe_u32 v2, v8, 20, 1
	s_delay_alu instid0(VALU_DEP_1) | instskip(NEXT) | instid1(VALU_DEP_1)
	v_add_nc_u64_e32 v[12:13], v[8:9], v[2:3]
	v_add_nc_u64_e32 v[12:13], -1, v[12:13]
; %bb.6499:                             ;   in Loop: Header=BB6_6234 Depth=3
	s_or_b32 exec_lo, exec_lo, s77
	v_add_nc_u32_e32 v0, 0xffffff81, v25
	v_lshrrev_b32_e32 v2, 23, v8
	s_mov_b32 s14, exec_lo
	s_delay_alu instid0(VALU_DEP_2) | instskip(NEXT) | instid1(VALU_DEP_1)
	v_cndmask_b32_e64 v0, v0, 0xffffff82, vcc_lo
	v_add3_u32 v13, v38, v0, v2
	v_and_b32_e32 v0, 0xfffff, v12
	s_delay_alu instid0(VALU_DEP_1) | instskip(NEXT) | instid1(VALU_DEP_1)
	v_dual_add_nc_u32 v12, 6, v13 :: v_dual_add_nc_u32 v2, v0, v8
                                        ; implicit-def: $vgpr8_vgpr9
                                        ; implicit-def: $vgpr0
	v_cmpx_ne_u32_e32 0, v12
	s_xor_b32 s14, exec_lo, s14
; %bb.6500:                             ;   in Loop: Header=BB6_6234 Depth=3
	s_delay_alu instid0(VALU_DEP_2) | instskip(SKIP_2) | instid1(VALU_DEP_2)
	v_cmp_lt_u64_e32 vcc_lo, 0xffffff, v[2:3]
	v_add_nc_u32_e32 v0, 7, v13
	v_cndmask_b32_e64 v8, 0, 1, vcc_lo
	v_cndmask_b32_e32 v0, v12, v0, vcc_lo
	s_delay_alu instid0(VALU_DEP_2)
	v_lshrrev_b64 v[8:9], v8, v[2:3]
; %bb.6501:                             ;   in Loop: Header=BB6_6234 Depth=3
	s_and_not1_saveexec_b32 s14, s14
; %bb.6502:                             ;   in Loop: Header=BB6_6234 Depth=3
	v_mov_b64_e32 v[8:9], v[2:3]
	v_bfe_u32 v0, v2, 23, 1
; %bb.6503:                             ;   in Loop: Header=BB6_6234 Depth=3
	s_or_b32 exec_lo, exec_lo, s14
	s_delay_alu instid0(VALU_DEP_2) | instskip(NEXT) | instid1(VALU_DEP_2)
	v_lshrrev_b64 v[8:9], 20, v[8:9]
	v_cmp_gt_i32_e32 vcc_lo, 16, v0
	v_min_i32_e32 v2, 15, v0
	v_cmp_eq_u32_e64 s14, 0, v0
	s_delay_alu instid0(VALU_DEP_2) | instskip(SKIP_1) | instid1(VALU_DEP_2)
	v_dual_cndmask_b32 v9, 0, v9 :: v_dual_lshlrev_b32 v2, 3, v2
	v_cndmask_b32_e32 v8, 7, v8, vcc_lo
	v_and_b32_e32 v2, 0xf8, v2
	s_delay_alu instid0(VALU_DEP_2) | instskip(NEXT) | instid1(VALU_DEP_2)
	v_cmp_eq_u64_e32 vcc_lo, 0, v[8:9]
	v_and_or_b32 v0, v8, 7, v2
	s_and_b32 s14, s14, vcc_lo
	s_delay_alu instid0(VALU_DEP_1) | instid1(SALU_CYCLE_1)
	v_cndmask_b32_e64 v0, v0, 0, s14
	s_delay_alu instid0(VALU_DEP_1)
	v_or_b32_e32 v38, v0, v24
.LBB6_6504:                             ;   in Loop: Header=BB6_6234 Depth=3
	s_or_b32 exec_lo, exec_lo, s45
                                        ; implicit-def: $vgpr24
.LBB6_6505:                             ;   in Loop: Header=BB6_6234 Depth=3
	s_and_not1_saveexec_b32 s14, s44
; %bb.6506:                             ;   in Loop: Header=BB6_6234 Depth=3
	v_or_b32_e32 v38, 0x7e, v24
; %bb.6507:                             ;   in Loop: Header=BB6_6234 Depth=3
	s_or_b32 exec_lo, exec_lo, s14
                                        ; implicit-def: $vgpr8
.LBB6_6508:                             ;   in Loop: Header=BB6_6234 Depth=3
	s_and_not1_saveexec_b32 s14, s15
; %bb.6509:                             ;   in Loop: Header=BB6_6234 Depth=3
	v_or_b32_e32 v38, 0x7f, v8
; %bb.6510:                             ;   in Loop: Header=BB6_6234 Depth=3
	s_or_b32 exec_lo, exec_lo, s14
	v_lshrrev_b16 v0, 8, v14
	v_mov_b32_e32 v8, 0
	s_mov_b32 s14, exec_lo
	s_delay_alu instid0(VALU_DEP_2)
	v_cmpx_ne_u16_e32 0, v0
	s_cbranch_execz .LBB6_6518
; %bb.6511:                             ;   in Loop: Header=BB6_6234 Depth=3
	v_bfrev_b32_e32 v8, 1
	s_mov_b32 s15, exec_lo
	v_cmpx_ne_u16_e32 0x80, v0
	s_cbranch_execz .LBB6_6517
; %bb.6512:                             ;   in Loop: Header=BB6_6234 Depth=3
	v_and_b32_e32 v0, 0xffff, v0
	v_mov_b32_e32 v8, 0x7f800001
	s_mov_b32 s44, exec_lo
	s_delay_alu instid0(VALU_DEP_2) | instskip(NEXT) | instid1(VALU_DEP_1)
	v_and_b32_e32 v9, 0x7f, v0
	v_cmpx_ne_u32_e32 0x7f, v9
	s_cbranch_execz .LBB6_6516
; %bb.6513:                             ;   in Loop: Header=BB6_6234 Depth=3
	v_dual_lshrrev_b32 v0, 3, v9 :: v_dual_bitop2_b32 v2, 7, v0 bitop3:0x40
	v_cmp_gt_u32_e32 vcc_lo, 8, v9
	s_delay_alu instid0(VALU_DEP_2)
	v_mov_b64_e32 v[8:9], v[2:3]
	s_and_saveexec_b32 s45, vcc_lo
; %bb.6514:                             ;   in Loop: Header=BB6_6234 Depth=3
	v_clz_i32_u32_e32 v0, v2
	s_delay_alu instid0(VALU_DEP_1) | instskip(NEXT) | instid1(VALU_DEP_1)
	v_min_u32_e32 v0, 32, v0
	v_subrev_nc_u32_e32 v8, 28, v0
	v_sub_nc_u32_e32 v0, 29, v0
	s_delay_alu instid0(VALU_DEP_2) | instskip(NEXT) | instid1(VALU_DEP_1)
	v_lshlrev_b64_e32 v[8:9], v8, v[2:3]
	v_and_b32_e32 v8, 7, v8
; %bb.6515:                             ;   in Loop: Header=BB6_6234 Depth=3
	s_or_b32 exec_lo, exec_lo, s45
	s_delay_alu instid0(VALU_DEP_1) | instskip(SKIP_1) | instid1(VALU_DEP_2)
	v_dual_lshlrev_b32 v2, 16, v14 :: v_dual_lshlrev_b32 v8, 20, v8
	v_lshl_add_u32 v0, v0, 23, 0x3c000000
	v_and_b32_e32 v2, 0x80000000, v2
	s_delay_alu instid0(VALU_DEP_1)
	v_or3_b32 v8, v8, v2, v0
.LBB6_6516:                             ;   in Loop: Header=BB6_6234 Depth=3
	s_or_b32 exec_lo, exec_lo, s44
.LBB6_6517:                             ;   in Loop: Header=BB6_6234 Depth=3
	s_delay_alu instid0(SALU_CYCLE_1)
	s_or_b32 exec_lo, exec_lo, s15
.LBB6_6518:                             ;   in Loop: Header=BB6_6234 Depth=3
	s_delay_alu instid0(SALU_CYCLE_1) | instskip(SKIP_3) | instid1(VALU_DEP_1)
	s_or_b32 exec_lo, exec_lo, s14
	v_lshrrev_b16 v9, 8, v10
	s_mov_b32 s15, 0
	s_mov_b32 s14, exec_lo
	v_cmpx_lt_i16_e32 0x7f, v9
	s_xor_b32 s14, exec_lo, s14
	s_cbranch_execz .LBB6_6525
; %bb.6519:                             ;   in Loop: Header=BB6_6234 Depth=3
	s_mov_b32 s15, -1
	s_mov_b32 s44, exec_lo
	v_cmpx_eq_u16_e32 0x80, v9
; %bb.6520:                             ;   in Loop: Header=BB6_6234 Depth=3
	s_xor_b32 s15, exec_lo, -1
; %bb.6521:                             ;   in Loop: Header=BB6_6234 Depth=3
	s_or_b32 exec_lo, exec_lo, s44
	s_delay_alu instid0(SALU_CYCLE_1)
	s_and_b32 s15, s15, exec_lo
	s_or_saveexec_b32 s14, s14
	v_bfrev_b32_e32 v0, 1
	s_xor_b32 exec_lo, exec_lo, s14
	s_cbranch_execnz .LBB6_6526
.LBB6_6522:                             ;   in Loop: Header=BB6_6234 Depth=3
	s_or_b32 exec_lo, exec_lo, s14
	s_and_saveexec_b32 s14, s15
	s_cbranch_execnz .LBB6_6527
	s_branch .LBB6_6530
.LBB6_6523:                             ;   in Loop: Header=BB6_6234 Depth=3
	s_or_saveexec_b32 s15, s15
	v_bfrev_b32_e32 v0, 1
	s_xor_b32 exec_lo, exec_lo, s15
	s_cbranch_execz .LBB6_6492
.LBB6_6524:                             ;   in Loop: Header=BB6_6234 Depth=3
	v_cmp_ne_u16_e32 vcc_lo, 0, v8
	v_mov_b32_e32 v0, 0
	s_and_not1_b32 s14, s14, exec_lo
	s_and_b32 s44, vcc_lo, exec_lo
	s_delay_alu instid0(SALU_CYCLE_1)
	s_or_b32 s14, s14, s44
	s_or_b32 exec_lo, exec_lo, s15
	s_and_saveexec_b32 s15, s14
	s_cbranch_execnz .LBB6_6493
	s_branch .LBB6_6494
.LBB6_6525:                             ;   in Loop: Header=BB6_6234 Depth=3
	s_or_saveexec_b32 s14, s14
	v_bfrev_b32_e32 v0, 1
	s_xor_b32 exec_lo, exec_lo, s14
	s_cbranch_execz .LBB6_6522
.LBB6_6526:                             ;   in Loop: Header=BB6_6234 Depth=3
	v_cmp_ne_u16_e32 vcc_lo, 0, v9
	v_mov_b32_e32 v0, 0
	s_and_not1_b32 s15, s15, exec_lo
	s_and_b32 s44, vcc_lo, exec_lo
	s_delay_alu instid0(SALU_CYCLE_1)
	s_or_b32 s15, s15, s44
	s_or_b32 exec_lo, exec_lo, s14
	s_and_saveexec_b32 s14, s15
	s_cbranch_execz .LBB6_6530
.LBB6_6527:                             ;   in Loop: Header=BB6_6234 Depth=3
	v_and_b32_e32 v2, 0xffff, v9
	v_mov_b32_e32 v0, 0x7f800001
	s_mov_b32 s15, exec_lo
	s_delay_alu instid0(VALU_DEP_2) | instskip(NEXT) | instid1(VALU_DEP_1)
	v_and_b32_e32 v12, 0x7f, v2
	v_cmpx_ne_u32_e32 0x7f, v12
	s_cbranch_execz .LBB6_6529
; %bb.6528:                             ;   in Loop: Header=BB6_6234 Depth=3
	v_and_b32_e32 v0, 7, v2
	v_cmp_gt_u32_e32 vcc_lo, 8, v12
	s_delay_alu instid0(VALU_DEP_2) | instskip(NEXT) | instid1(VALU_DEP_1)
	v_clz_i32_u32_e32 v13, v0
	v_min_u32_e32 v13, 32, v13
	s_delay_alu instid0(VALU_DEP_1) | instskip(NEXT) | instid1(VALU_DEP_1)
	v_subrev_nc_u32_e32 v24, 28, v13
	v_lshlrev_b64_e32 v[24:25], v24, v[2:3]
	v_dual_lshrrev_b32 v2, 3, v12 :: v_dual_sub_nc_u32 v13, 29, v13
	s_delay_alu instid0(VALU_DEP_2) | instskip(NEXT) | instid1(VALU_DEP_1)
	v_dual_lshlrev_b32 v9, 24, v9 :: v_dual_bitop2_b32 v12, 7, v24 bitop3:0x40
	v_dual_cndmask_b32 v0, v0, v12, vcc_lo :: v_dual_cndmask_b32 v2, v2, v13, vcc_lo
	s_delay_alu instid0(VALU_DEP_2) | instskip(NEXT) | instid1(VALU_DEP_2)
	v_and_b32_e32 v9, 0x80000000, v9
	v_lshlrev_b32_e32 v0, 20, v0
	s_delay_alu instid0(VALU_DEP_3) | instskip(NEXT) | instid1(VALU_DEP_1)
	v_lshl_add_u32 v2, v2, 23, 0x3c000000
	v_or3_b32 v0, v0, v9, v2
.LBB6_6529:                             ;   in Loop: Header=BB6_6234 Depth=3
	s_or_b32 exec_lo, exec_lo, s15
.LBB6_6530:                             ;   in Loop: Header=BB6_6234 Depth=3
	s_delay_alu instid0(SALU_CYCLE_1) | instskip(NEXT) | instid1(VALU_DEP_1)
	s_or_b32 exec_lo, exec_lo, s14
	v_add_f32_e32 v0, v8, v0
                                        ; implicit-def: $vgpr39
	s_mov_b32 s14, exec_lo
	s_delay_alu instid0(VALU_DEP_1) | instskip(SKIP_1) | instid1(VALU_DEP_2)
	v_and_b32_e32 v2, 0x7f800000, v0
	v_lshrrev_b32_e32 v8, 24, v0
	v_cmpx_ne_u64_e32 0x7f800000, v[2:3]
	s_xor_b32 s15, exec_lo, s14
	s_cbranch_execz .LBB6_6544
; %bb.6531:                             ;   in Loop: Header=BB6_6234 Depth=3
	v_and_b32_e32 v2, 0x7fffffff, v0
	v_and_b32_e32 v24, 0x80, v8
                                        ; implicit-def: $vgpr39
	s_mov_b32 s14, exec_lo
	s_delay_alu instid0(VALU_DEP_2)
	v_cmpx_gt_u64_e32 0x43e00001, v[2:3]
	s_xor_b32 s44, exec_lo, s14
	s_cbranch_execz .LBB6_6541
; %bb.6532:                             ;   in Loop: Header=BB6_6234 Depth=3
	v_mov_b32_e32 v39, 0
	s_mov_b32 s45, exec_lo
	v_cmpx_ne_u32_e32 0, v0
	s_cbranch_execz .LBB6_6540
; %bb.6533:                             ;   in Loop: Header=BB6_6234 Depth=3
	v_bfe_u32 v25, v0, 23, 8
	v_and_b32_e32 v0, 0x7fffff, v0
	s_delay_alu instid0(VALU_DEP_2) | instskip(SKIP_1) | instid1(VALU_DEP_3)
	v_sub_nc_u32_e32 v2, 0x79, v25
	v_cmp_gt_u32_e32 vcc_lo, 0x7a, v25
	v_or_b32_e32 v12, 0x800000, v0
	s_delay_alu instid0(VALU_DEP_3) | instskip(SKIP_1) | instid1(VALU_DEP_2)
	v_cndmask_b32_e32 v2, 0, v2, vcc_lo
	v_cmp_eq_u32_e32 vcc_lo, 0, v25
	v_cndmask_b32_e64 v39, v2, 0x78, vcc_lo
	s_delay_alu instid0(VALU_DEP_1) | instskip(NEXT) | instid1(VALU_DEP_1)
	v_dual_add_nc_u32 v2, 20, v39 :: v_dual_add_nc_u32 v13, 19, v39
	v_lshlrev_b64_e64 v[8:9], v2, -1
	v_cndmask_b32_e32 v2, v12, v0, vcc_lo
	s_delay_alu instid0(VALU_DEP_3) | instskip(NEXT) | instid1(VALU_DEP_3)
	v_lshlrev_b64_e64 v[12:13], v13, 1
	v_bfi_b32 v49, v9, 0, 0
	s_delay_alu instid0(VALU_DEP_3) | instskip(SKIP_1) | instid1(VALU_DEP_2)
	v_bfi_b32 v48, v8, 0, v2
	v_lshrrev_b64 v[8:9], v39, v[2:3]
	v_cmp_eq_u64_e64 s14, v[48:49], v[12:13]
	s_delay_alu instid0(VALU_DEP_2)
	v_mov_b64_e32 v[12:13], v[8:9]
	s_and_saveexec_b32 s77, s14
; %bb.6534:                             ;   in Loop: Header=BB6_6234 Depth=3
	v_bfe_u32 v2, v8, 20, 1
	s_delay_alu instid0(VALU_DEP_1) | instskip(NEXT) | instid1(VALU_DEP_1)
	v_add_nc_u64_e32 v[12:13], v[8:9], v[2:3]
	v_add_nc_u64_e32 v[12:13], -1, v[12:13]
; %bb.6535:                             ;   in Loop: Header=BB6_6234 Depth=3
	s_or_b32 exec_lo, exec_lo, s77
	v_add_nc_u32_e32 v0, 0xffffff81, v25
	v_lshrrev_b32_e32 v2, 23, v8
	s_mov_b32 s14, exec_lo
	s_delay_alu instid0(VALU_DEP_2) | instskip(NEXT) | instid1(VALU_DEP_1)
	v_cndmask_b32_e64 v0, v0, 0xffffff82, vcc_lo
	v_add3_u32 v13, v39, v0, v2
	v_and_b32_e32 v0, 0xfffff, v12
	s_delay_alu instid0(VALU_DEP_1) | instskip(NEXT) | instid1(VALU_DEP_1)
	v_dual_add_nc_u32 v12, 6, v13 :: v_dual_add_nc_u32 v2, v0, v8
                                        ; implicit-def: $vgpr8_vgpr9
                                        ; implicit-def: $vgpr0
	v_cmpx_ne_u32_e32 0, v12
	s_xor_b32 s14, exec_lo, s14
; %bb.6536:                             ;   in Loop: Header=BB6_6234 Depth=3
	s_delay_alu instid0(VALU_DEP_2) | instskip(SKIP_2) | instid1(VALU_DEP_2)
	v_cmp_lt_u64_e32 vcc_lo, 0xffffff, v[2:3]
	v_add_nc_u32_e32 v0, 7, v13
	v_cndmask_b32_e64 v8, 0, 1, vcc_lo
	v_cndmask_b32_e32 v0, v12, v0, vcc_lo
	s_delay_alu instid0(VALU_DEP_2)
	v_lshrrev_b64 v[8:9], v8, v[2:3]
; %bb.6537:                             ;   in Loop: Header=BB6_6234 Depth=3
	s_and_not1_saveexec_b32 s14, s14
; %bb.6538:                             ;   in Loop: Header=BB6_6234 Depth=3
	v_mov_b64_e32 v[8:9], v[2:3]
	v_bfe_u32 v0, v2, 23, 1
; %bb.6539:                             ;   in Loop: Header=BB6_6234 Depth=3
	s_or_b32 exec_lo, exec_lo, s14
	s_delay_alu instid0(VALU_DEP_2) | instskip(NEXT) | instid1(VALU_DEP_2)
	v_lshrrev_b64 v[8:9], 20, v[8:9]
	v_cmp_gt_i32_e32 vcc_lo, 16, v0
	v_min_i32_e32 v2, 15, v0
	v_cmp_eq_u32_e64 s14, 0, v0
	s_delay_alu instid0(VALU_DEP_2) | instskip(SKIP_1) | instid1(VALU_DEP_2)
	v_dual_cndmask_b32 v9, 0, v9 :: v_dual_lshlrev_b32 v2, 3, v2
	v_cndmask_b32_e32 v8, 7, v8, vcc_lo
	v_and_b32_e32 v2, 0xf8, v2
	s_delay_alu instid0(VALU_DEP_2) | instskip(NEXT) | instid1(VALU_DEP_2)
	v_cmp_eq_u64_e32 vcc_lo, 0, v[8:9]
	v_and_or_b32 v0, v8, 7, v2
	s_and_b32 s14, s14, vcc_lo
	s_delay_alu instid0(VALU_DEP_1) | instid1(SALU_CYCLE_1)
	v_cndmask_b32_e64 v0, v0, 0, s14
	s_delay_alu instid0(VALU_DEP_1)
	v_or_b32_e32 v39, v0, v24
.LBB6_6540:                             ;   in Loop: Header=BB6_6234 Depth=3
	s_or_b32 exec_lo, exec_lo, s45
                                        ; implicit-def: $vgpr24
.LBB6_6541:                             ;   in Loop: Header=BB6_6234 Depth=3
	s_and_not1_saveexec_b32 s14, s44
; %bb.6542:                             ;   in Loop: Header=BB6_6234 Depth=3
	v_or_b32_e32 v39, 0x7e, v24
; %bb.6543:                             ;   in Loop: Header=BB6_6234 Depth=3
	s_or_b32 exec_lo, exec_lo, s14
                                        ; implicit-def: $vgpr8
.LBB6_6544:                             ;   in Loop: Header=BB6_6234 Depth=3
	s_and_not1_saveexec_b32 s14, s15
; %bb.6545:                             ;   in Loop: Header=BB6_6234 Depth=3
	v_or_b32_e32 v39, 0x7f, v8
; %bb.6546:                             ;   in Loop: Header=BB6_6234 Depth=3
	s_or_b32 exec_lo, exec_lo, s14
	v_dual_lshrrev_b32 v0, 16, v14 :: v_dual_mov_b32 v8, 0
	s_mov_b32 s14, exec_lo
	s_delay_alu instid0(VALU_DEP_1) | instskip(NEXT) | instid1(VALU_DEP_1)
	v_and_b32_e32 v2, 0xff, v0
	v_cmpx_ne_u16_e32 0, v2
	s_cbranch_execz .LBB6_6554
; %bb.6547:                             ;   in Loop: Header=BB6_6234 Depth=3
	v_bfrev_b32_e32 v8, 1
	s_mov_b32 s15, exec_lo
	v_cmpx_ne_u16_e32 0x80, v2
	s_cbranch_execz .LBB6_6553
; %bb.6548:                             ;   in Loop: Header=BB6_6234 Depth=3
	v_bfe_u32 v9, v14, 16, 7
	v_mov_b32_e32 v8, 0x7f800001
	s_mov_b32 s44, exec_lo
	s_delay_alu instid0(VALU_DEP_2)
	v_cmpx_ne_u32_e32 0x7f, v9
	s_cbranch_execz .LBB6_6552
; %bb.6549:                             ;   in Loop: Header=BB6_6234 Depth=3
	v_dual_lshrrev_b32 v12, 3, v9 :: v_dual_bitop2_b32 v2, 7, v0 bitop3:0x40
	v_cmp_gt_u32_e32 vcc_lo, 8, v9
	s_delay_alu instid0(VALU_DEP_2)
	v_mov_b64_e32 v[8:9], v[2:3]
	s_and_saveexec_b32 s45, vcc_lo
; %bb.6550:                             ;   in Loop: Header=BB6_6234 Depth=3
	v_clz_i32_u32_e32 v8, v2
	s_delay_alu instid0(VALU_DEP_1) | instskip(NEXT) | instid1(VALU_DEP_1)
	v_min_u32_e32 v12, 32, v8
	v_subrev_nc_u32_e32 v8, 28, v12
	v_sub_nc_u32_e32 v12, 29, v12
	s_delay_alu instid0(VALU_DEP_2) | instskip(NEXT) | instid1(VALU_DEP_1)
	v_lshlrev_b64_e32 v[8:9], v8, v[2:3]
	v_and_b32_e32 v8, 7, v8
; %bb.6551:                             ;   in Loop: Header=BB6_6234 Depth=3
	s_or_b32 exec_lo, exec_lo, s45
	v_lshlrev_b32_e32 v0, 24, v0
	s_delay_alu instid0(VALU_DEP_2) | instskip(SKIP_1) | instid1(VALU_DEP_3)
	v_lshlrev_b32_e32 v2, 20, v8
	v_lshl_add_u32 v8, v12, 23, 0x3c000000
	v_and_b32_e32 v0, 0x80000000, v0
	s_delay_alu instid0(VALU_DEP_1)
	v_or3_b32 v8, v2, v0, v8
.LBB6_6552:                             ;   in Loop: Header=BB6_6234 Depth=3
	s_or_b32 exec_lo, exec_lo, s44
.LBB6_6553:                             ;   in Loop: Header=BB6_6234 Depth=3
	s_delay_alu instid0(SALU_CYCLE_1)
	s_or_b32 exec_lo, exec_lo, s15
.LBB6_6554:                             ;   in Loop: Header=BB6_6234 Depth=3
	s_delay_alu instid0(SALU_CYCLE_1) | instskip(SKIP_3) | instid1(VALU_DEP_1)
	s_or_b32 exec_lo, exec_lo, s14
	v_lshrrev_b32_e32 v2, 16, v10
	s_mov_b32 s15, 0
	s_mov_b32 s14, exec_lo
	v_and_b32_e32 v9, 0xff, v2
	s_delay_alu instid0(VALU_DEP_1)
	v_cmpx_lt_i16_e32 0x7f, v9
	s_xor_b32 s14, exec_lo, s14
	s_cbranch_execz .LBB6_6559
; %bb.6555:                             ;   in Loop: Header=BB6_6234 Depth=3
	s_mov_b32 s15, -1
	s_mov_b32 s44, exec_lo
	v_cmpx_eq_u16_e32 0x80, v9
; %bb.6556:                             ;   in Loop: Header=BB6_6234 Depth=3
	s_xor_b32 s15, exec_lo, -1
; %bb.6557:                             ;   in Loop: Header=BB6_6234 Depth=3
	s_or_b32 exec_lo, exec_lo, s44
	s_delay_alu instid0(SALU_CYCLE_1)
	s_and_b32 s15, s15, exec_lo
                                        ; implicit-def: $vgpr9
	s_or_saveexec_b32 s14, s14
	v_bfrev_b32_e32 v0, 1
	s_xor_b32 exec_lo, exec_lo, s14
	s_cbranch_execnz .LBB6_6560
.LBB6_6558:                             ;   in Loop: Header=BB6_6234 Depth=3
	s_or_b32 exec_lo, exec_lo, s14
	s_and_saveexec_b32 s14, s15
	s_cbranch_execnz .LBB6_6561
	s_branch .LBB6_6564
.LBB6_6559:                             ;   in Loop: Header=BB6_6234 Depth=3
	s_or_saveexec_b32 s14, s14
	v_bfrev_b32_e32 v0, 1
	s_xor_b32 exec_lo, exec_lo, s14
	s_cbranch_execz .LBB6_6558
.LBB6_6560:                             ;   in Loop: Header=BB6_6234 Depth=3
	v_cmp_ne_u16_e32 vcc_lo, 0, v9
	v_mov_b32_e32 v0, 0
	s_and_not1_b32 s15, s15, exec_lo
	s_and_b32 s44, vcc_lo, exec_lo
	s_delay_alu instid0(SALU_CYCLE_1)
	s_or_b32 s15, s15, s44
	s_or_b32 exec_lo, exec_lo, s14
	s_and_saveexec_b32 s14, s15
	s_cbranch_execz .LBB6_6564
.LBB6_6561:                             ;   in Loop: Header=BB6_6234 Depth=3
	v_and_b32_e32 v9, 0x7f, v2
	v_mov_b32_e32 v0, 0x7f800001
	s_mov_b32 s15, exec_lo
	s_delay_alu instid0(VALU_DEP_2)
	v_cmpx_ne_u32_e32 0x7f, v9
	s_cbranch_execz .LBB6_6563
; %bb.6562:                             ;   in Loop: Header=BB6_6234 Depth=3
	v_and_b32_e32 v0, 7, v2
	v_cmp_gt_u32_e32 vcc_lo, 8, v9
	s_delay_alu instid0(VALU_DEP_2) | instskip(NEXT) | instid1(VALU_DEP_1)
	v_clz_i32_u32_e32 v12, v0
	v_min_u32_e32 v24, 32, v12
	s_delay_alu instid0(VALU_DEP_1) | instskip(SKIP_1) | instid1(VALU_DEP_2)
	v_subrev_nc_u32_e32 v12, 28, v24
	v_sub_nc_u32_e32 v24, 29, v24
	v_lshlrev_b64_e32 v[12:13], v12, v[2:3]
	v_dual_lshrrev_b32 v13, 3, v9 :: v_dual_lshlrev_b32 v2, 24, v2
	s_delay_alu instid0(VALU_DEP_1) | instskip(NEXT) | instid1(VALU_DEP_3)
	v_and_b32_e32 v2, 0x80000000, v2
	v_and_b32_e32 v9, 7, v12
	s_delay_alu instid0(VALU_DEP_1) | instskip(NEXT) | instid1(VALU_DEP_1)
	v_dual_cndmask_b32 v12, v13, v24, vcc_lo :: v_dual_cndmask_b32 v0, v0, v9, vcc_lo
	v_lshl_add_u32 v9, v12, 23, 0x3c000000
	s_delay_alu instid0(VALU_DEP_2) | instskip(NEXT) | instid1(VALU_DEP_1)
	v_lshlrev_b32_e32 v0, 20, v0
	v_or3_b32 v0, v0, v2, v9
.LBB6_6563:                             ;   in Loop: Header=BB6_6234 Depth=3
	s_or_b32 exec_lo, exec_lo, s15
.LBB6_6564:                             ;   in Loop: Header=BB6_6234 Depth=3
	s_delay_alu instid0(SALU_CYCLE_1) | instskip(NEXT) | instid1(VALU_DEP_1)
	s_or_b32 exec_lo, exec_lo, s14
	v_add_f32_e32 v0, v8, v0
                                        ; implicit-def: $vgpr48
	s_mov_b32 s14, exec_lo
	s_delay_alu instid0(VALU_DEP_1) | instskip(SKIP_1) | instid1(VALU_DEP_2)
	v_and_b32_e32 v2, 0x7f800000, v0
	v_lshrrev_b32_e32 v8, 24, v0
	v_cmpx_ne_u64_e32 0x7f800000, v[2:3]
	s_xor_b32 s15, exec_lo, s14
	s_cbranch_execz .LBB6_6578
; %bb.6565:                             ;   in Loop: Header=BB6_6234 Depth=3
	v_and_b32_e32 v2, 0x7fffffff, v0
	v_and_b32_e32 v24, 0x80, v8
                                        ; implicit-def: $vgpr48
	s_mov_b32 s14, exec_lo
	s_delay_alu instid0(VALU_DEP_2)
	v_cmpx_gt_u64_e32 0x43e00001, v[2:3]
	s_xor_b32 s44, exec_lo, s14
	s_cbranch_execz .LBB6_6575
; %bb.6566:                             ;   in Loop: Header=BB6_6234 Depth=3
	v_mov_b32_e32 v48, 0
	s_mov_b32 s45, exec_lo
	v_cmpx_ne_u32_e32 0, v0
	s_cbranch_execz .LBB6_6574
; %bb.6567:                             ;   in Loop: Header=BB6_6234 Depth=3
	v_bfe_u32 v25, v0, 23, 8
	v_and_b32_e32 v0, 0x7fffff, v0
	s_delay_alu instid0(VALU_DEP_2) | instskip(SKIP_1) | instid1(VALU_DEP_3)
	v_sub_nc_u32_e32 v2, 0x79, v25
	v_cmp_gt_u32_e32 vcc_lo, 0x7a, v25
	v_or_b32_e32 v12, 0x800000, v0
	s_delay_alu instid0(VALU_DEP_3) | instskip(SKIP_1) | instid1(VALU_DEP_2)
	v_cndmask_b32_e32 v2, 0, v2, vcc_lo
	v_cmp_eq_u32_e32 vcc_lo, 0, v25
	v_cndmask_b32_e64 v48, v2, 0x78, vcc_lo
	s_delay_alu instid0(VALU_DEP_1) | instskip(NEXT) | instid1(VALU_DEP_1)
	v_dual_add_nc_u32 v2, 20, v48 :: v_dual_add_nc_u32 v13, 19, v48
	v_lshlrev_b64_e64 v[8:9], v2, -1
	v_cndmask_b32_e32 v2, v12, v0, vcc_lo
	s_delay_alu instid0(VALU_DEP_3) | instskip(NEXT) | instid1(VALU_DEP_3)
	v_lshlrev_b64_e64 v[12:13], v13, 1
	v_bfi_b32 v51, v9, 0, 0
	s_delay_alu instid0(VALU_DEP_3) | instskip(SKIP_1) | instid1(VALU_DEP_2)
	v_bfi_b32 v50, v8, 0, v2
	v_lshrrev_b64 v[8:9], v48, v[2:3]
	v_cmp_eq_u64_e64 s14, v[50:51], v[12:13]
	s_delay_alu instid0(VALU_DEP_2)
	v_mov_b64_e32 v[12:13], v[8:9]
	s_and_saveexec_b32 s77, s14
; %bb.6568:                             ;   in Loop: Header=BB6_6234 Depth=3
	v_bfe_u32 v2, v8, 20, 1
	s_delay_alu instid0(VALU_DEP_1) | instskip(NEXT) | instid1(VALU_DEP_1)
	v_add_nc_u64_e32 v[12:13], v[8:9], v[2:3]
	v_add_nc_u64_e32 v[12:13], -1, v[12:13]
; %bb.6569:                             ;   in Loop: Header=BB6_6234 Depth=3
	s_or_b32 exec_lo, exec_lo, s77
	v_add_nc_u32_e32 v0, 0xffffff81, v25
	v_lshrrev_b32_e32 v2, 23, v8
	s_mov_b32 s14, exec_lo
	s_delay_alu instid0(VALU_DEP_2) | instskip(NEXT) | instid1(VALU_DEP_1)
	v_cndmask_b32_e64 v0, v0, 0xffffff82, vcc_lo
	v_add3_u32 v13, v48, v0, v2
	v_and_b32_e32 v0, 0xfffff, v12
	s_delay_alu instid0(VALU_DEP_1) | instskip(NEXT) | instid1(VALU_DEP_1)
	v_dual_add_nc_u32 v12, 6, v13 :: v_dual_add_nc_u32 v2, v0, v8
                                        ; implicit-def: $vgpr8_vgpr9
                                        ; implicit-def: $vgpr0
	v_cmpx_ne_u32_e32 0, v12
	s_xor_b32 s14, exec_lo, s14
; %bb.6570:                             ;   in Loop: Header=BB6_6234 Depth=3
	s_delay_alu instid0(VALU_DEP_2) | instskip(SKIP_2) | instid1(VALU_DEP_2)
	v_cmp_lt_u64_e32 vcc_lo, 0xffffff, v[2:3]
	v_add_nc_u32_e32 v0, 7, v13
	v_cndmask_b32_e64 v8, 0, 1, vcc_lo
	v_cndmask_b32_e32 v0, v12, v0, vcc_lo
	s_delay_alu instid0(VALU_DEP_2)
	v_lshrrev_b64 v[8:9], v8, v[2:3]
; %bb.6571:                             ;   in Loop: Header=BB6_6234 Depth=3
	s_and_not1_saveexec_b32 s14, s14
; %bb.6572:                             ;   in Loop: Header=BB6_6234 Depth=3
	v_mov_b64_e32 v[8:9], v[2:3]
	v_bfe_u32 v0, v2, 23, 1
; %bb.6573:                             ;   in Loop: Header=BB6_6234 Depth=3
	s_or_b32 exec_lo, exec_lo, s14
	s_delay_alu instid0(VALU_DEP_2) | instskip(NEXT) | instid1(VALU_DEP_2)
	v_lshrrev_b64 v[8:9], 20, v[8:9]
	v_cmp_gt_i32_e32 vcc_lo, 16, v0
	v_min_i32_e32 v2, 15, v0
	v_cmp_eq_u32_e64 s14, 0, v0
	s_delay_alu instid0(VALU_DEP_2) | instskip(SKIP_1) | instid1(VALU_DEP_2)
	v_dual_cndmask_b32 v9, 0, v9 :: v_dual_lshlrev_b32 v2, 3, v2
	v_cndmask_b32_e32 v8, 7, v8, vcc_lo
	v_and_b32_e32 v2, 0xf8, v2
	s_delay_alu instid0(VALU_DEP_2) | instskip(NEXT) | instid1(VALU_DEP_2)
	v_cmp_eq_u64_e32 vcc_lo, 0, v[8:9]
	v_and_or_b32 v0, v8, 7, v2
	s_and_b32 s14, s14, vcc_lo
	s_delay_alu instid0(VALU_DEP_1) | instid1(SALU_CYCLE_1)
	v_cndmask_b32_e64 v0, v0, 0, s14
	s_delay_alu instid0(VALU_DEP_1)
	v_or_b32_e32 v48, v0, v24
.LBB6_6574:                             ;   in Loop: Header=BB6_6234 Depth=3
	s_or_b32 exec_lo, exec_lo, s45
                                        ; implicit-def: $vgpr24
.LBB6_6575:                             ;   in Loop: Header=BB6_6234 Depth=3
	s_and_not1_saveexec_b32 s14, s44
; %bb.6576:                             ;   in Loop: Header=BB6_6234 Depth=3
	v_or_b32_e32 v48, 0x7e, v24
; %bb.6577:                             ;   in Loop: Header=BB6_6234 Depth=3
	s_or_b32 exec_lo, exec_lo, s14
                                        ; implicit-def: $vgpr8
.LBB6_6578:                             ;   in Loop: Header=BB6_6234 Depth=3
	s_and_not1_saveexec_b32 s14, s15
; %bb.6579:                             ;   in Loop: Header=BB6_6234 Depth=3
	v_or_b32_e32 v48, 0x7f, v8
; %bb.6580:                             ;   in Loop: Header=BB6_6234 Depth=3
	s_or_b32 exec_lo, exec_lo, s14
	v_mov_b32_e32 v0, 0
	s_mov_b32 s14, exec_lo
	v_cmpx_lt_u32_e32 0xffffff, v14
	s_cbranch_execz .LBB6_6588
; %bb.6581:                             ;   in Loop: Header=BB6_6234 Depth=3
	v_lshrrev_b32_e32 v12, 24, v14
	v_bfrev_b32_e32 v0, 1
	s_mov_b32 s15, exec_lo
	s_delay_alu instid0(VALU_DEP_2)
	v_cmpx_ne_u32_e32 0x80, v12
	s_cbranch_execz .LBB6_6587
; %bb.6582:                             ;   in Loop: Header=BB6_6234 Depth=3
	v_bfe_u32 v8, v14, 24, 7
	v_mov_b32_e32 v0, 0x7f800001
	s_mov_b32 s44, exec_lo
	s_delay_alu instid0(VALU_DEP_2)
	v_cmpx_ne_u32_e32 0x7f, v8
	s_cbranch_execz .LBB6_6586
; %bb.6583:                             ;   in Loop: Header=BB6_6234 Depth=3
	v_and_b32_e32 v2, 7, v12
	v_lshrrev_b32_e32 v0, 3, v8
	v_cmp_gt_u32_e32 vcc_lo, 8, v8
	s_delay_alu instid0(VALU_DEP_3)
	v_mov_b64_e32 v[8:9], v[2:3]
	s_and_saveexec_b32 s45, vcc_lo
; %bb.6584:                             ;   in Loop: Header=BB6_6234 Depth=3
	v_clz_i32_u32_e32 v0, v2
	s_delay_alu instid0(VALU_DEP_1) | instskip(NEXT) | instid1(VALU_DEP_1)
	v_min_u32_e32 v0, 32, v0
	v_subrev_nc_u32_e32 v8, 28, v0
	v_sub_nc_u32_e32 v0, 29, v0
	s_delay_alu instid0(VALU_DEP_2) | instskip(NEXT) | instid1(VALU_DEP_1)
	v_lshlrev_b64_e32 v[8:9], v8, v[2:3]
	v_and_b32_e32 v8, 7, v8
; %bb.6585:                             ;   in Loop: Header=BB6_6234 Depth=3
	s_or_b32 exec_lo, exec_lo, s45
	v_lshlrev_b32_e32 v2, 24, v12
	s_delay_alu instid0(VALU_DEP_2) | instskip(SKIP_1) | instid1(VALU_DEP_3)
	v_lshlrev_b32_e32 v8, 20, v8
	v_lshl_add_u32 v0, v0, 23, 0x3c000000
	v_and_b32_e32 v2, 0x80000000, v2
	s_delay_alu instid0(VALU_DEP_1)
	v_or3_b32 v0, v8, v2, v0
.LBB6_6586:                             ;   in Loop: Header=BB6_6234 Depth=3
	s_or_b32 exec_lo, exec_lo, s44
.LBB6_6587:                             ;   in Loop: Header=BB6_6234 Depth=3
	s_delay_alu instid0(SALU_CYCLE_1)
	s_or_b32 exec_lo, exec_lo, s15
.LBB6_6588:                             ;   in Loop: Header=BB6_6234 Depth=3
	s_delay_alu instid0(SALU_CYCLE_1) | instskip(SKIP_3) | instid1(VALU_DEP_3)
	s_or_b32 exec_lo, exec_lo, s14
	v_lshrrev_b32_e32 v2, 24, v10
	v_bfe_u32 v8, v10, 24, 7
	v_cmp_gt_u32_e64 s15, 0x1000000, v10
	v_cmp_eq_u32_e32 vcc_lo, 0x80, v2
	s_delay_alu instid0(VALU_DEP_3) | instskip(SKIP_2) | instid1(VALU_DEP_1)
	v_cmp_eq_u32_e64 s14, 0x7f, v8
	v_cndmask_b32_e32 v9, 0x7f800001, v125, vcc_lo
	s_or_b32 s14, vcc_lo, s14
	v_cndmask_b32_e64 v9, v9, 0, s15
	s_nor_b32 s15, s15, s14
	s_delay_alu instid0(SALU_CYCLE_1)
	s_and_saveexec_b32 s14, s15
	s_cbranch_execz .LBB6_6590
; %bb.6589:                             ;   in Loop: Header=BB6_6234 Depth=3
	v_and_b32_e32 v9, 7, v2
	v_cmp_gt_u32_e32 vcc_lo, 8, v8
	s_delay_alu instid0(VALU_DEP_2) | instskip(NEXT) | instid1(VALU_DEP_1)
	v_clz_i32_u32_e32 v12, v9
	v_min_u32_e32 v24, 32, v12
	s_delay_alu instid0(VALU_DEP_1) | instskip(SKIP_1) | instid1(VALU_DEP_2)
	v_subrev_nc_u32_e32 v12, 28, v24
	v_sub_nc_u32_e32 v24, 29, v24
	v_lshlrev_b64_e32 v[12:13], v12, v[2:3]
	v_dual_lshrrev_b32 v13, 3, v8 :: v_dual_lshlrev_b32 v2, 24, v2
	s_delay_alu instid0(VALU_DEP_1) | instskip(NEXT) | instid1(VALU_DEP_3)
	v_and_b32_e32 v2, 0x80000000, v2
	v_and_b32_e32 v8, 7, v12
	s_delay_alu instid0(VALU_DEP_3) | instskip(NEXT) | instid1(VALU_DEP_2)
	v_cndmask_b32_e32 v12, v13, v24, vcc_lo
	v_cndmask_b32_e32 v8, v9, v8, vcc_lo
	s_delay_alu instid0(VALU_DEP_2) | instskip(NEXT) | instid1(VALU_DEP_2)
	v_lshl_add_u32 v9, v12, 23, 0x3c000000
	v_lshlrev_b32_e32 v8, 20, v8
	s_delay_alu instid0(VALU_DEP_1)
	v_or3_b32 v9, v8, v2, v9
.LBB6_6590:                             ;   in Loop: Header=BB6_6234 Depth=3
	s_or_b32 exec_lo, exec_lo, s14
	s_delay_alu instid0(VALU_DEP_1) | instskip(SKIP_1) | instid1(VALU_DEP_1)
	v_add_f32_e32 v0, v0, v9
                                        ; implicit-def: $vgpr49
	s_mov_b32 s14, exec_lo
	v_and_b32_e32 v2, 0x7f800000, v0
	v_lshrrev_b32_e32 v8, 24, v0
	s_delay_alu instid0(VALU_DEP_2)
	v_cmpx_ne_u64_e32 0x7f800000, v[2:3]
	s_xor_b32 s15, exec_lo, s14
	s_cbranch_execz .LBB6_6604
; %bb.6591:                             ;   in Loop: Header=BB6_6234 Depth=3
	v_and_b32_e32 v2, 0x7fffffff, v0
	v_and_b32_e32 v24, 0x80, v8
                                        ; implicit-def: $vgpr49
	s_mov_b32 s14, exec_lo
	s_delay_alu instid0(VALU_DEP_2)
	v_cmpx_gt_u64_e32 0x43e00001, v[2:3]
	s_xor_b32 s44, exec_lo, s14
	s_cbranch_execz .LBB6_6601
; %bb.6592:                             ;   in Loop: Header=BB6_6234 Depth=3
	v_mov_b32_e32 v49, 0
	s_mov_b32 s45, exec_lo
	v_cmpx_ne_u32_e32 0, v0
	s_cbranch_execz .LBB6_6600
; %bb.6593:                             ;   in Loop: Header=BB6_6234 Depth=3
	v_bfe_u32 v25, v0, 23, 8
	v_and_b32_e32 v0, 0x7fffff, v0
	s_delay_alu instid0(VALU_DEP_2) | instskip(SKIP_1) | instid1(VALU_DEP_3)
	v_sub_nc_u32_e32 v2, 0x79, v25
	v_cmp_gt_u32_e32 vcc_lo, 0x7a, v25
	v_or_b32_e32 v12, 0x800000, v0
	s_delay_alu instid0(VALU_DEP_3) | instskip(SKIP_1) | instid1(VALU_DEP_2)
	v_cndmask_b32_e32 v2, 0, v2, vcc_lo
	v_cmp_eq_u32_e32 vcc_lo, 0, v25
	v_cndmask_b32_e64 v49, v2, 0x78, vcc_lo
	s_delay_alu instid0(VALU_DEP_1) | instskip(NEXT) | instid1(VALU_DEP_1)
	v_dual_add_nc_u32 v2, 20, v49 :: v_dual_add_nc_u32 v13, 19, v49
	v_lshlrev_b64_e64 v[8:9], v2, -1
	v_cndmask_b32_e32 v2, v12, v0, vcc_lo
	s_delay_alu instid0(VALU_DEP_3) | instskip(NEXT) | instid1(VALU_DEP_3)
	v_lshlrev_b64_e64 v[12:13], v13, 1
	v_bfi_b32 v51, v9, 0, 0
	s_delay_alu instid0(VALU_DEP_3) | instskip(SKIP_1) | instid1(VALU_DEP_2)
	v_bfi_b32 v50, v8, 0, v2
	v_lshrrev_b64 v[8:9], v49, v[2:3]
	v_cmp_eq_u64_e64 s14, v[50:51], v[12:13]
	s_delay_alu instid0(VALU_DEP_2)
	v_mov_b64_e32 v[12:13], v[8:9]
	s_and_saveexec_b32 s77, s14
; %bb.6594:                             ;   in Loop: Header=BB6_6234 Depth=3
	v_bfe_u32 v2, v8, 20, 1
	s_delay_alu instid0(VALU_DEP_1) | instskip(NEXT) | instid1(VALU_DEP_1)
	v_add_nc_u64_e32 v[12:13], v[8:9], v[2:3]
	v_add_nc_u64_e32 v[12:13], -1, v[12:13]
; %bb.6595:                             ;   in Loop: Header=BB6_6234 Depth=3
	s_or_b32 exec_lo, exec_lo, s77
	v_add_nc_u32_e32 v0, 0xffffff81, v25
	v_lshrrev_b32_e32 v2, 23, v8
	s_mov_b32 s14, exec_lo
	s_delay_alu instid0(VALU_DEP_2) | instskip(NEXT) | instid1(VALU_DEP_1)
	v_cndmask_b32_e64 v0, v0, 0xffffff82, vcc_lo
	v_add3_u32 v13, v49, v0, v2
	v_and_b32_e32 v0, 0xfffff, v12
	s_delay_alu instid0(VALU_DEP_1) | instskip(NEXT) | instid1(VALU_DEP_1)
	v_dual_add_nc_u32 v12, 6, v13 :: v_dual_add_nc_u32 v2, v0, v8
                                        ; implicit-def: $vgpr8_vgpr9
                                        ; implicit-def: $vgpr0
	v_cmpx_ne_u32_e32 0, v12
	s_xor_b32 s14, exec_lo, s14
; %bb.6596:                             ;   in Loop: Header=BB6_6234 Depth=3
	s_delay_alu instid0(VALU_DEP_2) | instskip(SKIP_2) | instid1(VALU_DEP_2)
	v_cmp_lt_u64_e32 vcc_lo, 0xffffff, v[2:3]
	v_add_nc_u32_e32 v0, 7, v13
	v_cndmask_b32_e64 v8, 0, 1, vcc_lo
	v_cndmask_b32_e32 v0, v12, v0, vcc_lo
	s_delay_alu instid0(VALU_DEP_2)
	v_lshrrev_b64 v[8:9], v8, v[2:3]
; %bb.6597:                             ;   in Loop: Header=BB6_6234 Depth=3
	s_and_not1_saveexec_b32 s14, s14
; %bb.6598:                             ;   in Loop: Header=BB6_6234 Depth=3
	v_mov_b64_e32 v[8:9], v[2:3]
	v_bfe_u32 v0, v2, 23, 1
; %bb.6599:                             ;   in Loop: Header=BB6_6234 Depth=3
	s_or_b32 exec_lo, exec_lo, s14
	s_delay_alu instid0(VALU_DEP_2) | instskip(NEXT) | instid1(VALU_DEP_2)
	v_lshrrev_b64 v[8:9], 20, v[8:9]
	v_cmp_gt_i32_e32 vcc_lo, 16, v0
	v_min_i32_e32 v2, 15, v0
	v_cmp_eq_u32_e64 s14, 0, v0
	s_delay_alu instid0(VALU_DEP_2) | instskip(SKIP_1) | instid1(VALU_DEP_2)
	v_dual_cndmask_b32 v9, 0, v9 :: v_dual_lshlrev_b32 v2, 3, v2
	v_cndmask_b32_e32 v8, 7, v8, vcc_lo
	v_and_b32_e32 v2, 0xf8, v2
	s_delay_alu instid0(VALU_DEP_2) | instskip(NEXT) | instid1(VALU_DEP_2)
	v_cmp_eq_u64_e32 vcc_lo, 0, v[8:9]
	v_and_or_b32 v0, v8, 7, v2
	s_and_b32 s14, s14, vcc_lo
	s_delay_alu instid0(VALU_DEP_1) | instid1(SALU_CYCLE_1)
	v_cndmask_b32_e64 v0, v0, 0, s14
	s_delay_alu instid0(VALU_DEP_1)
	v_or_b32_e32 v49, v0, v24
.LBB6_6600:                             ;   in Loop: Header=BB6_6234 Depth=3
	s_or_b32 exec_lo, exec_lo, s45
                                        ; implicit-def: $vgpr24
.LBB6_6601:                             ;   in Loop: Header=BB6_6234 Depth=3
	s_and_not1_saveexec_b32 s14, s44
; %bb.6602:                             ;   in Loop: Header=BB6_6234 Depth=3
	v_or_b32_e32 v49, 0x7e, v24
; %bb.6603:                             ;   in Loop: Header=BB6_6234 Depth=3
	s_or_b32 exec_lo, exec_lo, s14
                                        ; implicit-def: $vgpr8
.LBB6_6604:                             ;   in Loop: Header=BB6_6234 Depth=3
	s_and_not1_saveexec_b32 s14, s15
; %bb.6605:                             ;   in Loop: Header=BB6_6234 Depth=3
	v_or_b32_e32 v49, 0x7f, v8
; %bb.6606:                             ;   in Loop: Header=BB6_6234 Depth=3
	s_or_b32 exec_lo, exec_lo, s14
	v_and_b32_e32 v0, 0xff, v15
	v_dual_mov_b32 v2, v15 :: v_dual_mov_b32 v12, 0
	s_mov_b32 s14, exec_lo
	s_delay_alu instid0(VALU_DEP_2)
	v_cmpx_ne_u16_e32 0, v0
	s_cbranch_execz .LBB6_6612
; %bb.6607:                             ;   in Loop: Header=BB6_6234 Depth=3
	v_bfrev_b32_e32 v12, 1
	s_mov_b32 s15, exec_lo
	v_cmpx_ne_u16_e32 0x80, v0
	s_cbranch_execz .LBB6_6611
; %bb.6608:                             ;   in Loop: Header=BB6_6234 Depth=3
	v_and_b32_e32 v0, 0x7f, v15
	v_mov_b32_e32 v12, 0x7f800001
	s_mov_b32 s44, exec_lo
	s_delay_alu instid0(VALU_DEP_2)
	v_cmpx_ne_u32_e32 0x7f, v0
	s_cbranch_execz .LBB6_6610
; %bb.6609:                             ;   in Loop: Header=BB6_6234 Depth=3
	v_dual_lshrrev_b32 v9, 3, v0 :: v_dual_bitop2_b32 v8, 7, v15 bitop3:0x40
	v_cmp_gt_u32_e32 vcc_lo, 8, v0
	s_delay_alu instid0(VALU_DEP_2) | instskip(NEXT) | instid1(VALU_DEP_1)
	v_clz_i32_u32_e32 v8, v8
	v_min_u32_e32 v8, 32, v8
	s_delay_alu instid0(VALU_DEP_1) | instskip(SKIP_1) | instid1(VALU_DEP_1)
	v_subrev_nc_u32_e32 v12, 28, v8
	v_sub_nc_u32_e32 v8, 29, v8
	v_cndmask_b32_e32 v0, v9, v8, vcc_lo
	s_delay_alu instid0(VALU_DEP_3) | instskip(NEXT) | instid1(VALU_DEP_1)
	v_cndmask_b32_e32 v8, 0, v12, vcc_lo
	v_lshlrev_b64_e32 v[8:9], v8, v[2:3]
	v_lshlrev_b32_e32 v9, 24, v2
	s_delay_alu instid0(VALU_DEP_1) | instskip(NEXT) | instid1(VALU_DEP_3)
	v_and_b32_e32 v9, 0x80000000, v9
	v_lshlrev_b32_e32 v8, 20, v8
	v_lshl_add_u32 v0, v0, 23, 0x3c000000
	s_delay_alu instid0(VALU_DEP_2) | instskip(NEXT) | instid1(VALU_DEP_1)
	v_and_b32_e32 v8, 0x700000, v8
	v_or3_b32 v12, v8, v9, v0
.LBB6_6610:                             ;   in Loop: Header=BB6_6234 Depth=3
	s_or_b32 exec_lo, exec_lo, s44
.LBB6_6611:                             ;   in Loop: Header=BB6_6234 Depth=3
	s_delay_alu instid0(SALU_CYCLE_1)
	s_or_b32 exec_lo, exec_lo, s15
.LBB6_6612:                             ;   in Loop: Header=BB6_6234 Depth=3
	s_delay_alu instid0(SALU_CYCLE_1) | instskip(SKIP_4) | instid1(VALU_DEP_2)
	s_or_b32 exec_lo, exec_lo, s14
	v_and_b32_e32 v9, 0xff, v11
	v_mov_b32_e32 v8, v11
	s_mov_b32 s14, 0
	s_mov_b32 s15, exec_lo
	v_cmpx_lt_i16_e32 0x7f, v9
	s_xor_b32 s15, exec_lo, s15
	s_cbranch_execz .LBB6_6647
; %bb.6613:                             ;   in Loop: Header=BB6_6234 Depth=3
	s_mov_b32 s14, -1
	s_mov_b32 s44, exec_lo
	v_cmpx_eq_u16_e32 0x80, v9
; %bb.6614:                             ;   in Loop: Header=BB6_6234 Depth=3
	s_xor_b32 s14, exec_lo, -1
; %bb.6615:                             ;   in Loop: Header=BB6_6234 Depth=3
	s_or_b32 exec_lo, exec_lo, s44
	s_delay_alu instid0(SALU_CYCLE_1)
	s_and_b32 s14, s14, exec_lo
                                        ; implicit-def: $vgpr9
	s_or_saveexec_b32 s15, s15
	v_bfrev_b32_e32 v0, 1
	s_xor_b32 exec_lo, exec_lo, s15
	s_cbranch_execnz .LBB6_6648
.LBB6_6616:                             ;   in Loop: Header=BB6_6234 Depth=3
	s_or_b32 exec_lo, exec_lo, s15
	v_mov_b32_e32 v9, v3
	s_and_saveexec_b32 s15, s14
	s_cbranch_execz .LBB6_6618
.LBB6_6617:                             ;   in Loop: Header=BB6_6234 Depth=3
	v_and_b32_e32 v13, 0x7f, v11
	v_bfe_u32 v24, v11, 3, 4
	s_delay_alu instid0(VALU_DEP_2) | instskip(SKIP_1) | instid1(VALU_DEP_1)
	v_cmp_gt_u32_e32 vcc_lo, 8, v13
	v_and_b32_e32 v0, 7, v11
	v_clz_i32_u32_e32 v0, v0
	s_delay_alu instid0(VALU_DEP_1) | instskip(NEXT) | instid1(VALU_DEP_1)
	v_min_u32_e32 v0, 32, v0
	v_subrev_nc_u32_e32 v25, 28, v0
	v_sub_nc_u32_e32 v0, 29, v0
	s_delay_alu instid0(VALU_DEP_1) | instskip(SKIP_1) | instid1(VALU_DEP_2)
	v_dual_cndmask_b32 v0, v24, v0, vcc_lo :: v_dual_cndmask_b32 v24, 0, v25, vcc_lo
	v_cmp_ne_u32_e32 vcc_lo, 0x7f, v13
	v_lshl_add_u32 v0, v0, 23, 0x3c000000
	s_delay_alu instid0(VALU_DEP_3) | instskip(SKIP_1) | instid1(VALU_DEP_1)
	v_lshlrev_b64_e32 v[24:25], v24, v[8:9]
	v_lshlrev_b32_e32 v9, 24, v8
	v_and_b32_e32 v9, 0x80000000, v9
	s_delay_alu instid0(VALU_DEP_3) | instskip(NEXT) | instid1(VALU_DEP_1)
	v_lshlrev_b32_e32 v24, 20, v24
	v_and_b32_e32 v24, 0x700000, v24
	s_delay_alu instid0(VALU_DEP_1) | instskip(NEXT) | instid1(VALU_DEP_1)
	v_or3_b32 v0, v24, v9, v0
	v_cndmask_b32_e32 v0, 0x7f800001, v0, vcc_lo
.LBB6_6618:                             ;   in Loop: Header=BB6_6234 Depth=3
	s_or_b32 exec_lo, exec_lo, s15
	s_delay_alu instid0(VALU_DEP_1) | instskip(SKIP_1) | instid1(VALU_DEP_1)
	v_dual_add_f32 v0, v12, v0 :: v_dual_mov_b32 v13, v3
                                        ; implicit-def: $vgpr24
	s_mov_b32 s14, exec_lo
	v_and_b32_e32 v12, 0x7f800000, v0
	v_lshrrev_b32_e32 v9, 24, v0
	s_delay_alu instid0(VALU_DEP_2)
	v_cmpx_ne_u64_e32 0x7f800000, v[12:13]
	s_xor_b32 s15, exec_lo, s14
	s_cbranch_execz .LBB6_6632
; %bb.6619:                             ;   in Loop: Header=BB6_6234 Depth=3
	v_and_b32_e32 v12, 0x7fffffff, v0
	v_mov_b32_e32 v13, v3
	v_and_b32_e32 v9, 0x80, v9
                                        ; implicit-def: $vgpr24
	s_mov_b32 s14, exec_lo
	s_delay_alu instid0(VALU_DEP_2)
	v_cmpx_gt_u64_e32 0x43e00001, v[12:13]
	s_xor_b32 s44, exec_lo, s14
	s_cbranch_execz .LBB6_6629
; %bb.6620:                             ;   in Loop: Header=BB6_6234 Depth=3
	v_mov_b32_e32 v24, 0
	s_mov_b32 s45, exec_lo
	v_cmpx_ne_u32_e32 0, v0
	s_cbranch_execz .LBB6_6628
; %bb.6621:                             ;   in Loop: Header=BB6_6234 Depth=3
	v_bfe_u32 v50, v0, 23, 8
	v_and_b32_e32 v0, 0x7fffff, v0
	s_mov_b32 s77, exec_lo
	s_delay_alu instid0(VALU_DEP_2) | instskip(SKIP_1) | instid1(VALU_DEP_3)
	v_dual_mov_b32 v25, v3 :: v_dual_sub_nc_u32 v12, 0x79, v50
	v_cmp_gt_u32_e32 vcc_lo, 0x7a, v50
	v_or_b32_e32 v24, 0x800000, v0
	s_delay_alu instid0(VALU_DEP_3) | instskip(SKIP_1) | instid1(VALU_DEP_2)
	v_cndmask_b32_e32 v12, 0, v12, vcc_lo
	v_cmp_eq_u32_e32 vcc_lo, 0, v50
	v_cndmask_b32_e64 v51, v12, 0x78, vcc_lo
	s_delay_alu instid0(VALU_DEP_1) | instskip(SKIP_1) | instid1(VALU_DEP_2)
	v_dual_cndmask_b32 v24, v24, v0, vcc_lo :: v_dual_add_nc_u32 v12, 20, v51
	v_add_nc_u32_e32 v52, 19, v51
	v_lshlrev_b64_e64 v[12:13], v12, -1
	s_delay_alu instid0(VALU_DEP_2) | instskip(NEXT) | instid1(VALU_DEP_2)
	v_lshlrev_b64_e64 v[52:53], v52, 1
	v_bfi_b32 v55, v13, 0, 0
	s_delay_alu instid0(VALU_DEP_3) | instskip(SKIP_1) | instid1(VALU_DEP_1)
	v_bfi_b32 v54, v12, 0, v24
	v_lshrrev_b64 v[12:13], v51, v[24:25]
	v_mov_b64_e32 v[24:25], v[12:13]
	s_delay_alu instid0(VALU_DEP_3)
	v_cmpx_eq_u64_e64 v[54:55], v[52:53]
; %bb.6622:                             ;   in Loop: Header=BB6_6234 Depth=3
	v_bfe_u32 v24, v12, 20, 1
	v_mov_b32_e32 v25, v3
	s_delay_alu instid0(VALU_DEP_1) | instskip(NEXT) | instid1(VALU_DEP_1)
	v_add_nc_u64_e32 v[24:25], v[12:13], v[24:25]
	v_add_nc_u64_e32 v[24:25], -1, v[24:25]
; %bb.6623:                             ;   in Loop: Header=BB6_6234 Depth=3
	s_or_b32 exec_lo, exec_lo, s77
	v_add_nc_u32_e32 v0, 0xffffff81, v50
	v_lshrrev_b32_e32 v13, 23, v12
	s_mov_b32 s14, exec_lo
	s_delay_alu instid0(VALU_DEP_2) | instskip(NEXT) | instid1(VALU_DEP_1)
	v_cndmask_b32_e64 v0, v0, 0xffffff82, vcc_lo
	v_add3_u32 v25, v51, v0, v13
	v_and_b32_e32 v0, 0xfffff, v24
	s_delay_alu instid0(VALU_DEP_2) | instskip(NEXT) | instid1(VALU_DEP_2)
	v_dual_mov_b32 v13, v3 :: v_dual_add_nc_u32 v24, 6, v25
	v_add_nc_u32_e32 v12, v0, v12
                                        ; implicit-def: $vgpr0
	s_delay_alu instid0(VALU_DEP_2)
	v_cmpx_ne_u32_e32 0, v24
	s_xor_b32 s14, exec_lo, s14
; %bb.6624:                             ;   in Loop: Header=BB6_6234 Depth=3
	s_delay_alu instid0(VALU_DEP_2) | instskip(SKIP_1) | instid1(VALU_DEP_1)
	v_cmp_lt_u64_e32 vcc_lo, 0xffffff, v[12:13]
	v_add_nc_u32_e32 v0, 7, v25
	v_cndmask_b32_e32 v0, v24, v0, vcc_lo
	v_cndmask_b32_e64 v24, 0, 1, vcc_lo
	s_delay_alu instid0(VALU_DEP_1)
	v_lshrrev_b64 v[12:13], v24, v[12:13]
; %bb.6625:                             ;   in Loop: Header=BB6_6234 Depth=3
	s_and_not1_saveexec_b32 s14, s14
; %bb.6626:                             ;   in Loop: Header=BB6_6234 Depth=3
	s_delay_alu instid0(VALU_DEP_1)
	v_bfe_u32 v0, v12, 23, 1
; %bb.6627:                             ;   in Loop: Header=BB6_6234 Depth=3
	s_or_b32 exec_lo, exec_lo, s14
	s_delay_alu instid0(VALU_DEP_2) | instskip(NEXT) | instid1(VALU_DEP_2)
	v_lshrrev_b64 v[12:13], 20, v[12:13]
	v_cmp_gt_i32_e32 vcc_lo, 16, v0
	v_min_i32_e32 v24, 15, v0
	v_cmp_eq_u32_e64 s14, 0, v0
	s_delay_alu instid0(VALU_DEP_2) | instskip(SKIP_1) | instid1(VALU_DEP_2)
	v_dual_cndmask_b32 v13, 0, v13 :: v_dual_lshlrev_b32 v24, 3, v24
	v_cndmask_b32_e32 v12, 7, v12, vcc_lo
	v_and_b32_e32 v24, 0xf8, v24
	s_delay_alu instid0(VALU_DEP_2) | instskip(NEXT) | instid1(VALU_DEP_2)
	v_cmp_eq_u64_e32 vcc_lo, 0, v[12:13]
	v_and_or_b32 v0, v12, 7, v24
	s_and_b32 s14, s14, vcc_lo
	s_delay_alu instid0(VALU_DEP_1) | instid1(SALU_CYCLE_1)
	v_cndmask_b32_e64 v0, v0, 0, s14
	s_delay_alu instid0(VALU_DEP_1)
	v_or_b32_e32 v24, v0, v9
.LBB6_6628:                             ;   in Loop: Header=BB6_6234 Depth=3
	s_or_b32 exec_lo, exec_lo, s45
                                        ; implicit-def: $vgpr9
.LBB6_6629:                             ;   in Loop: Header=BB6_6234 Depth=3
	s_and_not1_saveexec_b32 s14, s44
; %bb.6630:                             ;   in Loop: Header=BB6_6234 Depth=3
	v_or_b32_e32 v24, 0x7e, v9
; %bb.6631:                             ;   in Loop: Header=BB6_6234 Depth=3
	s_or_b32 exec_lo, exec_lo, s14
                                        ; implicit-def: $vgpr9
.LBB6_6632:                             ;   in Loop: Header=BB6_6234 Depth=3
	s_and_not1_saveexec_b32 s14, s15
; %bb.6633:                             ;   in Loop: Header=BB6_6234 Depth=3
	v_or_b32_e32 v24, 0x7f, v9
; %bb.6634:                             ;   in Loop: Header=BB6_6234 Depth=3
	s_or_b32 exec_lo, exec_lo, s14
	v_lshrrev_b16 v0, 8, v2
	v_mov_b32_e32 v9, 0
	s_mov_b32 s14, exec_lo
	s_delay_alu instid0(VALU_DEP_2)
	v_cmpx_ne_u16_e32 0, v0
	s_cbranch_execz .LBB6_6642
; %bb.6635:                             ;   in Loop: Header=BB6_6234 Depth=3
	v_bfrev_b32_e32 v9, 1
	s_mov_b32 s15, exec_lo
	v_cmpx_ne_u16_e32 0x80, v0
	s_cbranch_execz .LBB6_6641
; %bb.6636:                             ;   in Loop: Header=BB6_6234 Depth=3
	v_and_b32_e32 v0, 0xffff, v0
	v_mov_b32_e32 v9, 0x7f800001
	s_mov_b32 s44, exec_lo
	s_delay_alu instid0(VALU_DEP_2) | instskip(NEXT) | instid1(VALU_DEP_1)
	v_and_b32_e32 v25, 0x7f, v0
	v_cmpx_ne_u32_e32 0x7f, v25
	s_cbranch_execz .LBB6_6640
; %bb.6637:                             ;   in Loop: Header=BB6_6234 Depth=3
	v_dual_mov_b32 v13, v3 :: v_dual_bitop2_b32 v12, 7, v0 bitop3:0x40
	v_lshrrev_b32_e32 v0, 3, v25
	s_mov_b32 s45, exec_lo
	v_cmpx_gt_u32_e32 8, v25
; %bb.6638:                             ;   in Loop: Header=BB6_6234 Depth=3
	s_delay_alu instid0(VALU_DEP_3) | instskip(NEXT) | instid1(VALU_DEP_1)
	v_clz_i32_u32_e32 v0, v12
	v_min_u32_e32 v0, 32, v0
	s_delay_alu instid0(VALU_DEP_1) | instskip(SKIP_1) | instid1(VALU_DEP_2)
	v_subrev_nc_u32_e32 v9, 28, v0
	v_sub_nc_u32_e32 v0, 29, v0
	v_lshlrev_b64_e32 v[12:13], v9, v[12:13]
	s_delay_alu instid0(VALU_DEP_1)
	v_and_b32_e32 v12, 7, v12
; %bb.6639:                             ;   in Loop: Header=BB6_6234 Depth=3
	s_or_b32 exec_lo, exec_lo, s45
	s_delay_alu instid0(VALU_DEP_1) | instskip(SKIP_1) | instid1(VALU_DEP_2)
	v_dual_lshlrev_b32 v2, 16, v2 :: v_dual_lshlrev_b32 v9, 20, v12
	v_lshl_add_u32 v0, v0, 23, 0x3c000000
	v_and_b32_e32 v2, 0x80000000, v2
	s_delay_alu instid0(VALU_DEP_1)
	v_or3_b32 v9, v9, v2, v0
.LBB6_6640:                             ;   in Loop: Header=BB6_6234 Depth=3
	s_or_b32 exec_lo, exec_lo, s44
.LBB6_6641:                             ;   in Loop: Header=BB6_6234 Depth=3
	s_delay_alu instid0(SALU_CYCLE_1)
	s_or_b32 exec_lo, exec_lo, s15
.LBB6_6642:                             ;   in Loop: Header=BB6_6234 Depth=3
	s_delay_alu instid0(SALU_CYCLE_1) | instskip(SKIP_3) | instid1(VALU_DEP_1)
	s_or_b32 exec_lo, exec_lo, s14
	v_lshrrev_b16 v8, 8, v8
	s_mov_b32 s15, 0
	s_mov_b32 s14, exec_lo
	v_cmpx_lt_i16_e32 0x7f, v8
	s_xor_b32 s14, exec_lo, s14
	s_cbranch_execz .LBB6_6649
; %bb.6643:                             ;   in Loop: Header=BB6_6234 Depth=3
	s_mov_b32 s15, -1
	s_mov_b32 s44, exec_lo
	v_cmpx_eq_u16_e32 0x80, v8
; %bb.6644:                             ;   in Loop: Header=BB6_6234 Depth=3
	s_xor_b32 s15, exec_lo, -1
; %bb.6645:                             ;   in Loop: Header=BB6_6234 Depth=3
	s_or_b32 exec_lo, exec_lo, s44
	s_delay_alu instid0(SALU_CYCLE_1)
	s_and_b32 s15, s15, exec_lo
	s_or_saveexec_b32 s14, s14
	v_bfrev_b32_e32 v0, 1
	s_xor_b32 exec_lo, exec_lo, s14
	s_cbranch_execnz .LBB6_6650
.LBB6_6646:                             ;   in Loop: Header=BB6_6234 Depth=3
	s_or_b32 exec_lo, exec_lo, s14
	s_and_saveexec_b32 s14, s15
	s_cbranch_execnz .LBB6_6651
	s_branch .LBB6_6654
.LBB6_6647:                             ;   in Loop: Header=BB6_6234 Depth=3
	s_or_saveexec_b32 s15, s15
	v_bfrev_b32_e32 v0, 1
	s_xor_b32 exec_lo, exec_lo, s15
	s_cbranch_execz .LBB6_6616
.LBB6_6648:                             ;   in Loop: Header=BB6_6234 Depth=3
	v_cmp_ne_u16_e32 vcc_lo, 0, v9
	v_mov_b32_e32 v0, 0
	s_and_not1_b32 s14, s14, exec_lo
	s_and_b32 s44, vcc_lo, exec_lo
	s_delay_alu instid0(SALU_CYCLE_1)
	s_or_b32 s14, s14, s44
	s_or_b32 exec_lo, exec_lo, s15
	v_mov_b32_e32 v9, v3
	s_and_saveexec_b32 s15, s14
	s_cbranch_execnz .LBB6_6617
	s_branch .LBB6_6618
.LBB6_6649:                             ;   in Loop: Header=BB6_6234 Depth=3
	s_or_saveexec_b32 s14, s14
	v_bfrev_b32_e32 v0, 1
	s_xor_b32 exec_lo, exec_lo, s14
	s_cbranch_execz .LBB6_6646
.LBB6_6650:                             ;   in Loop: Header=BB6_6234 Depth=3
	v_cmp_ne_u16_e32 vcc_lo, 0, v8
	v_mov_b32_e32 v0, 0
	s_and_not1_b32 s15, s15, exec_lo
	s_and_b32 s44, vcc_lo, exec_lo
	s_delay_alu instid0(SALU_CYCLE_1)
	s_or_b32 s15, s15, s44
	s_or_b32 exec_lo, exec_lo, s14
	s_and_saveexec_b32 s14, s15
	s_cbranch_execz .LBB6_6654
.LBB6_6651:                             ;   in Loop: Header=BB6_6234 Depth=3
	v_and_b32_e32 v2, 0xffff, v8
	v_mov_b32_e32 v0, 0x7f800001
	s_mov_b32 s15, exec_lo
	s_delay_alu instid0(VALU_DEP_2) | instskip(NEXT) | instid1(VALU_DEP_1)
	v_and_b32_e32 v12, 0x7f, v2
	v_cmpx_ne_u32_e32 0x7f, v12
	s_cbranch_execz .LBB6_6653
; %bb.6652:                             ;   in Loop: Header=BB6_6234 Depth=3
	v_and_b32_e32 v0, 7, v2
	v_cmp_gt_u32_e32 vcc_lo, 8, v12
	s_delay_alu instid0(VALU_DEP_2) | instskip(NEXT) | instid1(VALU_DEP_1)
	v_clz_i32_u32_e32 v13, v0
	v_min_u32_e32 v13, 32, v13
	s_delay_alu instid0(VALU_DEP_1) | instskip(NEXT) | instid1(VALU_DEP_1)
	v_subrev_nc_u32_e32 v25, 28, v13
	v_lshlrev_b64_e32 v[50:51], v25, v[2:3]
	v_dual_lshrrev_b32 v2, 3, v12 :: v_dual_sub_nc_u32 v13, 29, v13
	s_delay_alu instid0(VALU_DEP_2) | instskip(NEXT) | instid1(VALU_DEP_1)
	v_dual_lshlrev_b32 v8, 24, v8 :: v_dual_bitop2_b32 v12, 7, v50 bitop3:0x40
	v_dual_cndmask_b32 v2, v2, v13, vcc_lo :: v_dual_cndmask_b32 v0, v0, v12, vcc_lo
	s_delay_alu instid0(VALU_DEP_2) | instskip(NEXT) | instid1(VALU_DEP_2)
	v_and_b32_e32 v8, 0x80000000, v8
	v_lshl_add_u32 v2, v2, 23, 0x3c000000
	s_delay_alu instid0(VALU_DEP_3) | instskip(NEXT) | instid1(VALU_DEP_1)
	v_lshlrev_b32_e32 v0, 20, v0
	v_or3_b32 v0, v0, v8, v2
.LBB6_6653:                             ;   in Loop: Header=BB6_6234 Depth=3
	s_or_b32 exec_lo, exec_lo, s15
.LBB6_6654:                             ;   in Loop: Header=BB6_6234 Depth=3
	s_delay_alu instid0(SALU_CYCLE_1) | instskip(NEXT) | instid1(VALU_DEP_1)
	s_or_b32 exec_lo, exec_lo, s14
	v_add_f32_e32 v0, v9, v0
                                        ; implicit-def: $vgpr25
	s_mov_b32 s14, exec_lo
	s_delay_alu instid0(VALU_DEP_1) | instskip(SKIP_1) | instid1(VALU_DEP_2)
	v_and_b32_e32 v2, 0x7f800000, v0
	v_lshrrev_b32_e32 v8, 24, v0
	v_cmpx_ne_u64_e32 0x7f800000, v[2:3]
	s_xor_b32 s15, exec_lo, s14
	s_cbranch_execz .LBB6_6668
; %bb.6655:                             ;   in Loop: Header=BB6_6234 Depth=3
	v_and_b32_e32 v2, 0x7fffffff, v0
	v_and_b32_e32 v50, 0x80, v8
                                        ; implicit-def: $vgpr25
	s_mov_b32 s14, exec_lo
	s_delay_alu instid0(VALU_DEP_2)
	v_cmpx_gt_u64_e32 0x43e00001, v[2:3]
	s_xor_b32 s44, exec_lo, s14
	s_cbranch_execz .LBB6_6665
; %bb.6656:                             ;   in Loop: Header=BB6_6234 Depth=3
	v_mov_b32_e32 v25, 0
	s_mov_b32 s45, exec_lo
	v_cmpx_ne_u32_e32 0, v0
	s_cbranch_execz .LBB6_6664
; %bb.6657:                             ;   in Loop: Header=BB6_6234 Depth=3
	v_bfe_u32 v25, v0, 23, 8
	v_and_b32_e32 v0, 0x7fffff, v0
	s_delay_alu instid0(VALU_DEP_2) | instskip(SKIP_1) | instid1(VALU_DEP_3)
	v_sub_nc_u32_e32 v2, 0x79, v25
	v_cmp_gt_u32_e32 vcc_lo, 0x7a, v25
	v_or_b32_e32 v12, 0x800000, v0
	s_delay_alu instid0(VALU_DEP_3) | instskip(SKIP_1) | instid1(VALU_DEP_2)
	v_cndmask_b32_e32 v2, 0, v2, vcc_lo
	v_cmp_eq_u32_e32 vcc_lo, 0, v25
	v_cndmask_b32_e64 v51, v2, 0x78, vcc_lo
	s_delay_alu instid0(VALU_DEP_1) | instskip(NEXT) | instid1(VALU_DEP_1)
	v_dual_add_nc_u32 v2, 20, v51 :: v_dual_add_nc_u32 v13, 19, v51
	v_lshlrev_b64_e64 v[8:9], v2, -1
	v_cndmask_b32_e32 v2, v12, v0, vcc_lo
	s_delay_alu instid0(VALU_DEP_3) | instskip(NEXT) | instid1(VALU_DEP_3)
	v_lshlrev_b64_e64 v[12:13], v13, 1
	v_bfi_b32 v53, v9, 0, 0
	s_delay_alu instid0(VALU_DEP_3) | instskip(SKIP_1) | instid1(VALU_DEP_2)
	v_bfi_b32 v52, v8, 0, v2
	v_lshrrev_b64 v[8:9], v51, v[2:3]
	v_cmp_eq_u64_e64 s14, v[52:53], v[12:13]
	s_delay_alu instid0(VALU_DEP_2)
	v_mov_b64_e32 v[12:13], v[8:9]
	s_and_saveexec_b32 s77, s14
; %bb.6658:                             ;   in Loop: Header=BB6_6234 Depth=3
	v_bfe_u32 v2, v8, 20, 1
	s_delay_alu instid0(VALU_DEP_1) | instskip(NEXT) | instid1(VALU_DEP_1)
	v_add_nc_u64_e32 v[12:13], v[8:9], v[2:3]
	v_add_nc_u64_e32 v[12:13], -1, v[12:13]
; %bb.6659:                             ;   in Loop: Header=BB6_6234 Depth=3
	s_or_b32 exec_lo, exec_lo, s77
	v_add_nc_u32_e32 v0, 0xffffff81, v25
	v_lshrrev_b32_e32 v2, 23, v8
	s_mov_b32 s14, exec_lo
	s_delay_alu instid0(VALU_DEP_2) | instskip(NEXT) | instid1(VALU_DEP_1)
	v_cndmask_b32_e64 v0, v0, 0xffffff82, vcc_lo
	v_add3_u32 v13, v51, v0, v2
	v_and_b32_e32 v0, 0xfffff, v12
	s_delay_alu instid0(VALU_DEP_1) | instskip(NEXT) | instid1(VALU_DEP_1)
	v_dual_add_nc_u32 v12, 6, v13 :: v_dual_add_nc_u32 v2, v0, v8
                                        ; implicit-def: $vgpr8_vgpr9
                                        ; implicit-def: $vgpr0
	v_cmpx_ne_u32_e32 0, v12
	s_xor_b32 s14, exec_lo, s14
; %bb.6660:                             ;   in Loop: Header=BB6_6234 Depth=3
	s_delay_alu instid0(VALU_DEP_2) | instskip(SKIP_2) | instid1(VALU_DEP_2)
	v_cmp_lt_u64_e32 vcc_lo, 0xffffff, v[2:3]
	v_add_nc_u32_e32 v0, 7, v13
	v_cndmask_b32_e64 v8, 0, 1, vcc_lo
	v_cndmask_b32_e32 v0, v12, v0, vcc_lo
	s_delay_alu instid0(VALU_DEP_2)
	v_lshrrev_b64 v[8:9], v8, v[2:3]
; %bb.6661:                             ;   in Loop: Header=BB6_6234 Depth=3
	s_and_not1_saveexec_b32 s14, s14
; %bb.6662:                             ;   in Loop: Header=BB6_6234 Depth=3
	v_mov_b64_e32 v[8:9], v[2:3]
	v_bfe_u32 v0, v2, 23, 1
; %bb.6663:                             ;   in Loop: Header=BB6_6234 Depth=3
	s_or_b32 exec_lo, exec_lo, s14
	s_delay_alu instid0(VALU_DEP_2) | instskip(NEXT) | instid1(VALU_DEP_2)
	v_lshrrev_b64 v[8:9], 20, v[8:9]
	v_cmp_gt_i32_e32 vcc_lo, 16, v0
	v_min_i32_e32 v2, 15, v0
	v_cmp_eq_u32_e64 s14, 0, v0
	s_delay_alu instid0(VALU_DEP_2) | instskip(SKIP_1) | instid1(VALU_DEP_2)
	v_dual_cndmask_b32 v9, 0, v9 :: v_dual_lshlrev_b32 v2, 3, v2
	v_cndmask_b32_e32 v8, 7, v8, vcc_lo
	v_and_b32_e32 v2, 0xf8, v2
	s_delay_alu instid0(VALU_DEP_2) | instskip(NEXT) | instid1(VALU_DEP_2)
	v_cmp_eq_u64_e32 vcc_lo, 0, v[8:9]
	v_and_or_b32 v0, v8, 7, v2
	s_and_b32 s14, s14, vcc_lo
	s_delay_alu instid0(VALU_DEP_1) | instid1(SALU_CYCLE_1)
	v_cndmask_b32_e64 v0, v0, 0, s14
	s_delay_alu instid0(VALU_DEP_1)
	v_or_b32_e32 v25, v0, v50
.LBB6_6664:                             ;   in Loop: Header=BB6_6234 Depth=3
	s_or_b32 exec_lo, exec_lo, s45
                                        ; implicit-def: $vgpr50
.LBB6_6665:                             ;   in Loop: Header=BB6_6234 Depth=3
	s_and_not1_saveexec_b32 s14, s44
; %bb.6666:                             ;   in Loop: Header=BB6_6234 Depth=3
	v_or_b32_e32 v25, 0x7e, v50
; %bb.6667:                             ;   in Loop: Header=BB6_6234 Depth=3
	s_or_b32 exec_lo, exec_lo, s14
                                        ; implicit-def: $vgpr8
.LBB6_6668:                             ;   in Loop: Header=BB6_6234 Depth=3
	s_and_not1_saveexec_b32 s14, s15
; %bb.6669:                             ;   in Loop: Header=BB6_6234 Depth=3
	v_or_b32_e32 v25, 0x7f, v8
; %bb.6670:                             ;   in Loop: Header=BB6_6234 Depth=3
	s_or_b32 exec_lo, exec_lo, s14
	v_dual_lshrrev_b32 v0, 16, v15 :: v_dual_mov_b32 v8, 0
	s_mov_b32 s14, exec_lo
	s_delay_alu instid0(VALU_DEP_1) | instskip(NEXT) | instid1(VALU_DEP_1)
	v_and_b32_e32 v2, 0xff, v0
	v_cmpx_ne_u16_e32 0, v2
	s_cbranch_execz .LBB6_6678
; %bb.6671:                             ;   in Loop: Header=BB6_6234 Depth=3
	v_bfrev_b32_e32 v8, 1
	s_mov_b32 s15, exec_lo
	v_cmpx_ne_u16_e32 0x80, v2
	s_cbranch_execz .LBB6_6677
; %bb.6672:                             ;   in Loop: Header=BB6_6234 Depth=3
	v_bfe_u32 v9, v15, 16, 7
	v_mov_b32_e32 v8, 0x7f800001
	s_mov_b32 s44, exec_lo
	s_delay_alu instid0(VALU_DEP_2)
	v_cmpx_ne_u32_e32 0x7f, v9
	s_cbranch_execz .LBB6_6676
; %bb.6673:                             ;   in Loop: Header=BB6_6234 Depth=3
	v_dual_lshrrev_b32 v12, 3, v9 :: v_dual_bitop2_b32 v2, 7, v0 bitop3:0x40
	v_cmp_gt_u32_e32 vcc_lo, 8, v9
	s_delay_alu instid0(VALU_DEP_2)
	v_mov_b64_e32 v[8:9], v[2:3]
	s_and_saveexec_b32 s45, vcc_lo
; %bb.6674:                             ;   in Loop: Header=BB6_6234 Depth=3
	v_clz_i32_u32_e32 v8, v2
	s_delay_alu instid0(VALU_DEP_1) | instskip(NEXT) | instid1(VALU_DEP_1)
	v_min_u32_e32 v12, 32, v8
	v_subrev_nc_u32_e32 v8, 28, v12
	v_sub_nc_u32_e32 v12, 29, v12
	s_delay_alu instid0(VALU_DEP_2) | instskip(NEXT) | instid1(VALU_DEP_1)
	v_lshlrev_b64_e32 v[8:9], v8, v[2:3]
	v_and_b32_e32 v8, 7, v8
; %bb.6675:                             ;   in Loop: Header=BB6_6234 Depth=3
	s_or_b32 exec_lo, exec_lo, s45
	v_lshlrev_b32_e32 v0, 24, v0
	s_delay_alu instid0(VALU_DEP_2) | instskip(SKIP_1) | instid1(VALU_DEP_3)
	v_lshlrev_b32_e32 v2, 20, v8
	v_lshl_add_u32 v8, v12, 23, 0x3c000000
	v_and_b32_e32 v0, 0x80000000, v0
	s_delay_alu instid0(VALU_DEP_1)
	v_or3_b32 v8, v2, v0, v8
.LBB6_6676:                             ;   in Loop: Header=BB6_6234 Depth=3
	s_or_b32 exec_lo, exec_lo, s44
.LBB6_6677:                             ;   in Loop: Header=BB6_6234 Depth=3
	s_delay_alu instid0(SALU_CYCLE_1)
	s_or_b32 exec_lo, exec_lo, s15
.LBB6_6678:                             ;   in Loop: Header=BB6_6234 Depth=3
	s_delay_alu instid0(SALU_CYCLE_1) | instskip(SKIP_3) | instid1(VALU_DEP_1)
	s_or_b32 exec_lo, exec_lo, s14
	v_lshrrev_b32_e32 v2, 16, v11
	s_mov_b32 s15, 0
	s_mov_b32 s14, exec_lo
	v_and_b32_e32 v9, 0xff, v2
	s_delay_alu instid0(VALU_DEP_1)
	v_cmpx_lt_i16_e32 0x7f, v9
	s_xor_b32 s14, exec_lo, s14
	s_cbranch_execz .LBB6_6683
; %bb.6679:                             ;   in Loop: Header=BB6_6234 Depth=3
	s_mov_b32 s15, -1
	s_mov_b32 s44, exec_lo
	v_cmpx_eq_u16_e32 0x80, v9
; %bb.6680:                             ;   in Loop: Header=BB6_6234 Depth=3
	s_xor_b32 s15, exec_lo, -1
; %bb.6681:                             ;   in Loop: Header=BB6_6234 Depth=3
	s_or_b32 exec_lo, exec_lo, s44
	s_delay_alu instid0(SALU_CYCLE_1)
	s_and_b32 s15, s15, exec_lo
                                        ; implicit-def: $vgpr9
	s_or_saveexec_b32 s14, s14
	v_bfrev_b32_e32 v0, 1
	s_xor_b32 exec_lo, exec_lo, s14
	s_cbranch_execnz .LBB6_6684
.LBB6_6682:                             ;   in Loop: Header=BB6_6234 Depth=3
	s_or_b32 exec_lo, exec_lo, s14
	s_and_saveexec_b32 s14, s15
	s_cbranch_execnz .LBB6_6685
	s_branch .LBB6_6688
.LBB6_6683:                             ;   in Loop: Header=BB6_6234 Depth=3
	s_or_saveexec_b32 s14, s14
	v_bfrev_b32_e32 v0, 1
	s_xor_b32 exec_lo, exec_lo, s14
	s_cbranch_execz .LBB6_6682
.LBB6_6684:                             ;   in Loop: Header=BB6_6234 Depth=3
	v_cmp_ne_u16_e32 vcc_lo, 0, v9
	v_mov_b32_e32 v0, 0
	s_and_not1_b32 s15, s15, exec_lo
	s_and_b32 s44, vcc_lo, exec_lo
	s_delay_alu instid0(SALU_CYCLE_1)
	s_or_b32 s15, s15, s44
	s_or_b32 exec_lo, exec_lo, s14
	s_and_saveexec_b32 s14, s15
	s_cbranch_execz .LBB6_6688
.LBB6_6685:                             ;   in Loop: Header=BB6_6234 Depth=3
	v_and_b32_e32 v9, 0x7f, v2
	v_mov_b32_e32 v0, 0x7f800001
	s_mov_b32 s15, exec_lo
	s_delay_alu instid0(VALU_DEP_2)
	v_cmpx_ne_u32_e32 0x7f, v9
	s_cbranch_execz .LBB6_6687
; %bb.6686:                             ;   in Loop: Header=BB6_6234 Depth=3
	v_and_b32_e32 v0, 7, v2
	v_cmp_gt_u32_e32 vcc_lo, 8, v9
	s_delay_alu instid0(VALU_DEP_2) | instskip(NEXT) | instid1(VALU_DEP_1)
	v_clz_i32_u32_e32 v12, v0
	v_min_u32_e32 v50, 32, v12
	s_delay_alu instid0(VALU_DEP_1) | instskip(NEXT) | instid1(VALU_DEP_1)
	v_subrev_nc_u32_e32 v12, 28, v50
	v_lshlrev_b64_e32 v[12:13], v12, v[2:3]
	v_dual_lshrrev_b32 v13, 3, v9 :: v_dual_sub_nc_u32 v50, 29, v50
	s_delay_alu instid0(VALU_DEP_2) | instskip(NEXT) | instid1(VALU_DEP_1)
	v_dual_lshlrev_b32 v2, 24, v2 :: v_dual_bitop2_b32 v9, 7, v12 bitop3:0x40
	v_dual_cndmask_b32 v0, v0, v9, vcc_lo :: v_dual_cndmask_b32 v12, v13, v50, vcc_lo
	s_delay_alu instid0(VALU_DEP_2) | instskip(NEXT) | instid1(VALU_DEP_2)
	v_and_b32_e32 v2, 0x80000000, v2
	v_lshlrev_b32_e32 v0, 20, v0
	s_delay_alu instid0(VALU_DEP_3) | instskip(NEXT) | instid1(VALU_DEP_1)
	v_lshl_add_u32 v9, v12, 23, 0x3c000000
	v_or3_b32 v0, v0, v2, v9
.LBB6_6687:                             ;   in Loop: Header=BB6_6234 Depth=3
	s_or_b32 exec_lo, exec_lo, s15
.LBB6_6688:                             ;   in Loop: Header=BB6_6234 Depth=3
	s_delay_alu instid0(SALU_CYCLE_1) | instskip(NEXT) | instid1(VALU_DEP_1)
	s_or_b32 exec_lo, exec_lo, s14
	v_add_f32_e32 v0, v8, v0
                                        ; implicit-def: $vgpr12
	s_mov_b32 s14, exec_lo
	s_delay_alu instid0(VALU_DEP_1) | instskip(SKIP_1) | instid1(VALU_DEP_2)
	v_and_b32_e32 v2, 0x7f800000, v0
	v_lshrrev_b32_e32 v8, 24, v0
	v_cmpx_ne_u64_e32 0x7f800000, v[2:3]
	s_xor_b32 s15, exec_lo, s14
	s_cbranch_execz .LBB6_6702
; %bb.6689:                             ;   in Loop: Header=BB6_6234 Depth=3
	v_and_b32_e32 v2, 0x7fffffff, v0
	v_and_b32_e32 v50, 0x80, v8
                                        ; implicit-def: $vgpr12
	s_mov_b32 s14, exec_lo
	s_delay_alu instid0(VALU_DEP_2)
	v_cmpx_gt_u64_e32 0x43e00001, v[2:3]
	s_xor_b32 s44, exec_lo, s14
	s_cbranch_execz .LBB6_6699
; %bb.6690:                             ;   in Loop: Header=BB6_6234 Depth=3
	v_mov_b32_e32 v12, 0
	s_mov_b32 s45, exec_lo
	v_cmpx_ne_u32_e32 0, v0
	s_cbranch_execz .LBB6_6698
; %bb.6691:                             ;   in Loop: Header=BB6_6234 Depth=3
	v_bfe_u32 v51, v0, 23, 8
	v_and_b32_e32 v0, 0x7fffff, v0
	s_delay_alu instid0(VALU_DEP_2) | instskip(SKIP_1) | instid1(VALU_DEP_3)
	v_sub_nc_u32_e32 v2, 0x79, v51
	v_cmp_gt_u32_e32 vcc_lo, 0x7a, v51
	v_or_b32_e32 v12, 0x800000, v0
	s_delay_alu instid0(VALU_DEP_3) | instskip(SKIP_1) | instid1(VALU_DEP_2)
	v_cndmask_b32_e32 v2, 0, v2, vcc_lo
	v_cmp_eq_u32_e32 vcc_lo, 0, v51
	v_cndmask_b32_e64 v52, v2, 0x78, vcc_lo
	s_delay_alu instid0(VALU_DEP_1) | instskip(NEXT) | instid1(VALU_DEP_1)
	v_dual_add_nc_u32 v2, 20, v52 :: v_dual_add_nc_u32 v13, 19, v52
	v_lshlrev_b64_e64 v[8:9], v2, -1
	v_cndmask_b32_e32 v2, v12, v0, vcc_lo
	s_delay_alu instid0(VALU_DEP_3) | instskip(NEXT) | instid1(VALU_DEP_3)
	v_lshlrev_b64_e64 v[12:13], v13, 1
	v_bfi_b32 v55, v9, 0, 0
	s_delay_alu instid0(VALU_DEP_3) | instskip(SKIP_1) | instid1(VALU_DEP_2)
	v_bfi_b32 v54, v8, 0, v2
	v_lshrrev_b64 v[8:9], v52, v[2:3]
	v_cmp_eq_u64_e64 s14, v[54:55], v[12:13]
	s_delay_alu instid0(VALU_DEP_2)
	v_mov_b64_e32 v[12:13], v[8:9]
	s_and_saveexec_b32 s77, s14
; %bb.6692:                             ;   in Loop: Header=BB6_6234 Depth=3
	v_bfe_u32 v2, v8, 20, 1
	s_delay_alu instid0(VALU_DEP_1) | instskip(NEXT) | instid1(VALU_DEP_1)
	v_add_nc_u64_e32 v[12:13], v[8:9], v[2:3]
	v_add_nc_u64_e32 v[12:13], -1, v[12:13]
; %bb.6693:                             ;   in Loop: Header=BB6_6234 Depth=3
	s_or_b32 exec_lo, exec_lo, s77
	v_add_nc_u32_e32 v0, 0xffffff81, v51
	v_lshrrev_b32_e32 v2, 23, v8
	s_mov_b32 s14, exec_lo
	s_delay_alu instid0(VALU_DEP_2) | instskip(NEXT) | instid1(VALU_DEP_1)
	v_cndmask_b32_e64 v0, v0, 0xffffff82, vcc_lo
	v_add3_u32 v13, v52, v0, v2
	v_and_b32_e32 v0, 0xfffff, v12
	s_delay_alu instid0(VALU_DEP_1) | instskip(NEXT) | instid1(VALU_DEP_1)
	v_dual_add_nc_u32 v12, 6, v13 :: v_dual_add_nc_u32 v2, v0, v8
                                        ; implicit-def: $vgpr8_vgpr9
                                        ; implicit-def: $vgpr0
	v_cmpx_ne_u32_e32 0, v12
	s_xor_b32 s14, exec_lo, s14
; %bb.6694:                             ;   in Loop: Header=BB6_6234 Depth=3
	s_delay_alu instid0(VALU_DEP_2) | instskip(SKIP_2) | instid1(VALU_DEP_2)
	v_cmp_lt_u64_e32 vcc_lo, 0xffffff, v[2:3]
	v_add_nc_u32_e32 v0, 7, v13
	v_cndmask_b32_e64 v8, 0, 1, vcc_lo
	v_cndmask_b32_e32 v0, v12, v0, vcc_lo
	s_delay_alu instid0(VALU_DEP_2)
	v_lshrrev_b64 v[8:9], v8, v[2:3]
; %bb.6695:                             ;   in Loop: Header=BB6_6234 Depth=3
	s_and_not1_saveexec_b32 s14, s14
; %bb.6696:                             ;   in Loop: Header=BB6_6234 Depth=3
	v_mov_b64_e32 v[8:9], v[2:3]
	v_bfe_u32 v0, v2, 23, 1
; %bb.6697:                             ;   in Loop: Header=BB6_6234 Depth=3
	s_or_b32 exec_lo, exec_lo, s14
	s_delay_alu instid0(VALU_DEP_2) | instskip(NEXT) | instid1(VALU_DEP_2)
	v_lshrrev_b64 v[8:9], 20, v[8:9]
	v_cmp_gt_i32_e32 vcc_lo, 16, v0
	v_min_i32_e32 v2, 15, v0
	v_cmp_eq_u32_e64 s14, 0, v0
	s_delay_alu instid0(VALU_DEP_2) | instskip(SKIP_1) | instid1(VALU_DEP_2)
	v_dual_cndmask_b32 v9, 0, v9 :: v_dual_lshlrev_b32 v2, 3, v2
	v_cndmask_b32_e32 v8, 7, v8, vcc_lo
	v_and_b32_e32 v2, 0xf8, v2
	s_delay_alu instid0(VALU_DEP_2) | instskip(NEXT) | instid1(VALU_DEP_2)
	v_cmp_eq_u64_e32 vcc_lo, 0, v[8:9]
	v_and_or_b32 v0, v8, 7, v2
	s_and_b32 s14, s14, vcc_lo
	s_delay_alu instid0(VALU_DEP_1) | instid1(SALU_CYCLE_1)
	v_cndmask_b32_e64 v0, v0, 0, s14
	s_delay_alu instid0(VALU_DEP_1)
	v_or_b32_e32 v12, v0, v50
.LBB6_6698:                             ;   in Loop: Header=BB6_6234 Depth=3
	s_or_b32 exec_lo, exec_lo, s45
                                        ; implicit-def: $vgpr50
.LBB6_6699:                             ;   in Loop: Header=BB6_6234 Depth=3
	s_and_not1_saveexec_b32 s14, s44
; %bb.6700:                             ;   in Loop: Header=BB6_6234 Depth=3
	v_or_b32_e32 v12, 0x7e, v50
; %bb.6701:                             ;   in Loop: Header=BB6_6234 Depth=3
	s_or_b32 exec_lo, exec_lo, s14
                                        ; implicit-def: $vgpr8
.LBB6_6702:                             ;   in Loop: Header=BB6_6234 Depth=3
	s_and_not1_saveexec_b32 s14, s15
; %bb.6703:                             ;   in Loop: Header=BB6_6234 Depth=3
	v_or_b32_e32 v12, 0x7f, v8
; %bb.6704:                             ;   in Loop: Header=BB6_6234 Depth=3
	s_or_b32 exec_lo, exec_lo, s14
	v_mov_b32_e32 v8, 0
	s_mov_b32 s14, exec_lo
	v_cmpx_lt_u64_e64 s[22:23], v[14:15]
	s_cbranch_execz .LBB6_6712
; %bb.6705:                             ;   in Loop: Header=BB6_6234 Depth=3
	v_lshrrev_b32_e32 v0, 24, v15
	v_bfrev_b32_e32 v8, 1
	s_mov_b32 s15, exec_lo
	s_delay_alu instid0(VALU_DEP_2)
	v_cmpx_ne_u32_e32 0x80, v0
	s_cbranch_execz .LBB6_6711
; %bb.6706:                             ;   in Loop: Header=BB6_6234 Depth=3
	v_bfe_u32 v9, v15, 24, 7
	v_mov_b32_e32 v8, 0x7f800001
	s_mov_b32 s44, exec_lo
	s_delay_alu instid0(VALU_DEP_2)
	v_cmpx_ne_u32_e32 0x7f, v9
	s_cbranch_execz .LBB6_6710
; %bb.6707:                             ;   in Loop: Header=BB6_6234 Depth=3
	v_dual_lshrrev_b32 v13, 3, v9 :: v_dual_bitop2_b32 v2, 7, v0 bitop3:0x40
	v_cmp_gt_u32_e32 vcc_lo, 8, v9
	s_delay_alu instid0(VALU_DEP_2)
	v_mov_b64_e32 v[8:9], v[2:3]
	s_and_saveexec_b32 s45, vcc_lo
; %bb.6708:                             ;   in Loop: Header=BB6_6234 Depth=3
	v_clz_i32_u32_e32 v8, v2
	s_delay_alu instid0(VALU_DEP_1) | instskip(NEXT) | instid1(VALU_DEP_1)
	v_min_u32_e32 v13, 32, v8
	v_subrev_nc_u32_e32 v8, 28, v13
	s_delay_alu instid0(VALU_DEP_1) | instskip(NEXT) | instid1(VALU_DEP_1)
	v_lshlrev_b64_e32 v[8:9], v8, v[2:3]
	v_dual_sub_nc_u32 v13, 29, v13 :: v_dual_bitop2_b32 v8, 7, v8 bitop3:0x40
; %bb.6709:                             ;   in Loop: Header=BB6_6234 Depth=3
	s_or_b32 exec_lo, exec_lo, s45
	v_lshlrev_b32_e32 v0, 24, v0
	s_delay_alu instid0(VALU_DEP_2) | instskip(NEXT) | instid1(VALU_DEP_3)
	v_lshlrev_b32_e32 v2, 20, v8
	v_lshl_add_u32 v8, v13, 23, 0x3c000000
	s_delay_alu instid0(VALU_DEP_3) | instskip(NEXT) | instid1(VALU_DEP_1)
	v_and_b32_e32 v0, 0x80000000, v0
	v_or3_b32 v8, v2, v0, v8
.LBB6_6710:                             ;   in Loop: Header=BB6_6234 Depth=3
	s_or_b32 exec_lo, exec_lo, s44
.LBB6_6711:                             ;   in Loop: Header=BB6_6234 Depth=3
	s_delay_alu instid0(SALU_CYCLE_1)
	s_or_b32 exec_lo, exec_lo, s15
.LBB6_6712:                             ;   in Loop: Header=BB6_6234 Depth=3
	s_delay_alu instid0(SALU_CYCLE_1) | instskip(SKIP_3) | instid1(VALU_DEP_3)
	s_or_b32 exec_lo, exec_lo, s14
	v_lshrrev_b32_e32 v2, 24, v11
	v_bfe_u32 v0, v11, 24, 7
	v_cmp_gt_u64_e64 s15, s[24:25], v[10:11]
	v_cmp_eq_u32_e64 s14, 0x80, v2
	s_delay_alu instid0(VALU_DEP_3) | instskip(NEXT) | instid1(VALU_DEP_2)
	v_cmp_eq_u32_e32 vcc_lo, 0x7f, v0
	v_cndmask_b32_e64 v9, 0x7f800001, v125, s14
	s_or_b32 s14, s14, vcc_lo
	s_delay_alu instid0(VALU_DEP_1) | instskip(SKIP_1) | instid1(SALU_CYCLE_1)
	v_cndmask_b32_e64 v9, v9, 0, s15
	s_nor_b32 s15, s15, s14
	s_and_saveexec_b32 s14, s15
	s_cbranch_execz .LBB6_6714
; %bb.6713:                             ;   in Loop: Header=BB6_6234 Depth=3
	v_and_b32_e32 v9, 7, v2
	v_cmp_gt_u32_e32 vcc_lo, 8, v0
	s_delay_alu instid0(VALU_DEP_2) | instskip(NEXT) | instid1(VALU_DEP_1)
	v_clz_i32_u32_e32 v10, v9
	v_min_u32_e32 v13, 32, v10
	s_delay_alu instid0(VALU_DEP_1) | instskip(NEXT) | instid1(VALU_DEP_1)
	v_subrev_nc_u32_e32 v10, 28, v13
	v_lshlrev_b64_e32 v[10:11], v10, v[2:3]
	v_dual_lshrrev_b32 v11, 3, v0 :: v_dual_sub_nc_u32 v13, 29, v13
	v_lshlrev_b32_e32 v2, 24, v2
	s_delay_alu instid0(VALU_DEP_2) | instskip(NEXT) | instid1(VALU_DEP_2)
	v_dual_cndmask_b32 v10, v11, v13, vcc_lo :: v_dual_bitop2_b32 v0, 7, v10 bitop3:0x40
	v_and_b32_e32 v2, 0x80000000, v2
	s_delay_alu instid0(VALU_DEP_2) | instskip(NEXT) | instid1(VALU_DEP_3)
	v_cndmask_b32_e32 v0, v9, v0, vcc_lo
	v_lshl_add_u32 v9, v10, 23, 0x3c000000
	s_delay_alu instid0(VALU_DEP_2) | instskip(NEXT) | instid1(VALU_DEP_1)
	v_lshlrev_b32_e32 v0, 20, v0
	v_or3_b32 v9, v0, v2, v9
.LBB6_6714:                             ;   in Loop: Header=BB6_6234 Depth=3
	s_or_b32 exec_lo, exec_lo, s14
	s_delay_alu instid0(VALU_DEP_1) | instskip(SKIP_1) | instid1(VALU_DEP_1)
	v_add_f32_e32 v8, v8, v9
                                        ; implicit-def: $vgpr0
	s_mov_b32 s14, exec_lo
	v_and_b32_e32 v2, 0x7f800000, v8
	v_lshrrev_b32_e32 v9, 24, v8
	s_delay_alu instid0(VALU_DEP_2)
	v_cmpx_ne_u64_e32 0x7f800000, v[2:3]
	s_xor_b32 s15, exec_lo, s14
	s_cbranch_execz .LBB6_6728
; %bb.6715:                             ;   in Loop: Header=BB6_6234 Depth=3
	v_and_b32_e32 v2, 0x7fffffff, v8
	v_and_b32_e32 v13, 0x80, v9
                                        ; implicit-def: $vgpr0
	s_mov_b32 s14, exec_lo
	s_delay_alu instid0(VALU_DEP_2)
	v_cmpx_gt_u64_e32 0x43e00001, v[2:3]
	s_xor_b32 s44, exec_lo, s14
	s_cbranch_execz .LBB6_6725
; %bb.6716:                             ;   in Loop: Header=BB6_6234 Depth=3
	v_mov_b32_e32 v0, 0
	s_mov_b32 s45, exec_lo
	v_cmpx_ne_u32_e32 0, v8
	s_cbranch_execz .LBB6_6724
; %bb.6717:                             ;   in Loop: Header=BB6_6234 Depth=3
	v_bfe_u32 v0, v8, 23, 8
	s_delay_alu instid0(VALU_DEP_1) | instskip(SKIP_1) | instid1(VALU_DEP_2)
	v_sub_nc_u32_e32 v2, 0x79, v0
	v_cmp_gt_u32_e32 vcc_lo, 0x7a, v0
	v_cndmask_b32_e32 v2, 0, v2, vcc_lo
	v_cmp_eq_u32_e32 vcc_lo, 0, v0
	s_delay_alu instid0(VALU_DEP_2) | instskip(SKIP_1) | instid1(VALU_DEP_2)
	v_cndmask_b32_e64 v14, v2, 0x78, vcc_lo
	v_and_b32_e32 v2, 0x7fffff, v8
	v_dual_add_nc_u32 v8, 20, v14 :: v_dual_add_nc_u32 v11, 19, v14
	s_delay_alu instid0(VALU_DEP_2) | instskip(NEXT) | instid1(VALU_DEP_2)
	v_or_b32_e32 v10, 0x800000, v2
	v_lshlrev_b64_e64 v[8:9], v8, -1
	s_delay_alu instid0(VALU_DEP_2) | instskip(NEXT) | instid1(VALU_DEP_4)
	v_cndmask_b32_e32 v2, v10, v2, vcc_lo
	v_lshlrev_b64_e64 v[10:11], v11, 1
	s_delay_alu instid0(VALU_DEP_3) | instskip(NEXT) | instid1(VALU_DEP_3)
	v_bfi_b32 v51, v9, 0, 0
	v_bfi_b32 v50, v8, 0, v2
	v_lshrrev_b64 v[8:9], v14, v[2:3]
	s_delay_alu instid0(VALU_DEP_2) | instskip(NEXT) | instid1(VALU_DEP_2)
	v_cmp_eq_u64_e64 s14, v[50:51], v[10:11]
	v_mov_b64_e32 v[10:11], v[8:9]
	s_and_saveexec_b32 s77, s14
; %bb.6718:                             ;   in Loop: Header=BB6_6234 Depth=3
	v_bfe_u32 v2, v8, 20, 1
	s_delay_alu instid0(VALU_DEP_1) | instskip(NEXT) | instid1(VALU_DEP_1)
	v_add_nc_u64_e32 v[10:11], v[8:9], v[2:3]
	v_add_nc_u64_e32 v[10:11], -1, v[10:11]
; %bb.6719:                             ;   in Loop: Header=BB6_6234 Depth=3
	s_or_b32 exec_lo, exec_lo, s77
	v_add_nc_u32_e32 v0, 0xffffff81, v0
	v_lshrrev_b32_e32 v2, 23, v8
	s_mov_b32 s14, exec_lo
	s_delay_alu instid0(VALU_DEP_2) | instskip(NEXT) | instid1(VALU_DEP_1)
	v_cndmask_b32_e64 v0, v0, 0xffffff82, vcc_lo
	v_add3_u32 v11, v14, v0, v2
	v_and_b32_e32 v0, 0xfffff, v10
	s_delay_alu instid0(VALU_DEP_1) | instskip(NEXT) | instid1(VALU_DEP_1)
	v_dual_add_nc_u32 v10, 6, v11 :: v_dual_add_nc_u32 v2, v0, v8
                                        ; implicit-def: $vgpr8_vgpr9
                                        ; implicit-def: $vgpr0
	v_cmpx_ne_u32_e32 0, v10
	s_xor_b32 s14, exec_lo, s14
; %bb.6720:                             ;   in Loop: Header=BB6_6234 Depth=3
	s_delay_alu instid0(VALU_DEP_2) | instskip(SKIP_2) | instid1(VALU_DEP_2)
	v_cmp_lt_u64_e32 vcc_lo, 0xffffff, v[2:3]
	v_add_nc_u32_e32 v0, 7, v11
	v_cndmask_b32_e64 v8, 0, 1, vcc_lo
	v_cndmask_b32_e32 v0, v10, v0, vcc_lo
	s_delay_alu instid0(VALU_DEP_2)
	v_lshrrev_b64 v[8:9], v8, v[2:3]
; %bb.6721:                             ;   in Loop: Header=BB6_6234 Depth=3
	s_and_not1_saveexec_b32 s14, s14
; %bb.6722:                             ;   in Loop: Header=BB6_6234 Depth=3
	v_mov_b64_e32 v[8:9], v[2:3]
	v_bfe_u32 v0, v2, 23, 1
; %bb.6723:                             ;   in Loop: Header=BB6_6234 Depth=3
	s_or_b32 exec_lo, exec_lo, s14
	s_delay_alu instid0(VALU_DEP_2) | instskip(NEXT) | instid1(VALU_DEP_2)
	v_lshrrev_b64 v[8:9], 20, v[8:9]
	v_cmp_gt_i32_e32 vcc_lo, 16, v0
	v_min_i32_e32 v2, 15, v0
	v_cmp_eq_u32_e64 s14, 0, v0
	s_delay_alu instid0(VALU_DEP_2) | instskip(SKIP_1) | instid1(VALU_DEP_2)
	v_dual_cndmask_b32 v9, 0, v9 :: v_dual_lshlrev_b32 v2, 3, v2
	v_cndmask_b32_e32 v8, 7, v8, vcc_lo
	v_and_b32_e32 v2, 0xf8, v2
	s_delay_alu instid0(VALU_DEP_2) | instskip(NEXT) | instid1(VALU_DEP_2)
	v_cmp_eq_u64_e32 vcc_lo, 0, v[8:9]
	v_and_or_b32 v0, v8, 7, v2
	s_and_b32 s14, s14, vcc_lo
	s_delay_alu instid0(VALU_DEP_1) | instid1(SALU_CYCLE_1)
	v_cndmask_b32_e64 v0, v0, 0, s14
	s_delay_alu instid0(VALU_DEP_1)
	v_or_b32_e32 v0, v0, v13
.LBB6_6724:                             ;   in Loop: Header=BB6_6234 Depth=3
	s_or_b32 exec_lo, exec_lo, s45
                                        ; implicit-def: $vgpr13
.LBB6_6725:                             ;   in Loop: Header=BB6_6234 Depth=3
	s_and_not1_saveexec_b32 s14, s44
; %bb.6726:                             ;   in Loop: Header=BB6_6234 Depth=3
	v_or_b32_e32 v0, 0x7e, v13
; %bb.6727:                             ;   in Loop: Header=BB6_6234 Depth=3
	s_or_b32 exec_lo, exec_lo, s14
                                        ; implicit-def: $vgpr9
.LBB6_6728:                             ;   in Loop: Header=BB6_6234 Depth=3
	s_and_not1_saveexec_b32 s14, s15
; %bb.6729:                             ;   in Loop: Header=BB6_6234 Depth=3
	v_or_b32_e32 v0, 0x7f, v9
; %bb.6730:                             ;   in Loop: Header=BB6_6234 Depth=3
	s_or_b32 exec_lo, exec_lo, s14
	v_lshl_or_b32 v2, v33, 8, v32
	v_dual_lshlrev_b32 v8, 16, v26 :: v_dual_lshlrev_b32 v9, 24, v27
	v_lshl_or_b32 v4, v5, 8, v4
	v_dual_lshlrev_b32 v5, 16, v36 :: v_dual_lshlrev_b32 v10, 24, v37
	;; [unrolled: 2-line block ×3, first 2 shown]
	v_lshlrev_b32_e32 v0, 24, v0
	v_lshlrev_b32_e32 v12, 16, v12
	v_lshl_or_b32 v15, v25, 8, v24
	v_or3_b32 v9, v2, v8, v9
	v_or3_b32 v8, v4, v5, v10
	;; [unrolled: 1-line block ×3, first 2 shown]
	s_mov_b64 s[44:45], 0
	v_or3_b32 v11, v15, v12, v0
	s_mov_b32 s77, -1
.LBB6_6731:                             ;   Parent Loop BB6_47 Depth=1
                                        ;     Parent Loop BB6_4163 Depth=2
                                        ;       Parent Loop BB6_6234 Depth=3
                                        ; =>      This Inner Loop Header: Depth=4
	s_cmp_eq_u32 s44, 1
	s_cselect_b32 vcc_lo, -1, 0
	s_cmp_eq_u32 s44, 0
	s_wait_xcnt 0x0
	v_dual_cndmask_b32 v5, v17, v19 :: v_dual_cndmask_b32 v4, v16, v18
	s_cselect_b32 s14, -1, 0
	s_and_b32 s15, exec_lo, s77
	s_mov_b64 s[44:45], 1
	s_mov_b32 s77, 0
	v_add_nc_u64_e32 v[12:13], 0x200, v[4:5]
	global_store_b128 v[4:5], v[8:11], off th:TH_STORE_NT
	v_dual_cndmask_b32 v19, v19, v13 :: v_dual_cndmask_b32 v18, v18, v12
	v_dual_cndmask_b32 v17, v17, v13, s14 :: v_dual_cndmask_b32 v16, v16, v12, s14
	s_mov_b32 vcc_lo, s15
	s_cbranch_vccnz .LBB6_6731
; %bb.6732:                             ;   in Loop: Header=BB6_6234 Depth=3
	scratch_load_b64 v[4:5], off, s33 offset:188 ; 8-byte Folded Reload
	v_sub_nc_u32_e32 v1, v1, v112
	v_sub_nc_u32_e32 v35, v35, v84
	s_delay_alu instid0(VALU_DEP_2)
	v_cmp_gt_i32_e32 vcc_lo, 16, v1
	s_or_b32 s76, vcc_lo, s76
	s_wait_loadcnt 0x0
	v_add_nc_u64_e32 v[20:21], v[20:21], v[4:5]
	v_add_nc_u64_e32 v[22:23], v[22:23], v[4:5]
	scratch_load_b64 v[4:5], off, s33 offset:264 ; 8-byte Folded Reload
	s_wait_loadcnt 0x0
	v_add_nc_u64_e32 v[16:17], v[16:17], v[4:5]
	v_add_nc_u64_e32 v[18:19], v[18:19], v[4:5]
	s_wait_xcnt 0x0
	s_and_not1_b32 exec_lo, exec_lo, s76
	s_cbranch_execnz .LBB6_6234
; %bb.6733:                             ;   in Loop: Header=BB6_4163 Depth=2
	s_or_b32 exec_lo, exec_lo, s76
.LBB6_6734:                             ;   in Loop: Header=BB6_4163 Depth=2
	s_delay_alu instid0(SALU_CYCLE_1) | instskip(SKIP_3) | instid1(VALU_DEP_1)
	s_or_b32 exec_lo, exec_lo, s75
	v_dual_mov_b32 v1, 0 :: v_dual_bitop2_b32 v0, 15, v75 bitop3:0x40
	s_mov_b32 s14, 0
	s_mov_b32 s15, exec_lo
                                        ; implicit-def: $vgpr5
                                        ; implicit-def: $vgpr2
	v_cndmask_b32_e64 v4, v34, v0, s13
	s_delay_alu instid0(VALU_DEP_1)
	v_cmpx_ne_u32_e32 0, v4
	s_cbranch_execz .LBB6_6736
; %bb.6735:                             ;   in Loop: Header=BB6_4163 Depth=2
	v_cmp_lt_i32_e32 vcc_lo, 0, v35
	s_mov_b32 s14, exec_lo
	v_sub_nc_u32_e32 v0, v34, v0
	v_cndmask_b32_e32 v1, 0, v84, vcc_lo
	s_delay_alu instid0(VALU_DEP_1) | instskip(NEXT) | instid1(VALU_DEP_1)
	v_dual_cndmask_b32 v0, 0, v0, s13 :: v_dual_sub_nc_u32 v1, v1, v35
	v_lshl_add_u32 v5, v1, 5, v31
	s_delay_alu instid0(VALU_DEP_1) | instskip(NEXT) | instid1(VALU_DEP_1)
	v_ashrrev_i32_e32 v1, 31, v5
	v_lshrrev_b32_e32 v1, 27, v1
	s_delay_alu instid0(VALU_DEP_1) | instskip(SKIP_1) | instid1(VALU_DEP_2)
	v_add_nc_u32_e32 v2, v5, v1
	v_add3_u32 v1, v29, v28, v0
	v_ashrrev_i32_e32 v2, 5, v2
.LBB6_6736:                             ;   in Loop: Header=BB6_4163 Depth=2
	s_or_b32 exec_lo, exec_lo, s15
	s_delay_alu instid0(SALU_CYCLE_1)
	s_and_b32 s13, s14, exec_lo
.LBB6_6737:                             ;   in Loop: Header=BB6_4163 Depth=2
	s_or_b32 exec_lo, exec_lo, s74
	s_and_saveexec_b32 s15, s13
	s_cbranch_execz .LBB6_7936
.LBB6_6738:                             ;   in Loop: Header=BB6_4163 Depth=2
	v_ashrrev_i32_e32 v0, 31, v4
	s_mov_b32 s14, exec_lo
	s_delay_alu instid0(VALU_DEP_1) | instskip(NEXT) | instid1(VALU_DEP_1)
	v_lshrrev_b32_e32 v0, 22, v0
	v_add_nc_u32_e32 v0, v4, v0
	s_delay_alu instid0(VALU_DEP_1) | instskip(NEXT) | instid1(VALU_DEP_1)
	v_dual_ashrrev_i32 v22, 10, v0 :: v_dual_ashrrev_i32 v0, 31, v5
	v_dual_sub_nc_u32 v20, v22, v2 :: v_dual_lshrrev_b32 v21, 27, v0
	s_delay_alu instid0(VALU_DEP_1)
	v_cmpx_lt_i32_e32 0, v20
	s_cbranch_execz .LBB6_7894
; %bb.6739:                             ;   in Loop: Header=BB6_4163 Depth=2
	s_trap 2
	s_clause 0x1
	scratch_load_b64 v[8:9], off, s33 offset:256
	scratch_load_b64 v[12:13], off, s33 offset:248
	v_dual_add_nc_u32 v0, v5, v21 :: v_dual_lshlrev_b32 v2, 10, v2
	s_mov_b32 s44, 0
	s_delay_alu instid0(VALU_DEP_1) | instskip(SKIP_2) | instid1(VALU_DEP_1)
	v_and_b32_e32 v0, 0xffffffe0, v0
	ds_load_b64 v[14:15], v0
	v_sub_nc_u32_e32 v0, v5, v0
	v_add3_u32 v16, v1, v0, v2
	s_delay_alu instid0(VALU_DEP_1) | instskip(NEXT) | instid1(VALU_DEP_1)
	v_ashrrev_i32_e32 v17, 31, v16
	v_add_nc_u64_e32 v[10:11], v[16:17], v[92:93]
	s_wait_dscnt 0x0
	v_add_nc_u64_e32 v[14:15], v[14:15], v[16:17]
	s_wait_loadcnt 0x1
	v_add_nc_u64_e32 v[8:9], v[16:17], v[8:9]
	s_wait_loadcnt 0x0
	v_add_nc_u64_e32 v[12:13], v[16:17], v[12:13]
	s_branch .LBB6_6741
.LBB6_6740:                             ;   in Loop: Header=BB6_6741 Depth=3
	s_or_b32 exec_lo, exec_lo, s13
	v_sub_nc_u32_e32 v20, v20, v84
	s_clause 0x1f
	flat_store_b8 v[8:9], v24 th:TH_STORE_NT
	flat_store_b8 v[8:9], v27 offset:32 th:TH_STORE_NT
	flat_store_b8 v[8:9], v31 offset:64 th:TH_STORE_NT
	;; [unrolled: 1-line block ×31, first 2 shown]
	s_clause 0x1f
	flat_store_b8 v[10:11], v24 th:TH_STORE_NT
	flat_store_b8 v[10:11], v27 offset:32 th:TH_STORE_NT
	flat_store_b8 v[10:11], v31 offset:64 th:TH_STORE_NT
	;; [unrolled: 1-line block ×31, first 2 shown]
	v_add_nc_u64_e32 v[12:13], v[12:13], v[114:115]
	v_add_nc_u64_e32 v[14:15], v[14:15], v[114:115]
	s_wait_xcnt 0x20
	v_add_nc_u64_e32 v[8:9], v[8:9], v[114:115]
	v_cmp_gt_i32_e32 vcc_lo, 1, v20
	s_wait_xcnt 0x0
	v_add_nc_u64_e32 v[10:11], v[10:11], v[114:115]
	s_or_b32 s44, vcc_lo, s44
	s_delay_alu instid0(SALU_CYCLE_1)
	s_and_not1_b32 exec_lo, exec_lo, s44
	s_cbranch_execz .LBB6_7893
.LBB6_6741:                             ;   Parent Loop BB6_47 Depth=1
                                        ;     Parent Loop BB6_4163 Depth=2
                                        ; =>    This Inner Loop Header: Depth=3
	s_clause 0x1f
	flat_load_u8 v19, v[12:13] th:TH_LOAD_NT
	flat_load_u8 v67, v[12:13] offset:32 th:TH_LOAD_NT
	flat_load_u8 v66, v[12:13] offset:64 th:TH_LOAD_NT
	;; [unrolled: 1-line block ×31, first 2 shown]
	s_clause 0x1f
	flat_load_u8 v18, v[14:15] th:TH_LOAD_NT
	flat_load_u8 v27, v[14:15] offset:32 th:TH_LOAD_NT
	flat_load_u8 v31, v[14:15] offset:64 th:TH_LOAD_NT
	;; [unrolled: 1-line block ×31, first 2 shown]
	v_dual_mov_b32 v24, 0 :: v_dual_mov_b32 v123, 0
	s_mov_b32 s13, exec_lo
	s_wait_loadcnt_dscnt 0x3e3e
	s_wait_xcnt 0x0
	v_cmpx_ne_u16_e32 0, v19
	s_cbranch_execz .LBB6_6749
; %bb.6742:                             ;   in Loop: Header=BB6_6741 Depth=3
	v_bfrev_b32_e32 v123, 1
	s_mov_b32 s45, exec_lo
	v_cmpx_ne_u16_e32 0x80, v19
	s_cbranch_execz .LBB6_6748
; %bb.6743:                             ;   in Loop: Header=BB6_6741 Depth=3
	v_and_b32_e32 v0, 0xffff, v19
	v_mov_b32_e32 v123, 0x7f800001
	s_mov_b32 s74, exec_lo
	s_delay_alu instid0(VALU_DEP_2) | instskip(NEXT) | instid1(VALU_DEP_1)
	v_and_b32_e32 v16, 0x7f, v0
	v_cmpx_ne_u32_e32 0x7f, v16
	s_cbranch_execz .LBB6_6747
; %bb.6744:                             ;   in Loop: Header=BB6_6741 Depth=3
	v_and_b32_e32 v2, 7, v0
	v_lshrrev_b32_e32 v0, 3, v16
	v_cmp_gt_u32_e32 vcc_lo, 8, v16
	s_delay_alu instid0(VALU_DEP_3)
	v_mov_b64_e32 v[16:17], v[2:3]
	s_and_saveexec_b32 s75, vcc_lo
; %bb.6745:                             ;   in Loop: Header=BB6_6741 Depth=3
	v_clz_i32_u32_e32 v0, v2
	s_delay_alu instid0(VALU_DEP_1) | instskip(NEXT) | instid1(VALU_DEP_1)
	v_min_u32_e32 v0, 32, v0
	v_subrev_nc_u32_e32 v16, 28, v0
	v_sub_nc_u32_e32 v0, 29, v0
	s_delay_alu instid0(VALU_DEP_2) | instskip(NEXT) | instid1(VALU_DEP_1)
	v_lshlrev_b64_e32 v[16:17], v16, v[2:3]
	v_and_b32_e32 v16, 7, v16
; %bb.6746:                             ;   in Loop: Header=BB6_6741 Depth=3
	s_or_b32 exec_lo, exec_lo, s75
	s_delay_alu instid0(VALU_DEP_1) | instskip(SKIP_1) | instid1(VALU_DEP_2)
	v_dual_lshlrev_b32 v2, 24, v19 :: v_dual_lshlrev_b32 v16, 20, v16
	v_lshl_add_u32 v0, v0, 23, 0x3c000000
	v_and_b32_e32 v2, 0x80000000, v2
	s_delay_alu instid0(VALU_DEP_1)
	v_or3_b32 v123, v16, v2, v0
.LBB6_6747:                             ;   in Loop: Header=BB6_6741 Depth=3
	s_or_b32 exec_lo, exec_lo, s74
.LBB6_6748:                             ;   in Loop: Header=BB6_6741 Depth=3
	s_delay_alu instid0(SALU_CYCLE_1)
	s_or_b32 exec_lo, exec_lo, s45
.LBB6_6749:                             ;   in Loop: Header=BB6_6741 Depth=3
	s_delay_alu instid0(SALU_CYCLE_1) | instskip(SKIP_3) | instid1(VALU_DEP_1)
	s_or_b32 exec_lo, exec_lo, s13
	s_wait_loadcnt_dscnt 0x1f1f
	v_and_b32_e32 v0, 0xff, v18
	s_mov_b32 s13, exec_lo
	v_cmpx_ne_u16_e32 0, v0
	s_cbranch_execz .LBB6_6757
; %bb.6750:                             ;   in Loop: Header=BB6_6741 Depth=3
	v_bfrev_b32_e32 v24, 1
	s_mov_b32 s45, exec_lo
	v_cmpx_ne_u16_e32 0x80, v0
	s_cbranch_execz .LBB6_6756
; %bb.6751:                             ;   in Loop: Header=BB6_6741 Depth=3
	v_and_b32_e32 v16, 0x7f, v18
	v_mov_b32_e32 v24, 0x7f800001
	s_mov_b32 s74, exec_lo
	s_delay_alu instid0(VALU_DEP_2)
	v_cmpx_ne_u32_e32 0x7f, v16
	s_cbranch_execz .LBB6_6755
; %bb.6752:                             ;   in Loop: Header=BB6_6741 Depth=3
	v_and_b32_e32 v2, 7, v0
	v_lshrrev_b32_e32 v0, 3, v16
	v_cmp_gt_u32_e32 vcc_lo, 8, v16
	s_delay_alu instid0(VALU_DEP_3)
	v_mov_b64_e32 v[16:17], v[2:3]
	s_and_saveexec_b32 s75, vcc_lo
; %bb.6753:                             ;   in Loop: Header=BB6_6741 Depth=3
	v_clz_i32_u32_e32 v0, v2
	s_delay_alu instid0(VALU_DEP_1) | instskip(NEXT) | instid1(VALU_DEP_1)
	v_min_u32_e32 v0, 32, v0
	v_subrev_nc_u32_e32 v16, 28, v0
	v_sub_nc_u32_e32 v0, 29, v0
	s_delay_alu instid0(VALU_DEP_2) | instskip(NEXT) | instid1(VALU_DEP_1)
	v_lshlrev_b64_e32 v[16:17], v16, v[2:3]
	v_and_b32_e32 v16, 7, v16
; %bb.6754:                             ;   in Loop: Header=BB6_6741 Depth=3
	s_or_b32 exec_lo, exec_lo, s75
	s_delay_alu instid0(VALU_DEP_1) | instskip(SKIP_1) | instid1(VALU_DEP_2)
	v_dual_lshlrev_b32 v2, 24, v18 :: v_dual_lshlrev_b32 v16, 20, v16
	v_lshl_add_u32 v0, v0, 23, 0x3c000000
	v_and_b32_e32 v2, 0x80000000, v2
	s_delay_alu instid0(VALU_DEP_1)
	v_or3_b32 v24, v16, v2, v0
.LBB6_6755:                             ;   in Loop: Header=BB6_6741 Depth=3
	s_or_b32 exec_lo, exec_lo, s74
.LBB6_6756:                             ;   in Loop: Header=BB6_6741 Depth=3
	s_delay_alu instid0(SALU_CYCLE_1)
	s_or_b32 exec_lo, exec_lo, s45
.LBB6_6757:                             ;   in Loop: Header=BB6_6741 Depth=3
	s_delay_alu instid0(SALU_CYCLE_1) | instskip(NEXT) | instid1(VALU_DEP_1)
	s_or_b32 exec_lo, exec_lo, s13
	v_add_f32_e32 v0, v123, v24
                                        ; implicit-def: $vgpr24
	s_mov_b32 s13, exec_lo
	s_delay_alu instid0(VALU_DEP_1) | instskip(SKIP_1) | instid1(VALU_DEP_2)
	v_and_b32_e32 v2, 0x7f800000, v0
	v_lshrrev_b32_e32 v16, 24, v0
	v_cmpx_ne_u64_e32 0x7f800000, v[2:3]
	s_xor_b32 s45, exec_lo, s13
	s_cbranch_execz .LBB6_6775
; %bb.6758:                             ;   in Loop: Header=BB6_6741 Depth=3
	v_and_b32_e32 v2, 0x7fffffff, v0
	v_and_b32_e32 v126, 0x80, v16
                                        ; implicit-def: $vgpr24
	s_mov_b32 s13, exec_lo
	s_delay_alu instid0(VALU_DEP_2)
	v_cmpx_gt_u64_e32 0x43e00001, v[2:3]
	s_xor_b32 s74, exec_lo, s13
	s_cbranch_execz .LBB6_6772
; %bb.6759:                             ;   in Loop: Header=BB6_6741 Depth=3
	v_mov_b32_e32 v24, 0
	s_mov_b32 s75, exec_lo
	v_cmpx_ne_u32_e32 0, v0
	s_cbranch_execz .LBB6_6771
; %bb.6760:                             ;   in Loop: Header=BB6_6741 Depth=3
	v_bfe_u32 v24, v0, 23, 8
	v_and_b32_e32 v2, 0x7fffff, v0
	s_delay_alu instid0(VALU_DEP_2) | instskip(SKIP_2) | instid1(VALU_DEP_4)
	v_cmp_gt_u32_e64 s13, 0x7a, v24
	v_sub_nc_u32_e32 v0, 0x79, v24
	v_cmp_eq_u32_e32 vcc_lo, 0, v24
	v_or_b32_e32 v16, 0x800000, v2
	s_delay_alu instid0(VALU_DEP_1) | instskip(NEXT) | instid1(VALU_DEP_1)
	v_dual_cndmask_b32 v0, 0, v0, s13 :: v_dual_cndmask_b32 v2, v16, v2, vcc_lo
	v_cndmask_b32_e64 v0, v0, 0x78, vcc_lo
	s_delay_alu instid0(VALU_DEP_1) | instskip(NEXT) | instid1(VALU_DEP_1)
	v_dual_add_nc_u32 v16, 20, v0 :: v_dual_add_nc_u32 v18, 19, v0
	v_lshlrev_b64_e64 v[16:17], v16, -1
	s_delay_alu instid0(VALU_DEP_2) | instskip(NEXT) | instid1(VALU_DEP_2)
	v_lshlrev_b64_e64 v[18:19], v18, 1
	v_bfi_b32 v17, v17, 0, 0
	s_delay_alu instid0(VALU_DEP_3) | instskip(NEXT) | instid1(VALU_DEP_1)
	v_bfi_b32 v16, v16, 0, v2
	v_cmp_eq_u64_e64 s13, v[16:17], v[18:19]
	v_lshrrev_b64 v[16:17], v0, v[2:3]
	s_delay_alu instid0(VALU_DEP_1)
	v_mov_b64_e32 v[18:19], v[16:17]
	s_and_saveexec_b32 s76, s13
; %bb.6761:                             ;   in Loop: Header=BB6_6741 Depth=3
	v_bfe_u32 v2, v16, 20, 1
	s_delay_alu instid0(VALU_DEP_1) | instskip(NEXT) | instid1(VALU_DEP_1)
	v_add_nc_u64_e32 v[18:19], v[16:17], v[2:3]
	v_add_nc_u64_e32 v[18:19], -1, v[18:19]
; %bb.6762:                             ;   in Loop: Header=BB6_6741 Depth=3
	s_or_b32 exec_lo, exec_lo, s76
	v_add_nc_u32_e32 v2, 0xffffff81, v24
	v_lshrrev_b32_e32 v17, 23, v16
	s_mov_b32 s13, exec_lo
	s_delay_alu instid0(VALU_DEP_2) | instskip(NEXT) | instid1(VALU_DEP_1)
	v_cndmask_b32_e64 v2, v2, 0xffffff82, vcc_lo
	v_add3_u32 v19, v0, v2, v17
	v_and_b32_e32 v0, 0xfffff, v18
	s_delay_alu instid0(VALU_DEP_1) | instskip(NEXT) | instid1(VALU_DEP_1)
	v_dual_add_nc_u32 v18, 6, v19 :: v_dual_add_nc_u32 v2, v0, v16
                                        ; implicit-def: $vgpr16_vgpr17
                                        ; implicit-def: $vgpr0
	v_cmpx_ne_u32_e32 0, v18
	s_xor_b32 s13, exec_lo, s13
; %bb.6763:                             ;   in Loop: Header=BB6_6741 Depth=3
	s_delay_alu instid0(VALU_DEP_2) | instskip(SKIP_2) | instid1(VALU_DEP_2)
	v_cmp_lt_u64_e32 vcc_lo, 0xffffff, v[2:3]
	v_add_nc_u32_e32 v0, 7, v19
	v_cndmask_b32_e64 v16, 0, 1, vcc_lo
	v_cndmask_b32_e32 v0, v18, v0, vcc_lo
	s_delay_alu instid0(VALU_DEP_2)
	v_lshrrev_b64 v[16:17], v16, v[2:3]
; %bb.6764:                             ;   in Loop: Header=BB6_6741 Depth=3
	s_and_not1_saveexec_b32 s13, s13
; %bb.6765:                             ;   in Loop: Header=BB6_6741 Depth=3
	v_mov_b64_e32 v[16:17], v[2:3]
	v_bfe_u32 v0, v2, 23, 1
; %bb.6766:                             ;   in Loop: Header=BB6_6741 Depth=3
	s_or_b32 exec_lo, exec_lo, s13
	s_delay_alu instid0(VALU_DEP_2) | instskip(NEXT) | instid1(VALU_DEP_2)
	v_lshrrev_b64 v[16:17], 20, v[16:17]
	v_cmp_gt_i32_e32 vcc_lo, 16, v0
	v_cmp_ne_u32_e64 s13, 0, v0
                                        ; implicit-def: $vgpr24
	s_delay_alu instid0(VALU_DEP_3) | instskip(NEXT) | instid1(VALU_DEP_1)
	v_dual_cndmask_b32 v17, 0, v17 :: v_dual_cndmask_b32 v16, 7, v16
	v_cmp_ne_u64_e32 vcc_lo, 0, v[16:17]
	s_or_b32 s13, s13, vcc_lo
	s_delay_alu instid0(SALU_CYCLE_1) | instskip(NEXT) | instid1(SALU_CYCLE_1)
	s_and_saveexec_b32 s76, s13
	s_xor_b32 s13, exec_lo, s76
; %bb.6767:                             ;   in Loop: Header=BB6_6741 Depth=3
	v_min_i32_e32 v0, 15, v0
	s_delay_alu instid0(VALU_DEP_1) | instskip(NEXT) | instid1(VALU_DEP_1)
	v_lshl_or_b32 v0, v0, 3, v126
                                        ; implicit-def: $vgpr126
	v_and_or_b32 v24, v16, 7, v0
; %bb.6768:                             ;   in Loop: Header=BB6_6741 Depth=3
	s_and_not1_saveexec_b32 s13, s13
; %bb.6769:                             ;   in Loop: Header=BB6_6741 Depth=3
	v_mov_b32_e32 v24, v126
; %bb.6770:                             ;   in Loop: Header=BB6_6741 Depth=3
	s_or_b32 exec_lo, exec_lo, s13
.LBB6_6771:                             ;   in Loop: Header=BB6_6741 Depth=3
	s_delay_alu instid0(SALU_CYCLE_1)
	s_or_b32 exec_lo, exec_lo, s75
                                        ; implicit-def: $vgpr126
.LBB6_6772:                             ;   in Loop: Header=BB6_6741 Depth=3
	s_and_not1_saveexec_b32 s13, s74
; %bb.6773:                             ;   in Loop: Header=BB6_6741 Depth=3
	v_or_b32_e32 v24, 0x7e, v126
; %bb.6774:                             ;   in Loop: Header=BB6_6741 Depth=3
	s_or_b32 exec_lo, exec_lo, s13
                                        ; implicit-def: $vgpr16
.LBB6_6775:                             ;   in Loop: Header=BB6_6741 Depth=3
	s_and_not1_saveexec_b32 s13, s45
; %bb.6776:                             ;   in Loop: Header=BB6_6741 Depth=3
	v_or_b32_e32 v24, 0x7f, v16
; %bb.6777:                             ;   in Loop: Header=BB6_6741 Depth=3
	s_or_b32 exec_lo, exec_lo, s13
	v_and_b32_e32 v0, 0xff, v67
	v_dual_mov_b32 v18, 0 :: v_dual_mov_b32 v19, 0
	s_mov_b32 s13, exec_lo
	s_delay_alu instid0(VALU_DEP_2)
	v_cmpx_ne_u16_e32 0, v0
	s_cbranch_execz .LBB6_6785
; %bb.6778:                             ;   in Loop: Header=BB6_6741 Depth=3
	v_bfrev_b32_e32 v19, 1
	s_mov_b32 s45, exec_lo
	v_cmpx_ne_u16_e32 0x80, v0
	s_cbranch_execz .LBB6_6784
; %bb.6779:                             ;   in Loop: Header=BB6_6741 Depth=3
	v_and_b32_e32 v16, 0x7f, v67
	v_mov_b32_e32 v19, 0x7f800001
	s_mov_b32 s74, exec_lo
	s_delay_alu instid0(VALU_DEP_2)
	v_cmpx_ne_u32_e32 0x7f, v16
	s_cbranch_execz .LBB6_6783
; %bb.6780:                             ;   in Loop: Header=BB6_6741 Depth=3
	v_and_b32_e32 v2, 7, v0
	v_lshrrev_b32_e32 v0, 3, v16
	v_cmp_gt_u32_e32 vcc_lo, 8, v16
	s_delay_alu instid0(VALU_DEP_3)
	v_mov_b64_e32 v[16:17], v[2:3]
	s_and_saveexec_b32 s75, vcc_lo
; %bb.6781:                             ;   in Loop: Header=BB6_6741 Depth=3
	v_clz_i32_u32_e32 v0, v2
	s_delay_alu instid0(VALU_DEP_1) | instskip(NEXT) | instid1(VALU_DEP_1)
	v_min_u32_e32 v0, 32, v0
	v_subrev_nc_u32_e32 v16, 28, v0
	v_sub_nc_u32_e32 v0, 29, v0
	s_delay_alu instid0(VALU_DEP_2) | instskip(NEXT) | instid1(VALU_DEP_1)
	v_lshlrev_b64_e32 v[16:17], v16, v[2:3]
	v_and_b32_e32 v16, 7, v16
; %bb.6782:                             ;   in Loop: Header=BB6_6741 Depth=3
	s_or_b32 exec_lo, exec_lo, s75
	s_delay_alu instid0(VALU_DEP_1) | instskip(SKIP_1) | instid1(VALU_DEP_2)
	v_dual_lshlrev_b32 v2, 24, v67 :: v_dual_lshlrev_b32 v16, 20, v16
	v_lshl_add_u32 v0, v0, 23, 0x3c000000
	v_and_b32_e32 v2, 0x80000000, v2
	s_delay_alu instid0(VALU_DEP_1)
	v_or3_b32 v19, v16, v2, v0
.LBB6_6783:                             ;   in Loop: Header=BB6_6741 Depth=3
	s_or_b32 exec_lo, exec_lo, s74
.LBB6_6784:                             ;   in Loop: Header=BB6_6741 Depth=3
	s_delay_alu instid0(SALU_CYCLE_1)
	s_or_b32 exec_lo, exec_lo, s45
.LBB6_6785:                             ;   in Loop: Header=BB6_6741 Depth=3
	s_delay_alu instid0(SALU_CYCLE_1) | instskip(SKIP_3) | instid1(VALU_DEP_1)
	s_or_b32 exec_lo, exec_lo, s13
	s_wait_loadcnt_dscnt 0x1e1e
	v_and_b32_e32 v0, 0xff, v27
	s_mov_b32 s13, exec_lo
	v_cmpx_ne_u16_e32 0, v0
	s_cbranch_execz .LBB6_6793
; %bb.6786:                             ;   in Loop: Header=BB6_6741 Depth=3
	v_bfrev_b32_e32 v18, 1
	s_mov_b32 s45, exec_lo
	v_cmpx_ne_u16_e32 0x80, v0
	s_cbranch_execz .LBB6_6792
; %bb.6787:                             ;   in Loop: Header=BB6_6741 Depth=3
	v_and_b32_e32 v16, 0x7f, v27
	v_mov_b32_e32 v18, 0x7f800001
	s_mov_b32 s74, exec_lo
	s_delay_alu instid0(VALU_DEP_2)
	v_cmpx_ne_u32_e32 0x7f, v16
	s_cbranch_execz .LBB6_6791
; %bb.6788:                             ;   in Loop: Header=BB6_6741 Depth=3
	v_and_b32_e32 v2, 7, v0
	v_lshrrev_b32_e32 v0, 3, v16
	v_cmp_gt_u32_e32 vcc_lo, 8, v16
	s_delay_alu instid0(VALU_DEP_3)
	v_mov_b64_e32 v[16:17], v[2:3]
	s_and_saveexec_b32 s75, vcc_lo
; %bb.6789:                             ;   in Loop: Header=BB6_6741 Depth=3
	v_clz_i32_u32_e32 v0, v2
	s_delay_alu instid0(VALU_DEP_1) | instskip(NEXT) | instid1(VALU_DEP_1)
	v_min_u32_e32 v0, 32, v0
	v_subrev_nc_u32_e32 v16, 28, v0
	v_sub_nc_u32_e32 v0, 29, v0
	s_delay_alu instid0(VALU_DEP_2) | instskip(NEXT) | instid1(VALU_DEP_1)
	v_lshlrev_b64_e32 v[16:17], v16, v[2:3]
	v_and_b32_e32 v16, 7, v16
; %bb.6790:                             ;   in Loop: Header=BB6_6741 Depth=3
	s_or_b32 exec_lo, exec_lo, s75
	s_delay_alu instid0(VALU_DEP_1) | instskip(SKIP_1) | instid1(VALU_DEP_2)
	v_dual_lshlrev_b32 v2, 24, v27 :: v_dual_lshlrev_b32 v16, 20, v16
	v_lshl_add_u32 v0, v0, 23, 0x3c000000
	v_and_b32_e32 v2, 0x80000000, v2
	s_delay_alu instid0(VALU_DEP_1)
	v_or3_b32 v18, v16, v2, v0
.LBB6_6791:                             ;   in Loop: Header=BB6_6741 Depth=3
	s_or_b32 exec_lo, exec_lo, s74
.LBB6_6792:                             ;   in Loop: Header=BB6_6741 Depth=3
	s_delay_alu instid0(SALU_CYCLE_1)
	s_or_b32 exec_lo, exec_lo, s45
.LBB6_6793:                             ;   in Loop: Header=BB6_6741 Depth=3
	s_delay_alu instid0(SALU_CYCLE_1) | instskip(NEXT) | instid1(VALU_DEP_1)
	s_or_b32 exec_lo, exec_lo, s13
	v_add_f32_e32 v0, v19, v18
                                        ; implicit-def: $vgpr27
	s_mov_b32 s13, exec_lo
	s_delay_alu instid0(VALU_DEP_1) | instskip(SKIP_1) | instid1(VALU_DEP_2)
	v_and_b32_e32 v2, 0x7f800000, v0
	v_lshrrev_b32_e32 v16, 24, v0
	v_cmpx_ne_u64_e32 0x7f800000, v[2:3]
	s_xor_b32 s45, exec_lo, s13
	s_cbranch_execz .LBB6_6811
; %bb.6794:                             ;   in Loop: Header=BB6_6741 Depth=3
	v_and_b32_e32 v2, 0x7fffffff, v0
	v_and_b32_e32 v67, 0x80, v16
                                        ; implicit-def: $vgpr27
	s_mov_b32 s13, exec_lo
	s_delay_alu instid0(VALU_DEP_2)
	v_cmpx_gt_u64_e32 0x43e00001, v[2:3]
	s_xor_b32 s74, exec_lo, s13
	s_cbranch_execz .LBB6_6808
; %bb.6795:                             ;   in Loop: Header=BB6_6741 Depth=3
	v_mov_b32_e32 v27, 0
	s_mov_b32 s75, exec_lo
	v_cmpx_ne_u32_e32 0, v0
	s_cbranch_execz .LBB6_6807
; %bb.6796:                             ;   in Loop: Header=BB6_6741 Depth=3
	v_bfe_u32 v27, v0, 23, 8
	v_and_b32_e32 v2, 0x7fffff, v0
	s_delay_alu instid0(VALU_DEP_2) | instskip(SKIP_2) | instid1(VALU_DEP_4)
	v_cmp_gt_u32_e64 s13, 0x7a, v27
	v_sub_nc_u32_e32 v0, 0x79, v27
	v_cmp_eq_u32_e32 vcc_lo, 0, v27
	v_or_b32_e32 v16, 0x800000, v2
	s_delay_alu instid0(VALU_DEP_1) | instskip(NEXT) | instid1(VALU_DEP_1)
	v_dual_cndmask_b32 v0, 0, v0, s13 :: v_dual_cndmask_b32 v2, v16, v2, vcc_lo
	v_cndmask_b32_e64 v0, v0, 0x78, vcc_lo
	s_delay_alu instid0(VALU_DEP_1) | instskip(NEXT) | instid1(VALU_DEP_1)
	v_dual_add_nc_u32 v16, 20, v0 :: v_dual_add_nc_u32 v18, 19, v0
	v_lshlrev_b64_e64 v[16:17], v16, -1
	s_delay_alu instid0(VALU_DEP_2) | instskip(NEXT) | instid1(VALU_DEP_2)
	v_lshlrev_b64_e64 v[18:19], v18, 1
	v_bfi_b32 v17, v17, 0, 0
	s_delay_alu instid0(VALU_DEP_3) | instskip(NEXT) | instid1(VALU_DEP_1)
	v_bfi_b32 v16, v16, 0, v2
	v_cmp_eq_u64_e64 s13, v[16:17], v[18:19]
	v_lshrrev_b64 v[16:17], v0, v[2:3]
	s_delay_alu instid0(VALU_DEP_1)
	v_mov_b64_e32 v[18:19], v[16:17]
	s_and_saveexec_b32 s76, s13
; %bb.6797:                             ;   in Loop: Header=BB6_6741 Depth=3
	v_bfe_u32 v2, v16, 20, 1
	s_delay_alu instid0(VALU_DEP_1) | instskip(NEXT) | instid1(VALU_DEP_1)
	v_add_nc_u64_e32 v[18:19], v[16:17], v[2:3]
	v_add_nc_u64_e32 v[18:19], -1, v[18:19]
; %bb.6798:                             ;   in Loop: Header=BB6_6741 Depth=3
	s_or_b32 exec_lo, exec_lo, s76
	v_add_nc_u32_e32 v2, 0xffffff81, v27
	v_lshrrev_b32_e32 v17, 23, v16
	s_mov_b32 s13, exec_lo
	s_delay_alu instid0(VALU_DEP_2) | instskip(NEXT) | instid1(VALU_DEP_1)
	v_cndmask_b32_e64 v2, v2, 0xffffff82, vcc_lo
	v_add3_u32 v19, v0, v2, v17
	v_and_b32_e32 v0, 0xfffff, v18
	s_delay_alu instid0(VALU_DEP_1) | instskip(NEXT) | instid1(VALU_DEP_1)
	v_dual_add_nc_u32 v18, 6, v19 :: v_dual_add_nc_u32 v2, v0, v16
                                        ; implicit-def: $vgpr16_vgpr17
                                        ; implicit-def: $vgpr0
	v_cmpx_ne_u32_e32 0, v18
	s_xor_b32 s13, exec_lo, s13
; %bb.6799:                             ;   in Loop: Header=BB6_6741 Depth=3
	s_delay_alu instid0(VALU_DEP_2) | instskip(SKIP_2) | instid1(VALU_DEP_2)
	v_cmp_lt_u64_e32 vcc_lo, 0xffffff, v[2:3]
	v_add_nc_u32_e32 v0, 7, v19
	v_cndmask_b32_e64 v16, 0, 1, vcc_lo
	v_cndmask_b32_e32 v0, v18, v0, vcc_lo
	s_delay_alu instid0(VALU_DEP_2)
	v_lshrrev_b64 v[16:17], v16, v[2:3]
; %bb.6800:                             ;   in Loop: Header=BB6_6741 Depth=3
	s_and_not1_saveexec_b32 s13, s13
; %bb.6801:                             ;   in Loop: Header=BB6_6741 Depth=3
	v_mov_b64_e32 v[16:17], v[2:3]
	v_bfe_u32 v0, v2, 23, 1
; %bb.6802:                             ;   in Loop: Header=BB6_6741 Depth=3
	s_or_b32 exec_lo, exec_lo, s13
	s_delay_alu instid0(VALU_DEP_2) | instskip(NEXT) | instid1(VALU_DEP_2)
	v_lshrrev_b64 v[16:17], 20, v[16:17]
	v_cmp_gt_i32_e32 vcc_lo, 16, v0
	v_cmp_ne_u32_e64 s13, 0, v0
                                        ; implicit-def: $vgpr27
	s_delay_alu instid0(VALU_DEP_3) | instskip(NEXT) | instid1(VALU_DEP_1)
	v_dual_cndmask_b32 v17, 0, v17 :: v_dual_cndmask_b32 v16, 7, v16
	v_cmp_ne_u64_e32 vcc_lo, 0, v[16:17]
	s_or_b32 s13, s13, vcc_lo
	s_delay_alu instid0(SALU_CYCLE_1) | instskip(NEXT) | instid1(SALU_CYCLE_1)
	s_and_saveexec_b32 s76, s13
	s_xor_b32 s13, exec_lo, s76
; %bb.6803:                             ;   in Loop: Header=BB6_6741 Depth=3
	v_min_i32_e32 v0, 15, v0
	s_delay_alu instid0(VALU_DEP_1) | instskip(NEXT) | instid1(VALU_DEP_1)
	v_lshl_or_b32 v0, v0, 3, v67
                                        ; implicit-def: $vgpr67
	v_and_or_b32 v27, v16, 7, v0
; %bb.6804:                             ;   in Loop: Header=BB6_6741 Depth=3
	s_and_not1_saveexec_b32 s13, s13
; %bb.6805:                             ;   in Loop: Header=BB6_6741 Depth=3
	v_mov_b32_e32 v27, v67
; %bb.6806:                             ;   in Loop: Header=BB6_6741 Depth=3
	s_or_b32 exec_lo, exec_lo, s13
.LBB6_6807:                             ;   in Loop: Header=BB6_6741 Depth=3
	s_delay_alu instid0(SALU_CYCLE_1)
	s_or_b32 exec_lo, exec_lo, s75
                                        ; implicit-def: $vgpr67
.LBB6_6808:                             ;   in Loop: Header=BB6_6741 Depth=3
	s_and_not1_saveexec_b32 s13, s74
; %bb.6809:                             ;   in Loop: Header=BB6_6741 Depth=3
	v_or_b32_e32 v27, 0x7e, v67
; %bb.6810:                             ;   in Loop: Header=BB6_6741 Depth=3
	s_or_b32 exec_lo, exec_lo, s13
                                        ; implicit-def: $vgpr16
.LBB6_6811:                             ;   in Loop: Header=BB6_6741 Depth=3
	s_and_not1_saveexec_b32 s13, s45
; %bb.6812:                             ;   in Loop: Header=BB6_6741 Depth=3
	v_or_b32_e32 v27, 0x7f, v16
; %bb.6813:                             ;   in Loop: Header=BB6_6741 Depth=3
	s_or_b32 exec_lo, exec_lo, s13
	v_and_b32_e32 v0, 0xff, v66
	v_dual_mov_b32 v18, 0 :: v_dual_mov_b32 v19, 0
	s_mov_b32 s13, exec_lo
	s_delay_alu instid0(VALU_DEP_2)
	v_cmpx_ne_u16_e32 0, v0
	s_cbranch_execz .LBB6_6821
; %bb.6814:                             ;   in Loop: Header=BB6_6741 Depth=3
	v_bfrev_b32_e32 v19, 1
	s_mov_b32 s45, exec_lo
	v_cmpx_ne_u16_e32 0x80, v0
	s_cbranch_execz .LBB6_6820
; %bb.6815:                             ;   in Loop: Header=BB6_6741 Depth=3
	v_and_b32_e32 v16, 0x7f, v66
	v_mov_b32_e32 v19, 0x7f800001
	s_mov_b32 s74, exec_lo
	s_delay_alu instid0(VALU_DEP_2)
	v_cmpx_ne_u32_e32 0x7f, v16
	s_cbranch_execz .LBB6_6819
; %bb.6816:                             ;   in Loop: Header=BB6_6741 Depth=3
	v_and_b32_e32 v2, 7, v0
	v_lshrrev_b32_e32 v0, 3, v16
	v_cmp_gt_u32_e32 vcc_lo, 8, v16
	s_delay_alu instid0(VALU_DEP_3)
	v_mov_b64_e32 v[16:17], v[2:3]
	s_and_saveexec_b32 s75, vcc_lo
; %bb.6817:                             ;   in Loop: Header=BB6_6741 Depth=3
	v_clz_i32_u32_e32 v0, v2
	s_delay_alu instid0(VALU_DEP_1) | instskip(NEXT) | instid1(VALU_DEP_1)
	v_min_u32_e32 v0, 32, v0
	v_subrev_nc_u32_e32 v16, 28, v0
	v_sub_nc_u32_e32 v0, 29, v0
	s_delay_alu instid0(VALU_DEP_2) | instskip(NEXT) | instid1(VALU_DEP_1)
	v_lshlrev_b64_e32 v[16:17], v16, v[2:3]
	v_and_b32_e32 v16, 7, v16
; %bb.6818:                             ;   in Loop: Header=BB6_6741 Depth=3
	s_or_b32 exec_lo, exec_lo, s75
	s_delay_alu instid0(VALU_DEP_1) | instskip(SKIP_1) | instid1(VALU_DEP_2)
	v_dual_lshlrev_b32 v2, 24, v66 :: v_dual_lshlrev_b32 v16, 20, v16
	v_lshl_add_u32 v0, v0, 23, 0x3c000000
	v_and_b32_e32 v2, 0x80000000, v2
	s_delay_alu instid0(VALU_DEP_1)
	v_or3_b32 v19, v16, v2, v0
.LBB6_6819:                             ;   in Loop: Header=BB6_6741 Depth=3
	s_or_b32 exec_lo, exec_lo, s74
.LBB6_6820:                             ;   in Loop: Header=BB6_6741 Depth=3
	s_delay_alu instid0(SALU_CYCLE_1)
	s_or_b32 exec_lo, exec_lo, s45
.LBB6_6821:                             ;   in Loop: Header=BB6_6741 Depth=3
	s_delay_alu instid0(SALU_CYCLE_1) | instskip(SKIP_3) | instid1(VALU_DEP_1)
	s_or_b32 exec_lo, exec_lo, s13
	s_wait_loadcnt_dscnt 0x1d1d
	v_and_b32_e32 v0, 0xff, v31
	s_mov_b32 s13, exec_lo
	v_cmpx_ne_u16_e32 0, v0
	s_cbranch_execz .LBB6_6829
; %bb.6822:                             ;   in Loop: Header=BB6_6741 Depth=3
	v_bfrev_b32_e32 v18, 1
	s_mov_b32 s45, exec_lo
	v_cmpx_ne_u16_e32 0x80, v0
	s_cbranch_execz .LBB6_6828
; %bb.6823:                             ;   in Loop: Header=BB6_6741 Depth=3
	v_and_b32_e32 v16, 0x7f, v31
	v_mov_b32_e32 v18, 0x7f800001
	s_mov_b32 s74, exec_lo
	s_delay_alu instid0(VALU_DEP_2)
	v_cmpx_ne_u32_e32 0x7f, v16
	s_cbranch_execz .LBB6_6827
; %bb.6824:                             ;   in Loop: Header=BB6_6741 Depth=3
	v_and_b32_e32 v2, 7, v0
	v_lshrrev_b32_e32 v0, 3, v16
	v_cmp_gt_u32_e32 vcc_lo, 8, v16
	s_delay_alu instid0(VALU_DEP_3)
	v_mov_b64_e32 v[16:17], v[2:3]
	s_and_saveexec_b32 s75, vcc_lo
; %bb.6825:                             ;   in Loop: Header=BB6_6741 Depth=3
	v_clz_i32_u32_e32 v0, v2
	s_delay_alu instid0(VALU_DEP_1) | instskip(NEXT) | instid1(VALU_DEP_1)
	v_min_u32_e32 v0, 32, v0
	v_subrev_nc_u32_e32 v16, 28, v0
	v_sub_nc_u32_e32 v0, 29, v0
	s_delay_alu instid0(VALU_DEP_2) | instskip(NEXT) | instid1(VALU_DEP_1)
	v_lshlrev_b64_e32 v[16:17], v16, v[2:3]
	v_and_b32_e32 v16, 7, v16
; %bb.6826:                             ;   in Loop: Header=BB6_6741 Depth=3
	s_or_b32 exec_lo, exec_lo, s75
	s_delay_alu instid0(VALU_DEP_1) | instskip(SKIP_1) | instid1(VALU_DEP_2)
	v_dual_lshlrev_b32 v2, 24, v31 :: v_dual_lshlrev_b32 v16, 20, v16
	v_lshl_add_u32 v0, v0, 23, 0x3c000000
	v_and_b32_e32 v2, 0x80000000, v2
	s_delay_alu instid0(VALU_DEP_1)
	v_or3_b32 v18, v16, v2, v0
.LBB6_6827:                             ;   in Loop: Header=BB6_6741 Depth=3
	s_or_b32 exec_lo, exec_lo, s74
.LBB6_6828:                             ;   in Loop: Header=BB6_6741 Depth=3
	s_delay_alu instid0(SALU_CYCLE_1)
	s_or_b32 exec_lo, exec_lo, s45
.LBB6_6829:                             ;   in Loop: Header=BB6_6741 Depth=3
	s_delay_alu instid0(SALU_CYCLE_1) | instskip(NEXT) | instid1(VALU_DEP_1)
	s_or_b32 exec_lo, exec_lo, s13
	v_add_f32_e32 v0, v19, v18
                                        ; implicit-def: $vgpr31
	s_mov_b32 s13, exec_lo
	s_delay_alu instid0(VALU_DEP_1) | instskip(SKIP_1) | instid1(VALU_DEP_2)
	v_and_b32_e32 v2, 0x7f800000, v0
	v_lshrrev_b32_e32 v16, 24, v0
	v_cmpx_ne_u64_e32 0x7f800000, v[2:3]
	s_xor_b32 s45, exec_lo, s13
	s_cbranch_execz .LBB6_6847
; %bb.6830:                             ;   in Loop: Header=BB6_6741 Depth=3
	v_and_b32_e32 v2, 0x7fffffff, v0
	v_and_b32_e32 v66, 0x80, v16
                                        ; implicit-def: $vgpr31
	s_mov_b32 s13, exec_lo
	s_delay_alu instid0(VALU_DEP_2)
	v_cmpx_gt_u64_e32 0x43e00001, v[2:3]
	s_xor_b32 s74, exec_lo, s13
	s_cbranch_execz .LBB6_6844
; %bb.6831:                             ;   in Loop: Header=BB6_6741 Depth=3
	v_mov_b32_e32 v31, 0
	s_mov_b32 s75, exec_lo
	v_cmpx_ne_u32_e32 0, v0
	s_cbranch_execz .LBB6_6843
; %bb.6832:                             ;   in Loop: Header=BB6_6741 Depth=3
	v_bfe_u32 v31, v0, 23, 8
	v_and_b32_e32 v2, 0x7fffff, v0
	s_delay_alu instid0(VALU_DEP_2) | instskip(SKIP_2) | instid1(VALU_DEP_4)
	v_cmp_gt_u32_e64 s13, 0x7a, v31
	v_sub_nc_u32_e32 v0, 0x79, v31
	v_cmp_eq_u32_e32 vcc_lo, 0, v31
	v_or_b32_e32 v16, 0x800000, v2
	s_delay_alu instid0(VALU_DEP_1) | instskip(NEXT) | instid1(VALU_DEP_1)
	v_dual_cndmask_b32 v0, 0, v0, s13 :: v_dual_cndmask_b32 v2, v16, v2, vcc_lo
	v_cndmask_b32_e64 v0, v0, 0x78, vcc_lo
	s_delay_alu instid0(VALU_DEP_1) | instskip(NEXT) | instid1(VALU_DEP_1)
	v_dual_add_nc_u32 v16, 20, v0 :: v_dual_add_nc_u32 v18, 19, v0
	v_lshlrev_b64_e64 v[16:17], v16, -1
	s_delay_alu instid0(VALU_DEP_2) | instskip(NEXT) | instid1(VALU_DEP_2)
	v_lshlrev_b64_e64 v[18:19], v18, 1
	v_bfi_b32 v17, v17, 0, 0
	s_delay_alu instid0(VALU_DEP_3) | instskip(NEXT) | instid1(VALU_DEP_1)
	v_bfi_b32 v16, v16, 0, v2
	v_cmp_eq_u64_e64 s13, v[16:17], v[18:19]
	v_lshrrev_b64 v[16:17], v0, v[2:3]
	s_delay_alu instid0(VALU_DEP_1)
	v_mov_b64_e32 v[18:19], v[16:17]
	s_and_saveexec_b32 s76, s13
; %bb.6833:                             ;   in Loop: Header=BB6_6741 Depth=3
	v_bfe_u32 v2, v16, 20, 1
	s_delay_alu instid0(VALU_DEP_1) | instskip(NEXT) | instid1(VALU_DEP_1)
	v_add_nc_u64_e32 v[18:19], v[16:17], v[2:3]
	v_add_nc_u64_e32 v[18:19], -1, v[18:19]
; %bb.6834:                             ;   in Loop: Header=BB6_6741 Depth=3
	s_or_b32 exec_lo, exec_lo, s76
	v_add_nc_u32_e32 v2, 0xffffff81, v31
	v_lshrrev_b32_e32 v17, 23, v16
	s_mov_b32 s13, exec_lo
	s_delay_alu instid0(VALU_DEP_2) | instskip(NEXT) | instid1(VALU_DEP_1)
	v_cndmask_b32_e64 v2, v2, 0xffffff82, vcc_lo
	v_add3_u32 v19, v0, v2, v17
	v_and_b32_e32 v0, 0xfffff, v18
	s_delay_alu instid0(VALU_DEP_1) | instskip(NEXT) | instid1(VALU_DEP_1)
	v_dual_add_nc_u32 v18, 6, v19 :: v_dual_add_nc_u32 v2, v0, v16
                                        ; implicit-def: $vgpr16_vgpr17
                                        ; implicit-def: $vgpr0
	v_cmpx_ne_u32_e32 0, v18
	s_xor_b32 s13, exec_lo, s13
; %bb.6835:                             ;   in Loop: Header=BB6_6741 Depth=3
	s_delay_alu instid0(VALU_DEP_2) | instskip(SKIP_2) | instid1(VALU_DEP_2)
	v_cmp_lt_u64_e32 vcc_lo, 0xffffff, v[2:3]
	v_add_nc_u32_e32 v0, 7, v19
	v_cndmask_b32_e64 v16, 0, 1, vcc_lo
	v_cndmask_b32_e32 v0, v18, v0, vcc_lo
	s_delay_alu instid0(VALU_DEP_2)
	v_lshrrev_b64 v[16:17], v16, v[2:3]
; %bb.6836:                             ;   in Loop: Header=BB6_6741 Depth=3
	s_and_not1_saveexec_b32 s13, s13
; %bb.6837:                             ;   in Loop: Header=BB6_6741 Depth=3
	v_mov_b64_e32 v[16:17], v[2:3]
	v_bfe_u32 v0, v2, 23, 1
; %bb.6838:                             ;   in Loop: Header=BB6_6741 Depth=3
	s_or_b32 exec_lo, exec_lo, s13
	s_delay_alu instid0(VALU_DEP_2) | instskip(NEXT) | instid1(VALU_DEP_2)
	v_lshrrev_b64 v[16:17], 20, v[16:17]
	v_cmp_gt_i32_e32 vcc_lo, 16, v0
	v_cmp_ne_u32_e64 s13, 0, v0
                                        ; implicit-def: $vgpr31
	s_delay_alu instid0(VALU_DEP_3) | instskip(NEXT) | instid1(VALU_DEP_1)
	v_dual_cndmask_b32 v17, 0, v17 :: v_dual_cndmask_b32 v16, 7, v16
	v_cmp_ne_u64_e32 vcc_lo, 0, v[16:17]
	s_or_b32 s13, s13, vcc_lo
	s_delay_alu instid0(SALU_CYCLE_1) | instskip(NEXT) | instid1(SALU_CYCLE_1)
	s_and_saveexec_b32 s76, s13
	s_xor_b32 s13, exec_lo, s76
; %bb.6839:                             ;   in Loop: Header=BB6_6741 Depth=3
	v_min_i32_e32 v0, 15, v0
	s_delay_alu instid0(VALU_DEP_1) | instskip(NEXT) | instid1(VALU_DEP_1)
	v_lshl_or_b32 v0, v0, 3, v66
                                        ; implicit-def: $vgpr66
	v_and_or_b32 v31, v16, 7, v0
; %bb.6840:                             ;   in Loop: Header=BB6_6741 Depth=3
	s_and_not1_saveexec_b32 s13, s13
; %bb.6841:                             ;   in Loop: Header=BB6_6741 Depth=3
	v_mov_b32_e32 v31, v66
; %bb.6842:                             ;   in Loop: Header=BB6_6741 Depth=3
	s_or_b32 exec_lo, exec_lo, s13
.LBB6_6843:                             ;   in Loop: Header=BB6_6741 Depth=3
	s_delay_alu instid0(SALU_CYCLE_1)
	s_or_b32 exec_lo, exec_lo, s75
                                        ; implicit-def: $vgpr66
.LBB6_6844:                             ;   in Loop: Header=BB6_6741 Depth=3
	s_and_not1_saveexec_b32 s13, s74
; %bb.6845:                             ;   in Loop: Header=BB6_6741 Depth=3
	v_or_b32_e32 v31, 0x7e, v66
; %bb.6846:                             ;   in Loop: Header=BB6_6741 Depth=3
	s_or_b32 exec_lo, exec_lo, s13
                                        ; implicit-def: $vgpr16
.LBB6_6847:                             ;   in Loop: Header=BB6_6741 Depth=3
	s_and_not1_saveexec_b32 s13, s45
; %bb.6848:                             ;   in Loop: Header=BB6_6741 Depth=3
	v_or_b32_e32 v31, 0x7f, v16
; %bb.6849:                             ;   in Loop: Header=BB6_6741 Depth=3
	s_or_b32 exec_lo, exec_lo, s13
	v_and_b32_e32 v0, 0xff, v43
	v_dual_mov_b32 v18, 0 :: v_dual_mov_b32 v19, 0
	s_mov_b32 s13, exec_lo
	s_delay_alu instid0(VALU_DEP_2)
	v_cmpx_ne_u16_e32 0, v0
	s_cbranch_execz .LBB6_6857
; %bb.6850:                             ;   in Loop: Header=BB6_6741 Depth=3
	v_bfrev_b32_e32 v19, 1
	s_mov_b32 s45, exec_lo
	v_cmpx_ne_u16_e32 0x80, v0
	s_cbranch_execz .LBB6_6856
; %bb.6851:                             ;   in Loop: Header=BB6_6741 Depth=3
	v_and_b32_e32 v16, 0x7f, v43
	v_mov_b32_e32 v19, 0x7f800001
	s_mov_b32 s74, exec_lo
	s_delay_alu instid0(VALU_DEP_2)
	v_cmpx_ne_u32_e32 0x7f, v16
	s_cbranch_execz .LBB6_6855
; %bb.6852:                             ;   in Loop: Header=BB6_6741 Depth=3
	v_and_b32_e32 v2, 7, v0
	v_lshrrev_b32_e32 v0, 3, v16
	v_cmp_gt_u32_e32 vcc_lo, 8, v16
	s_delay_alu instid0(VALU_DEP_3)
	v_mov_b64_e32 v[16:17], v[2:3]
	s_and_saveexec_b32 s75, vcc_lo
; %bb.6853:                             ;   in Loop: Header=BB6_6741 Depth=3
	v_clz_i32_u32_e32 v0, v2
	s_delay_alu instid0(VALU_DEP_1) | instskip(NEXT) | instid1(VALU_DEP_1)
	v_min_u32_e32 v0, 32, v0
	v_subrev_nc_u32_e32 v16, 28, v0
	v_sub_nc_u32_e32 v0, 29, v0
	s_delay_alu instid0(VALU_DEP_2) | instskip(NEXT) | instid1(VALU_DEP_1)
	v_lshlrev_b64_e32 v[16:17], v16, v[2:3]
	v_and_b32_e32 v16, 7, v16
; %bb.6854:                             ;   in Loop: Header=BB6_6741 Depth=3
	s_or_b32 exec_lo, exec_lo, s75
	s_delay_alu instid0(VALU_DEP_1) | instskip(SKIP_1) | instid1(VALU_DEP_2)
	v_dual_lshlrev_b32 v2, 24, v43 :: v_dual_lshlrev_b32 v16, 20, v16
	v_lshl_add_u32 v0, v0, 23, 0x3c000000
	v_and_b32_e32 v2, 0x80000000, v2
	s_delay_alu instid0(VALU_DEP_1)
	v_or3_b32 v19, v16, v2, v0
.LBB6_6855:                             ;   in Loop: Header=BB6_6741 Depth=3
	s_or_b32 exec_lo, exec_lo, s74
.LBB6_6856:                             ;   in Loop: Header=BB6_6741 Depth=3
	s_delay_alu instid0(SALU_CYCLE_1)
	s_or_b32 exec_lo, exec_lo, s45
.LBB6_6857:                             ;   in Loop: Header=BB6_6741 Depth=3
	s_delay_alu instid0(SALU_CYCLE_1) | instskip(SKIP_3) | instid1(VALU_DEP_1)
	s_or_b32 exec_lo, exec_lo, s13
	s_wait_loadcnt_dscnt 0x1c1c
	v_and_b32_e32 v0, 0xff, v34
	s_mov_b32 s13, exec_lo
	v_cmpx_ne_u16_e32 0, v0
	s_cbranch_execz .LBB6_6865
; %bb.6858:                             ;   in Loop: Header=BB6_6741 Depth=3
	v_bfrev_b32_e32 v18, 1
	s_mov_b32 s45, exec_lo
	v_cmpx_ne_u16_e32 0x80, v0
	s_cbranch_execz .LBB6_6864
; %bb.6859:                             ;   in Loop: Header=BB6_6741 Depth=3
	v_and_b32_e32 v16, 0x7f, v34
	v_mov_b32_e32 v18, 0x7f800001
	s_mov_b32 s74, exec_lo
	s_delay_alu instid0(VALU_DEP_2)
	v_cmpx_ne_u32_e32 0x7f, v16
	s_cbranch_execz .LBB6_6863
; %bb.6860:                             ;   in Loop: Header=BB6_6741 Depth=3
	v_and_b32_e32 v2, 7, v0
	v_lshrrev_b32_e32 v0, 3, v16
	v_cmp_gt_u32_e32 vcc_lo, 8, v16
	s_delay_alu instid0(VALU_DEP_3)
	v_mov_b64_e32 v[16:17], v[2:3]
	s_and_saveexec_b32 s75, vcc_lo
; %bb.6861:                             ;   in Loop: Header=BB6_6741 Depth=3
	v_clz_i32_u32_e32 v0, v2
	s_delay_alu instid0(VALU_DEP_1) | instskip(NEXT) | instid1(VALU_DEP_1)
	v_min_u32_e32 v0, 32, v0
	v_subrev_nc_u32_e32 v16, 28, v0
	v_sub_nc_u32_e32 v0, 29, v0
	s_delay_alu instid0(VALU_DEP_2) | instskip(NEXT) | instid1(VALU_DEP_1)
	v_lshlrev_b64_e32 v[16:17], v16, v[2:3]
	v_and_b32_e32 v16, 7, v16
; %bb.6862:                             ;   in Loop: Header=BB6_6741 Depth=3
	s_or_b32 exec_lo, exec_lo, s75
	s_delay_alu instid0(VALU_DEP_1) | instskip(SKIP_1) | instid1(VALU_DEP_2)
	v_dual_lshlrev_b32 v2, 24, v34 :: v_dual_lshlrev_b32 v16, 20, v16
	v_lshl_add_u32 v0, v0, 23, 0x3c000000
	v_and_b32_e32 v2, 0x80000000, v2
	s_delay_alu instid0(VALU_DEP_1)
	v_or3_b32 v18, v16, v2, v0
.LBB6_6863:                             ;   in Loop: Header=BB6_6741 Depth=3
	s_or_b32 exec_lo, exec_lo, s74
.LBB6_6864:                             ;   in Loop: Header=BB6_6741 Depth=3
	s_delay_alu instid0(SALU_CYCLE_1)
	s_or_b32 exec_lo, exec_lo, s45
.LBB6_6865:                             ;   in Loop: Header=BB6_6741 Depth=3
	s_delay_alu instid0(SALU_CYCLE_1) | instskip(NEXT) | instid1(VALU_DEP_1)
	s_or_b32 exec_lo, exec_lo, s13
	v_add_f32_e32 v0, v19, v18
                                        ; implicit-def: $vgpr34
	s_mov_b32 s13, exec_lo
	s_delay_alu instid0(VALU_DEP_1) | instskip(SKIP_1) | instid1(VALU_DEP_2)
	v_and_b32_e32 v2, 0x7f800000, v0
	v_lshrrev_b32_e32 v16, 24, v0
	v_cmpx_ne_u64_e32 0x7f800000, v[2:3]
	s_xor_b32 s45, exec_lo, s13
	s_cbranch_execz .LBB6_6883
; %bb.6866:                             ;   in Loop: Header=BB6_6741 Depth=3
	v_and_b32_e32 v2, 0x7fffffff, v0
	v_and_b32_e32 v66, 0x80, v16
                                        ; implicit-def: $vgpr34
	s_mov_b32 s13, exec_lo
	s_delay_alu instid0(VALU_DEP_2)
	v_cmpx_gt_u64_e32 0x43e00001, v[2:3]
	s_xor_b32 s74, exec_lo, s13
	s_cbranch_execz .LBB6_6880
; %bb.6867:                             ;   in Loop: Header=BB6_6741 Depth=3
	v_mov_b32_e32 v34, 0
	s_mov_b32 s75, exec_lo
	v_cmpx_ne_u32_e32 0, v0
	s_cbranch_execz .LBB6_6879
; %bb.6868:                             ;   in Loop: Header=BB6_6741 Depth=3
	v_bfe_u32 v34, v0, 23, 8
	v_and_b32_e32 v2, 0x7fffff, v0
	s_delay_alu instid0(VALU_DEP_2) | instskip(SKIP_2) | instid1(VALU_DEP_4)
	v_cmp_gt_u32_e64 s13, 0x7a, v34
	v_sub_nc_u32_e32 v0, 0x79, v34
	v_cmp_eq_u32_e32 vcc_lo, 0, v34
	v_or_b32_e32 v16, 0x800000, v2
	s_delay_alu instid0(VALU_DEP_1) | instskip(NEXT) | instid1(VALU_DEP_1)
	v_dual_cndmask_b32 v0, 0, v0, s13 :: v_dual_cndmask_b32 v2, v16, v2, vcc_lo
	v_cndmask_b32_e64 v0, v0, 0x78, vcc_lo
	s_delay_alu instid0(VALU_DEP_1) | instskip(NEXT) | instid1(VALU_DEP_1)
	v_dual_add_nc_u32 v16, 20, v0 :: v_dual_add_nc_u32 v18, 19, v0
	v_lshlrev_b64_e64 v[16:17], v16, -1
	s_delay_alu instid0(VALU_DEP_2) | instskip(NEXT) | instid1(VALU_DEP_2)
	v_lshlrev_b64_e64 v[18:19], v18, 1
	v_bfi_b32 v17, v17, 0, 0
	s_delay_alu instid0(VALU_DEP_3) | instskip(NEXT) | instid1(VALU_DEP_1)
	v_bfi_b32 v16, v16, 0, v2
	v_cmp_eq_u64_e64 s13, v[16:17], v[18:19]
	v_lshrrev_b64 v[16:17], v0, v[2:3]
	s_delay_alu instid0(VALU_DEP_1)
	v_mov_b64_e32 v[18:19], v[16:17]
	s_and_saveexec_b32 s76, s13
; %bb.6869:                             ;   in Loop: Header=BB6_6741 Depth=3
	v_bfe_u32 v2, v16, 20, 1
	s_delay_alu instid0(VALU_DEP_1) | instskip(NEXT) | instid1(VALU_DEP_1)
	v_add_nc_u64_e32 v[18:19], v[16:17], v[2:3]
	v_add_nc_u64_e32 v[18:19], -1, v[18:19]
; %bb.6870:                             ;   in Loop: Header=BB6_6741 Depth=3
	s_or_b32 exec_lo, exec_lo, s76
	v_add_nc_u32_e32 v2, 0xffffff81, v34
	v_lshrrev_b32_e32 v17, 23, v16
	s_mov_b32 s13, exec_lo
	s_delay_alu instid0(VALU_DEP_2) | instskip(NEXT) | instid1(VALU_DEP_1)
	v_cndmask_b32_e64 v2, v2, 0xffffff82, vcc_lo
	v_add3_u32 v19, v0, v2, v17
	v_and_b32_e32 v0, 0xfffff, v18
	s_delay_alu instid0(VALU_DEP_1) | instskip(NEXT) | instid1(VALU_DEP_1)
	v_dual_add_nc_u32 v18, 6, v19 :: v_dual_add_nc_u32 v2, v0, v16
                                        ; implicit-def: $vgpr16_vgpr17
                                        ; implicit-def: $vgpr0
	v_cmpx_ne_u32_e32 0, v18
	s_xor_b32 s13, exec_lo, s13
; %bb.6871:                             ;   in Loop: Header=BB6_6741 Depth=3
	s_delay_alu instid0(VALU_DEP_2) | instskip(SKIP_2) | instid1(VALU_DEP_2)
	v_cmp_lt_u64_e32 vcc_lo, 0xffffff, v[2:3]
	v_add_nc_u32_e32 v0, 7, v19
	v_cndmask_b32_e64 v16, 0, 1, vcc_lo
	v_cndmask_b32_e32 v0, v18, v0, vcc_lo
	s_delay_alu instid0(VALU_DEP_2)
	v_lshrrev_b64 v[16:17], v16, v[2:3]
; %bb.6872:                             ;   in Loop: Header=BB6_6741 Depth=3
	s_and_not1_saveexec_b32 s13, s13
; %bb.6873:                             ;   in Loop: Header=BB6_6741 Depth=3
	v_mov_b64_e32 v[16:17], v[2:3]
	v_bfe_u32 v0, v2, 23, 1
; %bb.6874:                             ;   in Loop: Header=BB6_6741 Depth=3
	s_or_b32 exec_lo, exec_lo, s13
	s_delay_alu instid0(VALU_DEP_2) | instskip(NEXT) | instid1(VALU_DEP_2)
	v_lshrrev_b64 v[16:17], 20, v[16:17]
	v_cmp_gt_i32_e32 vcc_lo, 16, v0
	v_cmp_ne_u32_e64 s13, 0, v0
                                        ; implicit-def: $vgpr34
	s_delay_alu instid0(VALU_DEP_3) | instskip(NEXT) | instid1(VALU_DEP_1)
	v_dual_cndmask_b32 v17, 0, v17 :: v_dual_cndmask_b32 v16, 7, v16
	v_cmp_ne_u64_e32 vcc_lo, 0, v[16:17]
	s_or_b32 s13, s13, vcc_lo
	s_delay_alu instid0(SALU_CYCLE_1) | instskip(NEXT) | instid1(SALU_CYCLE_1)
	s_and_saveexec_b32 s76, s13
	s_xor_b32 s13, exec_lo, s76
; %bb.6875:                             ;   in Loop: Header=BB6_6741 Depth=3
	v_min_i32_e32 v0, 15, v0
	s_delay_alu instid0(VALU_DEP_1) | instskip(NEXT) | instid1(VALU_DEP_1)
	v_lshl_or_b32 v0, v0, 3, v66
                                        ; implicit-def: $vgpr66
	v_and_or_b32 v34, v16, 7, v0
; %bb.6876:                             ;   in Loop: Header=BB6_6741 Depth=3
	s_and_not1_saveexec_b32 s13, s13
; %bb.6877:                             ;   in Loop: Header=BB6_6741 Depth=3
	v_mov_b32_e32 v34, v66
; %bb.6878:                             ;   in Loop: Header=BB6_6741 Depth=3
	s_or_b32 exec_lo, exec_lo, s13
.LBB6_6879:                             ;   in Loop: Header=BB6_6741 Depth=3
	s_delay_alu instid0(SALU_CYCLE_1)
	s_or_b32 exec_lo, exec_lo, s75
                                        ; implicit-def: $vgpr66
.LBB6_6880:                             ;   in Loop: Header=BB6_6741 Depth=3
	s_and_not1_saveexec_b32 s13, s74
; %bb.6881:                             ;   in Loop: Header=BB6_6741 Depth=3
	v_or_b32_e32 v34, 0x7e, v66
; %bb.6882:                             ;   in Loop: Header=BB6_6741 Depth=3
	s_or_b32 exec_lo, exec_lo, s13
                                        ; implicit-def: $vgpr16
.LBB6_6883:                             ;   in Loop: Header=BB6_6741 Depth=3
	s_and_not1_saveexec_b32 s13, s45
; %bb.6884:                             ;   in Loop: Header=BB6_6741 Depth=3
	v_or_b32_e32 v34, 0x7f, v16
; %bb.6885:                             ;   in Loop: Header=BB6_6741 Depth=3
	s_or_b32 exec_lo, exec_lo, s13
	v_and_b32_e32 v0, 0xff, v42
	v_dual_mov_b32 v18, 0 :: v_dual_mov_b32 v19, 0
	s_mov_b32 s13, exec_lo
	s_delay_alu instid0(VALU_DEP_2)
	v_cmpx_ne_u16_e32 0, v0
	s_cbranch_execz .LBB6_6893
; %bb.6886:                             ;   in Loop: Header=BB6_6741 Depth=3
	v_bfrev_b32_e32 v19, 1
	s_mov_b32 s45, exec_lo
	v_cmpx_ne_u16_e32 0x80, v0
	s_cbranch_execz .LBB6_6892
; %bb.6887:                             ;   in Loop: Header=BB6_6741 Depth=3
	v_and_b32_e32 v16, 0x7f, v42
	v_mov_b32_e32 v19, 0x7f800001
	s_mov_b32 s74, exec_lo
	s_delay_alu instid0(VALU_DEP_2)
	v_cmpx_ne_u32_e32 0x7f, v16
	s_cbranch_execz .LBB6_6891
; %bb.6888:                             ;   in Loop: Header=BB6_6741 Depth=3
	v_and_b32_e32 v2, 7, v0
	v_lshrrev_b32_e32 v0, 3, v16
	v_cmp_gt_u32_e32 vcc_lo, 8, v16
	s_delay_alu instid0(VALU_DEP_3)
	v_mov_b64_e32 v[16:17], v[2:3]
	s_and_saveexec_b32 s75, vcc_lo
; %bb.6889:                             ;   in Loop: Header=BB6_6741 Depth=3
	v_clz_i32_u32_e32 v0, v2
	s_delay_alu instid0(VALU_DEP_1) | instskip(NEXT) | instid1(VALU_DEP_1)
	v_min_u32_e32 v0, 32, v0
	v_subrev_nc_u32_e32 v16, 28, v0
	v_sub_nc_u32_e32 v0, 29, v0
	s_delay_alu instid0(VALU_DEP_2) | instskip(NEXT) | instid1(VALU_DEP_1)
	v_lshlrev_b64_e32 v[16:17], v16, v[2:3]
	v_and_b32_e32 v16, 7, v16
; %bb.6890:                             ;   in Loop: Header=BB6_6741 Depth=3
	s_or_b32 exec_lo, exec_lo, s75
	s_delay_alu instid0(VALU_DEP_1) | instskip(SKIP_1) | instid1(VALU_DEP_2)
	v_dual_lshlrev_b32 v2, 24, v42 :: v_dual_lshlrev_b32 v16, 20, v16
	v_lshl_add_u32 v0, v0, 23, 0x3c000000
	v_and_b32_e32 v2, 0x80000000, v2
	s_delay_alu instid0(VALU_DEP_1)
	v_or3_b32 v19, v16, v2, v0
.LBB6_6891:                             ;   in Loop: Header=BB6_6741 Depth=3
	s_or_b32 exec_lo, exec_lo, s74
.LBB6_6892:                             ;   in Loop: Header=BB6_6741 Depth=3
	s_delay_alu instid0(SALU_CYCLE_1)
	s_or_b32 exec_lo, exec_lo, s45
.LBB6_6893:                             ;   in Loop: Header=BB6_6741 Depth=3
	s_delay_alu instid0(SALU_CYCLE_1) | instskip(SKIP_3) | instid1(VALU_DEP_1)
	s_or_b32 exec_lo, exec_lo, s13
	s_wait_loadcnt_dscnt 0x1b1b
	v_and_b32_e32 v0, 0xff, v37
	s_mov_b32 s13, exec_lo
	v_cmpx_ne_u16_e32 0, v0
	s_cbranch_execz .LBB6_6901
; %bb.6894:                             ;   in Loop: Header=BB6_6741 Depth=3
	v_bfrev_b32_e32 v18, 1
	s_mov_b32 s45, exec_lo
	v_cmpx_ne_u16_e32 0x80, v0
	s_cbranch_execz .LBB6_6900
; %bb.6895:                             ;   in Loop: Header=BB6_6741 Depth=3
	v_and_b32_e32 v16, 0x7f, v37
	v_mov_b32_e32 v18, 0x7f800001
	s_mov_b32 s74, exec_lo
	s_delay_alu instid0(VALU_DEP_2)
	v_cmpx_ne_u32_e32 0x7f, v16
	s_cbranch_execz .LBB6_6899
; %bb.6896:                             ;   in Loop: Header=BB6_6741 Depth=3
	v_and_b32_e32 v2, 7, v0
	v_lshrrev_b32_e32 v0, 3, v16
	v_cmp_gt_u32_e32 vcc_lo, 8, v16
	s_delay_alu instid0(VALU_DEP_3)
	v_mov_b64_e32 v[16:17], v[2:3]
	s_and_saveexec_b32 s75, vcc_lo
; %bb.6897:                             ;   in Loop: Header=BB6_6741 Depth=3
	v_clz_i32_u32_e32 v0, v2
	s_delay_alu instid0(VALU_DEP_1) | instskip(NEXT) | instid1(VALU_DEP_1)
	v_min_u32_e32 v0, 32, v0
	v_subrev_nc_u32_e32 v16, 28, v0
	v_sub_nc_u32_e32 v0, 29, v0
	s_delay_alu instid0(VALU_DEP_2) | instskip(NEXT) | instid1(VALU_DEP_1)
	v_lshlrev_b64_e32 v[16:17], v16, v[2:3]
	v_and_b32_e32 v16, 7, v16
; %bb.6898:                             ;   in Loop: Header=BB6_6741 Depth=3
	s_or_b32 exec_lo, exec_lo, s75
	s_delay_alu instid0(VALU_DEP_1) | instskip(SKIP_1) | instid1(VALU_DEP_2)
	v_dual_lshlrev_b32 v2, 24, v37 :: v_dual_lshlrev_b32 v16, 20, v16
	v_lshl_add_u32 v0, v0, 23, 0x3c000000
	v_and_b32_e32 v2, 0x80000000, v2
	s_delay_alu instid0(VALU_DEP_1)
	v_or3_b32 v18, v16, v2, v0
.LBB6_6899:                             ;   in Loop: Header=BB6_6741 Depth=3
	s_or_b32 exec_lo, exec_lo, s74
.LBB6_6900:                             ;   in Loop: Header=BB6_6741 Depth=3
	s_delay_alu instid0(SALU_CYCLE_1)
	s_or_b32 exec_lo, exec_lo, s45
.LBB6_6901:                             ;   in Loop: Header=BB6_6741 Depth=3
	s_delay_alu instid0(SALU_CYCLE_1) | instskip(NEXT) | instid1(VALU_DEP_1)
	s_or_b32 exec_lo, exec_lo, s13
	v_add_f32_e32 v0, v19, v18
                                        ; implicit-def: $vgpr37
	s_mov_b32 s13, exec_lo
	s_delay_alu instid0(VALU_DEP_1) | instskip(SKIP_1) | instid1(VALU_DEP_2)
	v_and_b32_e32 v2, 0x7f800000, v0
	v_lshrrev_b32_e32 v16, 24, v0
	v_cmpx_ne_u64_e32 0x7f800000, v[2:3]
	s_xor_b32 s45, exec_lo, s13
	s_cbranch_execz .LBB6_6919
; %bb.6902:                             ;   in Loop: Header=BB6_6741 Depth=3
	v_and_b32_e32 v2, 0x7fffffff, v0
	v_and_b32_e32 v66, 0x80, v16
                                        ; implicit-def: $vgpr37
	s_mov_b32 s13, exec_lo
	s_delay_alu instid0(VALU_DEP_2)
	v_cmpx_gt_u64_e32 0x43e00001, v[2:3]
	s_xor_b32 s74, exec_lo, s13
	s_cbranch_execz .LBB6_6916
; %bb.6903:                             ;   in Loop: Header=BB6_6741 Depth=3
	v_mov_b32_e32 v37, 0
	s_mov_b32 s75, exec_lo
	v_cmpx_ne_u32_e32 0, v0
	s_cbranch_execz .LBB6_6915
; %bb.6904:                             ;   in Loop: Header=BB6_6741 Depth=3
	v_bfe_u32 v37, v0, 23, 8
	v_and_b32_e32 v2, 0x7fffff, v0
	s_delay_alu instid0(VALU_DEP_2) | instskip(SKIP_2) | instid1(VALU_DEP_4)
	v_cmp_gt_u32_e64 s13, 0x7a, v37
	v_sub_nc_u32_e32 v0, 0x79, v37
	v_cmp_eq_u32_e32 vcc_lo, 0, v37
	v_or_b32_e32 v16, 0x800000, v2
	s_delay_alu instid0(VALU_DEP_1) | instskip(NEXT) | instid1(VALU_DEP_1)
	v_dual_cndmask_b32 v0, 0, v0, s13 :: v_dual_cndmask_b32 v2, v16, v2, vcc_lo
	v_cndmask_b32_e64 v0, v0, 0x78, vcc_lo
	s_delay_alu instid0(VALU_DEP_1) | instskip(NEXT) | instid1(VALU_DEP_1)
	v_dual_add_nc_u32 v16, 20, v0 :: v_dual_add_nc_u32 v18, 19, v0
	v_lshlrev_b64_e64 v[16:17], v16, -1
	s_delay_alu instid0(VALU_DEP_2) | instskip(NEXT) | instid1(VALU_DEP_2)
	v_lshlrev_b64_e64 v[18:19], v18, 1
	v_bfi_b32 v17, v17, 0, 0
	s_delay_alu instid0(VALU_DEP_3) | instskip(NEXT) | instid1(VALU_DEP_1)
	v_bfi_b32 v16, v16, 0, v2
	v_cmp_eq_u64_e64 s13, v[16:17], v[18:19]
	v_lshrrev_b64 v[16:17], v0, v[2:3]
	s_delay_alu instid0(VALU_DEP_1)
	v_mov_b64_e32 v[18:19], v[16:17]
	s_and_saveexec_b32 s76, s13
; %bb.6905:                             ;   in Loop: Header=BB6_6741 Depth=3
	v_bfe_u32 v2, v16, 20, 1
	s_delay_alu instid0(VALU_DEP_1) | instskip(NEXT) | instid1(VALU_DEP_1)
	v_add_nc_u64_e32 v[18:19], v[16:17], v[2:3]
	v_add_nc_u64_e32 v[18:19], -1, v[18:19]
; %bb.6906:                             ;   in Loop: Header=BB6_6741 Depth=3
	s_or_b32 exec_lo, exec_lo, s76
	v_add_nc_u32_e32 v2, 0xffffff81, v37
	v_lshrrev_b32_e32 v17, 23, v16
	s_mov_b32 s13, exec_lo
	s_delay_alu instid0(VALU_DEP_2) | instskip(NEXT) | instid1(VALU_DEP_1)
	v_cndmask_b32_e64 v2, v2, 0xffffff82, vcc_lo
	v_add3_u32 v19, v0, v2, v17
	v_and_b32_e32 v0, 0xfffff, v18
	s_delay_alu instid0(VALU_DEP_1) | instskip(NEXT) | instid1(VALU_DEP_1)
	v_dual_add_nc_u32 v18, 6, v19 :: v_dual_add_nc_u32 v2, v0, v16
                                        ; implicit-def: $vgpr16_vgpr17
                                        ; implicit-def: $vgpr0
	v_cmpx_ne_u32_e32 0, v18
	s_xor_b32 s13, exec_lo, s13
; %bb.6907:                             ;   in Loop: Header=BB6_6741 Depth=3
	s_delay_alu instid0(VALU_DEP_2) | instskip(SKIP_2) | instid1(VALU_DEP_2)
	v_cmp_lt_u64_e32 vcc_lo, 0xffffff, v[2:3]
	v_add_nc_u32_e32 v0, 7, v19
	v_cndmask_b32_e64 v16, 0, 1, vcc_lo
	v_cndmask_b32_e32 v0, v18, v0, vcc_lo
	s_delay_alu instid0(VALU_DEP_2)
	v_lshrrev_b64 v[16:17], v16, v[2:3]
; %bb.6908:                             ;   in Loop: Header=BB6_6741 Depth=3
	s_and_not1_saveexec_b32 s13, s13
; %bb.6909:                             ;   in Loop: Header=BB6_6741 Depth=3
	v_mov_b64_e32 v[16:17], v[2:3]
	v_bfe_u32 v0, v2, 23, 1
; %bb.6910:                             ;   in Loop: Header=BB6_6741 Depth=3
	s_or_b32 exec_lo, exec_lo, s13
	s_delay_alu instid0(VALU_DEP_2) | instskip(NEXT) | instid1(VALU_DEP_2)
	v_lshrrev_b64 v[16:17], 20, v[16:17]
	v_cmp_gt_i32_e32 vcc_lo, 16, v0
	v_cmp_ne_u32_e64 s13, 0, v0
                                        ; implicit-def: $vgpr37
	s_delay_alu instid0(VALU_DEP_3) | instskip(NEXT) | instid1(VALU_DEP_1)
	v_dual_cndmask_b32 v17, 0, v17 :: v_dual_cndmask_b32 v16, 7, v16
	v_cmp_ne_u64_e32 vcc_lo, 0, v[16:17]
	s_or_b32 s13, s13, vcc_lo
	s_delay_alu instid0(SALU_CYCLE_1) | instskip(NEXT) | instid1(SALU_CYCLE_1)
	s_and_saveexec_b32 s76, s13
	s_xor_b32 s13, exec_lo, s76
; %bb.6911:                             ;   in Loop: Header=BB6_6741 Depth=3
	v_min_i32_e32 v0, 15, v0
	s_delay_alu instid0(VALU_DEP_1) | instskip(NEXT) | instid1(VALU_DEP_1)
	v_lshl_or_b32 v0, v0, 3, v66
                                        ; implicit-def: $vgpr66
	v_and_or_b32 v37, v16, 7, v0
; %bb.6912:                             ;   in Loop: Header=BB6_6741 Depth=3
	s_and_not1_saveexec_b32 s13, s13
; %bb.6913:                             ;   in Loop: Header=BB6_6741 Depth=3
	v_mov_b32_e32 v37, v66
; %bb.6914:                             ;   in Loop: Header=BB6_6741 Depth=3
	s_or_b32 exec_lo, exec_lo, s13
.LBB6_6915:                             ;   in Loop: Header=BB6_6741 Depth=3
	s_delay_alu instid0(SALU_CYCLE_1)
	s_or_b32 exec_lo, exec_lo, s75
                                        ; implicit-def: $vgpr66
.LBB6_6916:                             ;   in Loop: Header=BB6_6741 Depth=3
	s_and_not1_saveexec_b32 s13, s74
; %bb.6917:                             ;   in Loop: Header=BB6_6741 Depth=3
	v_or_b32_e32 v37, 0x7e, v66
; %bb.6918:                             ;   in Loop: Header=BB6_6741 Depth=3
	s_or_b32 exec_lo, exec_lo, s13
                                        ; implicit-def: $vgpr16
.LBB6_6919:                             ;   in Loop: Header=BB6_6741 Depth=3
	s_and_not1_saveexec_b32 s13, s45
; %bb.6920:                             ;   in Loop: Header=BB6_6741 Depth=3
	v_or_b32_e32 v37, 0x7f, v16
; %bb.6921:                             ;   in Loop: Header=BB6_6741 Depth=3
	s_or_b32 exec_lo, exec_lo, s13
	v_and_b32_e32 v0, 0xff, v124
	v_dual_mov_b32 v18, 0 :: v_dual_mov_b32 v19, 0
	s_mov_b32 s13, exec_lo
	s_delay_alu instid0(VALU_DEP_2)
	v_cmpx_ne_u16_e32 0, v0
	s_cbranch_execz .LBB6_6929
; %bb.6922:                             ;   in Loop: Header=BB6_6741 Depth=3
	v_bfrev_b32_e32 v19, 1
	s_mov_b32 s45, exec_lo
	v_cmpx_ne_u16_e32 0x80, v0
	s_cbranch_execz .LBB6_6928
; %bb.6923:                             ;   in Loop: Header=BB6_6741 Depth=3
	v_and_b32_e32 v16, 0x7f, v124
	v_mov_b32_e32 v19, 0x7f800001
	s_mov_b32 s74, exec_lo
	s_delay_alu instid0(VALU_DEP_2)
	v_cmpx_ne_u32_e32 0x7f, v16
	s_cbranch_execz .LBB6_6927
; %bb.6924:                             ;   in Loop: Header=BB6_6741 Depth=3
	v_and_b32_e32 v2, 7, v0
	v_lshrrev_b32_e32 v0, 3, v16
	v_cmp_gt_u32_e32 vcc_lo, 8, v16
	s_delay_alu instid0(VALU_DEP_3)
	v_mov_b64_e32 v[16:17], v[2:3]
	s_and_saveexec_b32 s75, vcc_lo
; %bb.6925:                             ;   in Loop: Header=BB6_6741 Depth=3
	v_clz_i32_u32_e32 v0, v2
	s_delay_alu instid0(VALU_DEP_1) | instskip(NEXT) | instid1(VALU_DEP_1)
	v_min_u32_e32 v0, 32, v0
	v_subrev_nc_u32_e32 v16, 28, v0
	v_sub_nc_u32_e32 v0, 29, v0
	s_delay_alu instid0(VALU_DEP_2) | instskip(NEXT) | instid1(VALU_DEP_1)
	v_lshlrev_b64_e32 v[16:17], v16, v[2:3]
	v_and_b32_e32 v16, 7, v16
; %bb.6926:                             ;   in Loop: Header=BB6_6741 Depth=3
	s_or_b32 exec_lo, exec_lo, s75
	v_lshlrev_b32_e32 v2, 24, v124
	s_delay_alu instid0(VALU_DEP_2) | instskip(SKIP_1) | instid1(VALU_DEP_3)
	v_lshlrev_b32_e32 v16, 20, v16
	v_lshl_add_u32 v0, v0, 23, 0x3c000000
	v_and_b32_e32 v2, 0x80000000, v2
	s_delay_alu instid0(VALU_DEP_1)
	v_or3_b32 v19, v16, v2, v0
.LBB6_6927:                             ;   in Loop: Header=BB6_6741 Depth=3
	s_or_b32 exec_lo, exec_lo, s74
.LBB6_6928:                             ;   in Loop: Header=BB6_6741 Depth=3
	s_delay_alu instid0(SALU_CYCLE_1)
	s_or_b32 exec_lo, exec_lo, s45
.LBB6_6929:                             ;   in Loop: Header=BB6_6741 Depth=3
	s_delay_alu instid0(SALU_CYCLE_1) | instskip(SKIP_3) | instid1(VALU_DEP_1)
	s_or_b32 exec_lo, exec_lo, s13
	s_wait_loadcnt_dscnt 0x1a1a
	v_and_b32_e32 v0, 0xff, v48
	s_mov_b32 s13, exec_lo
	v_cmpx_ne_u16_e32 0, v0
	s_cbranch_execz .LBB6_6937
; %bb.6930:                             ;   in Loop: Header=BB6_6741 Depth=3
	v_bfrev_b32_e32 v18, 1
	s_mov_b32 s45, exec_lo
	v_cmpx_ne_u16_e32 0x80, v0
	s_cbranch_execz .LBB6_6936
; %bb.6931:                             ;   in Loop: Header=BB6_6741 Depth=3
	v_and_b32_e32 v16, 0x7f, v48
	v_mov_b32_e32 v18, 0x7f800001
	s_mov_b32 s74, exec_lo
	s_delay_alu instid0(VALU_DEP_2)
	v_cmpx_ne_u32_e32 0x7f, v16
	s_cbranch_execz .LBB6_6935
; %bb.6932:                             ;   in Loop: Header=BB6_6741 Depth=3
	v_and_b32_e32 v2, 7, v0
	v_lshrrev_b32_e32 v0, 3, v16
	v_cmp_gt_u32_e32 vcc_lo, 8, v16
	s_delay_alu instid0(VALU_DEP_3)
	v_mov_b64_e32 v[16:17], v[2:3]
	s_and_saveexec_b32 s75, vcc_lo
; %bb.6933:                             ;   in Loop: Header=BB6_6741 Depth=3
	v_clz_i32_u32_e32 v0, v2
	s_delay_alu instid0(VALU_DEP_1) | instskip(NEXT) | instid1(VALU_DEP_1)
	v_min_u32_e32 v0, 32, v0
	v_subrev_nc_u32_e32 v16, 28, v0
	v_sub_nc_u32_e32 v0, 29, v0
	s_delay_alu instid0(VALU_DEP_2) | instskip(NEXT) | instid1(VALU_DEP_1)
	v_lshlrev_b64_e32 v[16:17], v16, v[2:3]
	v_and_b32_e32 v16, 7, v16
; %bb.6934:                             ;   in Loop: Header=BB6_6741 Depth=3
	s_or_b32 exec_lo, exec_lo, s75
	v_lshlrev_b32_e32 v2, 24, v48
	s_delay_alu instid0(VALU_DEP_2) | instskip(SKIP_1) | instid1(VALU_DEP_3)
	v_lshlrev_b32_e32 v16, 20, v16
	v_lshl_add_u32 v0, v0, 23, 0x3c000000
	v_and_b32_e32 v2, 0x80000000, v2
	s_delay_alu instid0(VALU_DEP_1)
	v_or3_b32 v18, v16, v2, v0
.LBB6_6935:                             ;   in Loop: Header=BB6_6741 Depth=3
	s_or_b32 exec_lo, exec_lo, s74
.LBB6_6936:                             ;   in Loop: Header=BB6_6741 Depth=3
	s_delay_alu instid0(SALU_CYCLE_1)
	s_or_b32 exec_lo, exec_lo, s45
.LBB6_6937:                             ;   in Loop: Header=BB6_6741 Depth=3
	s_delay_alu instid0(SALU_CYCLE_1) | instskip(NEXT) | instid1(VALU_DEP_1)
	s_or_b32 exec_lo, exec_lo, s13
	v_add_f32_e32 v0, v19, v18
                                        ; implicit-def: $vgpr48
	s_mov_b32 s13, exec_lo
	s_delay_alu instid0(VALU_DEP_1) | instskip(SKIP_1) | instid1(VALU_DEP_2)
	v_and_b32_e32 v2, 0x7f800000, v0
	v_lshrrev_b32_e32 v16, 24, v0
	v_cmpx_ne_u64_e32 0x7f800000, v[2:3]
	s_xor_b32 s45, exec_lo, s13
	s_cbranch_execz .LBB6_6955
; %bb.6938:                             ;   in Loop: Header=BB6_6741 Depth=3
	v_and_b32_e32 v2, 0x7fffffff, v0
	v_and_b32_e32 v66, 0x80, v16
                                        ; implicit-def: $vgpr48
	s_mov_b32 s13, exec_lo
	s_delay_alu instid0(VALU_DEP_2)
	v_cmpx_gt_u64_e32 0x43e00001, v[2:3]
	s_xor_b32 s74, exec_lo, s13
	s_cbranch_execz .LBB6_6952
; %bb.6939:                             ;   in Loop: Header=BB6_6741 Depth=3
	v_mov_b32_e32 v48, 0
	s_mov_b32 s75, exec_lo
	v_cmpx_ne_u32_e32 0, v0
	s_cbranch_execz .LBB6_6951
; %bb.6940:                             ;   in Loop: Header=BB6_6741 Depth=3
	v_bfe_u32 v48, v0, 23, 8
	v_and_b32_e32 v2, 0x7fffff, v0
	s_delay_alu instid0(VALU_DEP_2) | instskip(SKIP_2) | instid1(VALU_DEP_4)
	v_cmp_gt_u32_e64 s13, 0x7a, v48
	v_sub_nc_u32_e32 v0, 0x79, v48
	v_cmp_eq_u32_e32 vcc_lo, 0, v48
	v_or_b32_e32 v16, 0x800000, v2
	s_delay_alu instid0(VALU_DEP_1) | instskip(NEXT) | instid1(VALU_DEP_1)
	v_dual_cndmask_b32 v0, 0, v0, s13 :: v_dual_cndmask_b32 v2, v16, v2, vcc_lo
	v_cndmask_b32_e64 v0, v0, 0x78, vcc_lo
	s_delay_alu instid0(VALU_DEP_1) | instskip(NEXT) | instid1(VALU_DEP_1)
	v_dual_add_nc_u32 v16, 20, v0 :: v_dual_add_nc_u32 v18, 19, v0
	v_lshlrev_b64_e64 v[16:17], v16, -1
	s_delay_alu instid0(VALU_DEP_2) | instskip(NEXT) | instid1(VALU_DEP_2)
	v_lshlrev_b64_e64 v[18:19], v18, 1
	v_bfi_b32 v17, v17, 0, 0
	s_delay_alu instid0(VALU_DEP_3) | instskip(NEXT) | instid1(VALU_DEP_1)
	v_bfi_b32 v16, v16, 0, v2
	v_cmp_eq_u64_e64 s13, v[16:17], v[18:19]
	v_lshrrev_b64 v[16:17], v0, v[2:3]
	s_delay_alu instid0(VALU_DEP_1)
	v_mov_b64_e32 v[18:19], v[16:17]
	s_and_saveexec_b32 s76, s13
; %bb.6941:                             ;   in Loop: Header=BB6_6741 Depth=3
	v_bfe_u32 v2, v16, 20, 1
	s_delay_alu instid0(VALU_DEP_1) | instskip(NEXT) | instid1(VALU_DEP_1)
	v_add_nc_u64_e32 v[18:19], v[16:17], v[2:3]
	v_add_nc_u64_e32 v[18:19], -1, v[18:19]
; %bb.6942:                             ;   in Loop: Header=BB6_6741 Depth=3
	s_or_b32 exec_lo, exec_lo, s76
	v_add_nc_u32_e32 v2, 0xffffff81, v48
	v_lshrrev_b32_e32 v17, 23, v16
	s_mov_b32 s13, exec_lo
	s_delay_alu instid0(VALU_DEP_2) | instskip(NEXT) | instid1(VALU_DEP_1)
	v_cndmask_b32_e64 v2, v2, 0xffffff82, vcc_lo
	v_add3_u32 v19, v0, v2, v17
	v_and_b32_e32 v0, 0xfffff, v18
	s_delay_alu instid0(VALU_DEP_1) | instskip(NEXT) | instid1(VALU_DEP_1)
	v_dual_add_nc_u32 v18, 6, v19 :: v_dual_add_nc_u32 v2, v0, v16
                                        ; implicit-def: $vgpr16_vgpr17
                                        ; implicit-def: $vgpr0
	v_cmpx_ne_u32_e32 0, v18
	s_xor_b32 s13, exec_lo, s13
; %bb.6943:                             ;   in Loop: Header=BB6_6741 Depth=3
	s_delay_alu instid0(VALU_DEP_2) | instskip(SKIP_2) | instid1(VALU_DEP_2)
	v_cmp_lt_u64_e32 vcc_lo, 0xffffff, v[2:3]
	v_add_nc_u32_e32 v0, 7, v19
	v_cndmask_b32_e64 v16, 0, 1, vcc_lo
	v_cndmask_b32_e32 v0, v18, v0, vcc_lo
	s_delay_alu instid0(VALU_DEP_2)
	v_lshrrev_b64 v[16:17], v16, v[2:3]
; %bb.6944:                             ;   in Loop: Header=BB6_6741 Depth=3
	s_and_not1_saveexec_b32 s13, s13
; %bb.6945:                             ;   in Loop: Header=BB6_6741 Depth=3
	v_mov_b64_e32 v[16:17], v[2:3]
	v_bfe_u32 v0, v2, 23, 1
; %bb.6946:                             ;   in Loop: Header=BB6_6741 Depth=3
	s_or_b32 exec_lo, exec_lo, s13
	s_delay_alu instid0(VALU_DEP_2) | instskip(NEXT) | instid1(VALU_DEP_2)
	v_lshrrev_b64 v[16:17], 20, v[16:17]
	v_cmp_gt_i32_e32 vcc_lo, 16, v0
	v_cmp_ne_u32_e64 s13, 0, v0
                                        ; implicit-def: $vgpr48
	s_delay_alu instid0(VALU_DEP_3) | instskip(NEXT) | instid1(VALU_DEP_1)
	v_dual_cndmask_b32 v17, 0, v17 :: v_dual_cndmask_b32 v16, 7, v16
	v_cmp_ne_u64_e32 vcc_lo, 0, v[16:17]
	s_or_b32 s13, s13, vcc_lo
	s_delay_alu instid0(SALU_CYCLE_1) | instskip(NEXT) | instid1(SALU_CYCLE_1)
	s_and_saveexec_b32 s76, s13
	s_xor_b32 s13, exec_lo, s76
; %bb.6947:                             ;   in Loop: Header=BB6_6741 Depth=3
	v_min_i32_e32 v0, 15, v0
	s_delay_alu instid0(VALU_DEP_1) | instskip(NEXT) | instid1(VALU_DEP_1)
	v_lshl_or_b32 v0, v0, 3, v66
                                        ; implicit-def: $vgpr66
	v_and_or_b32 v48, v16, 7, v0
; %bb.6948:                             ;   in Loop: Header=BB6_6741 Depth=3
	s_and_not1_saveexec_b32 s13, s13
; %bb.6949:                             ;   in Loop: Header=BB6_6741 Depth=3
	v_mov_b32_e32 v48, v66
; %bb.6950:                             ;   in Loop: Header=BB6_6741 Depth=3
	s_or_b32 exec_lo, exec_lo, s13
.LBB6_6951:                             ;   in Loop: Header=BB6_6741 Depth=3
	s_delay_alu instid0(SALU_CYCLE_1)
	s_or_b32 exec_lo, exec_lo, s75
                                        ; implicit-def: $vgpr66
.LBB6_6952:                             ;   in Loop: Header=BB6_6741 Depth=3
	s_and_not1_saveexec_b32 s13, s74
; %bb.6953:                             ;   in Loop: Header=BB6_6741 Depth=3
	v_or_b32_e32 v48, 0x7e, v66
; %bb.6954:                             ;   in Loop: Header=BB6_6741 Depth=3
	s_or_b32 exec_lo, exec_lo, s13
                                        ; implicit-def: $vgpr16
.LBB6_6955:                             ;   in Loop: Header=BB6_6741 Depth=3
	s_and_not1_saveexec_b32 s13, s45
; %bb.6956:                             ;   in Loop: Header=BB6_6741 Depth=3
	v_or_b32_e32 v48, 0x7f, v16
; %bb.6957:                             ;   in Loop: Header=BB6_6741 Depth=3
	s_or_b32 exec_lo, exec_lo, s13
	v_and_b32_e32 v0, 0xff, v121
	v_dual_mov_b32 v18, 0 :: v_dual_mov_b32 v19, 0
	s_mov_b32 s13, exec_lo
	s_delay_alu instid0(VALU_DEP_2)
	v_cmpx_ne_u16_e32 0, v0
	s_cbranch_execz .LBB6_6965
; %bb.6958:                             ;   in Loop: Header=BB6_6741 Depth=3
	v_bfrev_b32_e32 v19, 1
	s_mov_b32 s45, exec_lo
	v_cmpx_ne_u16_e32 0x80, v0
	s_cbranch_execz .LBB6_6964
; %bb.6959:                             ;   in Loop: Header=BB6_6741 Depth=3
	v_and_b32_e32 v16, 0x7f, v121
	v_mov_b32_e32 v19, 0x7f800001
	s_mov_b32 s74, exec_lo
	s_delay_alu instid0(VALU_DEP_2)
	v_cmpx_ne_u32_e32 0x7f, v16
	s_cbranch_execz .LBB6_6963
; %bb.6960:                             ;   in Loop: Header=BB6_6741 Depth=3
	v_and_b32_e32 v2, 7, v0
	v_lshrrev_b32_e32 v0, 3, v16
	v_cmp_gt_u32_e32 vcc_lo, 8, v16
	s_delay_alu instid0(VALU_DEP_3)
	v_mov_b64_e32 v[16:17], v[2:3]
	s_and_saveexec_b32 s75, vcc_lo
; %bb.6961:                             ;   in Loop: Header=BB6_6741 Depth=3
	v_clz_i32_u32_e32 v0, v2
	s_delay_alu instid0(VALU_DEP_1) | instskip(NEXT) | instid1(VALU_DEP_1)
	v_min_u32_e32 v0, 32, v0
	v_subrev_nc_u32_e32 v16, 28, v0
	v_sub_nc_u32_e32 v0, 29, v0
	s_delay_alu instid0(VALU_DEP_2) | instskip(NEXT) | instid1(VALU_DEP_1)
	v_lshlrev_b64_e32 v[16:17], v16, v[2:3]
	v_and_b32_e32 v16, 7, v16
; %bb.6962:                             ;   in Loop: Header=BB6_6741 Depth=3
	s_or_b32 exec_lo, exec_lo, s75
	s_delay_alu instid0(VALU_DEP_1) | instskip(SKIP_1) | instid1(VALU_DEP_2)
	v_dual_lshlrev_b32 v2, 24, v121 :: v_dual_lshlrev_b32 v16, 20, v16
	v_lshl_add_u32 v0, v0, 23, 0x3c000000
	v_and_b32_e32 v2, 0x80000000, v2
	s_delay_alu instid0(VALU_DEP_1)
	v_or3_b32 v19, v16, v2, v0
.LBB6_6963:                             ;   in Loop: Header=BB6_6741 Depth=3
	s_or_b32 exec_lo, exec_lo, s74
.LBB6_6964:                             ;   in Loop: Header=BB6_6741 Depth=3
	s_delay_alu instid0(SALU_CYCLE_1)
	s_or_b32 exec_lo, exec_lo, s45
.LBB6_6965:                             ;   in Loop: Header=BB6_6741 Depth=3
	s_delay_alu instid0(SALU_CYCLE_1) | instskip(SKIP_3) | instid1(VALU_DEP_1)
	s_or_b32 exec_lo, exec_lo, s13
	s_wait_loadcnt_dscnt 0x1919
	v_and_b32_e32 v0, 0xff, v51
	s_mov_b32 s13, exec_lo
	v_cmpx_ne_u16_e32 0, v0
	s_cbranch_execz .LBB6_6973
; %bb.6966:                             ;   in Loop: Header=BB6_6741 Depth=3
	v_bfrev_b32_e32 v18, 1
	s_mov_b32 s45, exec_lo
	v_cmpx_ne_u16_e32 0x80, v0
	s_cbranch_execz .LBB6_6972
; %bb.6967:                             ;   in Loop: Header=BB6_6741 Depth=3
	v_and_b32_e32 v16, 0x7f, v51
	v_mov_b32_e32 v18, 0x7f800001
	s_mov_b32 s74, exec_lo
	s_delay_alu instid0(VALU_DEP_2)
	v_cmpx_ne_u32_e32 0x7f, v16
	s_cbranch_execz .LBB6_6971
; %bb.6968:                             ;   in Loop: Header=BB6_6741 Depth=3
	v_and_b32_e32 v2, 7, v0
	v_lshrrev_b32_e32 v0, 3, v16
	v_cmp_gt_u32_e32 vcc_lo, 8, v16
	s_delay_alu instid0(VALU_DEP_3)
	v_mov_b64_e32 v[16:17], v[2:3]
	s_and_saveexec_b32 s75, vcc_lo
; %bb.6969:                             ;   in Loop: Header=BB6_6741 Depth=3
	v_clz_i32_u32_e32 v0, v2
	s_delay_alu instid0(VALU_DEP_1) | instskip(NEXT) | instid1(VALU_DEP_1)
	v_min_u32_e32 v0, 32, v0
	v_subrev_nc_u32_e32 v16, 28, v0
	v_sub_nc_u32_e32 v0, 29, v0
	s_delay_alu instid0(VALU_DEP_2) | instskip(NEXT) | instid1(VALU_DEP_1)
	v_lshlrev_b64_e32 v[16:17], v16, v[2:3]
	v_and_b32_e32 v16, 7, v16
; %bb.6970:                             ;   in Loop: Header=BB6_6741 Depth=3
	s_or_b32 exec_lo, exec_lo, s75
	s_delay_alu instid0(VALU_DEP_1) | instskip(SKIP_1) | instid1(VALU_DEP_2)
	v_dual_lshlrev_b32 v2, 24, v51 :: v_dual_lshlrev_b32 v16, 20, v16
	v_lshl_add_u32 v0, v0, 23, 0x3c000000
	v_and_b32_e32 v2, 0x80000000, v2
	s_delay_alu instid0(VALU_DEP_1)
	v_or3_b32 v18, v16, v2, v0
.LBB6_6971:                             ;   in Loop: Header=BB6_6741 Depth=3
	s_or_b32 exec_lo, exec_lo, s74
.LBB6_6972:                             ;   in Loop: Header=BB6_6741 Depth=3
	s_delay_alu instid0(SALU_CYCLE_1)
	s_or_b32 exec_lo, exec_lo, s45
.LBB6_6973:                             ;   in Loop: Header=BB6_6741 Depth=3
	s_delay_alu instid0(SALU_CYCLE_1) | instskip(NEXT) | instid1(VALU_DEP_1)
	s_or_b32 exec_lo, exec_lo, s13
	v_add_f32_e32 v0, v19, v18
                                        ; implicit-def: $vgpr51
	s_mov_b32 s13, exec_lo
	s_delay_alu instid0(VALU_DEP_1) | instskip(SKIP_1) | instid1(VALU_DEP_2)
	v_and_b32_e32 v2, 0x7f800000, v0
	v_lshrrev_b32_e32 v16, 24, v0
	v_cmpx_ne_u64_e32 0x7f800000, v[2:3]
	s_xor_b32 s45, exec_lo, s13
	s_cbranch_execz .LBB6_6991
; %bb.6974:                             ;   in Loop: Header=BB6_6741 Depth=3
	v_and_b32_e32 v2, 0x7fffffff, v0
	v_and_b32_e32 v66, 0x80, v16
                                        ; implicit-def: $vgpr51
	s_mov_b32 s13, exec_lo
	s_delay_alu instid0(VALU_DEP_2)
	v_cmpx_gt_u64_e32 0x43e00001, v[2:3]
	s_xor_b32 s74, exec_lo, s13
	s_cbranch_execz .LBB6_6988
; %bb.6975:                             ;   in Loop: Header=BB6_6741 Depth=3
	v_mov_b32_e32 v51, 0
	s_mov_b32 s75, exec_lo
	v_cmpx_ne_u32_e32 0, v0
	s_cbranch_execz .LBB6_6987
; %bb.6976:                             ;   in Loop: Header=BB6_6741 Depth=3
	v_bfe_u32 v51, v0, 23, 8
	v_and_b32_e32 v2, 0x7fffff, v0
	s_delay_alu instid0(VALU_DEP_2) | instskip(SKIP_2) | instid1(VALU_DEP_4)
	v_cmp_gt_u32_e64 s13, 0x7a, v51
	v_sub_nc_u32_e32 v0, 0x79, v51
	v_cmp_eq_u32_e32 vcc_lo, 0, v51
	v_or_b32_e32 v16, 0x800000, v2
	s_delay_alu instid0(VALU_DEP_1) | instskip(NEXT) | instid1(VALU_DEP_1)
	v_dual_cndmask_b32 v0, 0, v0, s13 :: v_dual_cndmask_b32 v2, v16, v2, vcc_lo
	v_cndmask_b32_e64 v0, v0, 0x78, vcc_lo
	s_delay_alu instid0(VALU_DEP_1) | instskip(NEXT) | instid1(VALU_DEP_1)
	v_dual_add_nc_u32 v16, 20, v0 :: v_dual_add_nc_u32 v18, 19, v0
	v_lshlrev_b64_e64 v[16:17], v16, -1
	s_delay_alu instid0(VALU_DEP_2) | instskip(NEXT) | instid1(VALU_DEP_2)
	v_lshlrev_b64_e64 v[18:19], v18, 1
	v_bfi_b32 v17, v17, 0, 0
	s_delay_alu instid0(VALU_DEP_3) | instskip(NEXT) | instid1(VALU_DEP_1)
	v_bfi_b32 v16, v16, 0, v2
	v_cmp_eq_u64_e64 s13, v[16:17], v[18:19]
	v_lshrrev_b64 v[16:17], v0, v[2:3]
	s_delay_alu instid0(VALU_DEP_1)
	v_mov_b64_e32 v[18:19], v[16:17]
	s_and_saveexec_b32 s76, s13
; %bb.6977:                             ;   in Loop: Header=BB6_6741 Depth=3
	v_bfe_u32 v2, v16, 20, 1
	s_delay_alu instid0(VALU_DEP_1) | instskip(NEXT) | instid1(VALU_DEP_1)
	v_add_nc_u64_e32 v[18:19], v[16:17], v[2:3]
	v_add_nc_u64_e32 v[18:19], -1, v[18:19]
; %bb.6978:                             ;   in Loop: Header=BB6_6741 Depth=3
	s_or_b32 exec_lo, exec_lo, s76
	v_add_nc_u32_e32 v2, 0xffffff81, v51
	v_lshrrev_b32_e32 v17, 23, v16
	s_mov_b32 s13, exec_lo
	s_delay_alu instid0(VALU_DEP_2) | instskip(NEXT) | instid1(VALU_DEP_1)
	v_cndmask_b32_e64 v2, v2, 0xffffff82, vcc_lo
	v_add3_u32 v19, v0, v2, v17
	v_and_b32_e32 v0, 0xfffff, v18
	s_delay_alu instid0(VALU_DEP_1) | instskip(NEXT) | instid1(VALU_DEP_1)
	v_dual_add_nc_u32 v18, 6, v19 :: v_dual_add_nc_u32 v2, v0, v16
                                        ; implicit-def: $vgpr16_vgpr17
                                        ; implicit-def: $vgpr0
	v_cmpx_ne_u32_e32 0, v18
	s_xor_b32 s13, exec_lo, s13
; %bb.6979:                             ;   in Loop: Header=BB6_6741 Depth=3
	s_delay_alu instid0(VALU_DEP_2) | instskip(SKIP_2) | instid1(VALU_DEP_2)
	v_cmp_lt_u64_e32 vcc_lo, 0xffffff, v[2:3]
	v_add_nc_u32_e32 v0, 7, v19
	v_cndmask_b32_e64 v16, 0, 1, vcc_lo
	v_cndmask_b32_e32 v0, v18, v0, vcc_lo
	s_delay_alu instid0(VALU_DEP_2)
	v_lshrrev_b64 v[16:17], v16, v[2:3]
; %bb.6980:                             ;   in Loop: Header=BB6_6741 Depth=3
	s_and_not1_saveexec_b32 s13, s13
; %bb.6981:                             ;   in Loop: Header=BB6_6741 Depth=3
	v_mov_b64_e32 v[16:17], v[2:3]
	v_bfe_u32 v0, v2, 23, 1
; %bb.6982:                             ;   in Loop: Header=BB6_6741 Depth=3
	s_or_b32 exec_lo, exec_lo, s13
	s_delay_alu instid0(VALU_DEP_2) | instskip(NEXT) | instid1(VALU_DEP_2)
	v_lshrrev_b64 v[16:17], 20, v[16:17]
	v_cmp_gt_i32_e32 vcc_lo, 16, v0
	v_cmp_ne_u32_e64 s13, 0, v0
                                        ; implicit-def: $vgpr51
	s_delay_alu instid0(VALU_DEP_3) | instskip(NEXT) | instid1(VALU_DEP_1)
	v_dual_cndmask_b32 v17, 0, v17 :: v_dual_cndmask_b32 v16, 7, v16
	v_cmp_ne_u64_e32 vcc_lo, 0, v[16:17]
	s_or_b32 s13, s13, vcc_lo
	s_delay_alu instid0(SALU_CYCLE_1) | instskip(NEXT) | instid1(SALU_CYCLE_1)
	s_and_saveexec_b32 s76, s13
	s_xor_b32 s13, exec_lo, s76
; %bb.6983:                             ;   in Loop: Header=BB6_6741 Depth=3
	v_min_i32_e32 v0, 15, v0
	s_delay_alu instid0(VALU_DEP_1) | instskip(NEXT) | instid1(VALU_DEP_1)
	v_lshl_or_b32 v0, v0, 3, v66
                                        ; implicit-def: $vgpr66
	v_and_or_b32 v51, v16, 7, v0
; %bb.6984:                             ;   in Loop: Header=BB6_6741 Depth=3
	s_and_not1_saveexec_b32 s13, s13
; %bb.6985:                             ;   in Loop: Header=BB6_6741 Depth=3
	v_mov_b32_e32 v51, v66
; %bb.6986:                             ;   in Loop: Header=BB6_6741 Depth=3
	s_or_b32 exec_lo, exec_lo, s13
.LBB6_6987:                             ;   in Loop: Header=BB6_6741 Depth=3
	s_delay_alu instid0(SALU_CYCLE_1)
	s_or_b32 exec_lo, exec_lo, s75
                                        ; implicit-def: $vgpr66
.LBB6_6988:                             ;   in Loop: Header=BB6_6741 Depth=3
	s_and_not1_saveexec_b32 s13, s74
; %bb.6989:                             ;   in Loop: Header=BB6_6741 Depth=3
	v_or_b32_e32 v51, 0x7e, v66
; %bb.6990:                             ;   in Loop: Header=BB6_6741 Depth=3
	s_or_b32 exec_lo, exec_lo, s13
                                        ; implicit-def: $vgpr16
.LBB6_6991:                             ;   in Loop: Header=BB6_6741 Depth=3
	s_and_not1_saveexec_b32 s13, s45
; %bb.6992:                             ;   in Loop: Header=BB6_6741 Depth=3
	v_or_b32_e32 v51, 0x7f, v16
; %bb.6993:                             ;   in Loop: Header=BB6_6741 Depth=3
	s_or_b32 exec_lo, exec_lo, s13
	v_and_b32_e32 v0, 0xff, v120
	v_dual_mov_b32 v18, 0 :: v_dual_mov_b32 v19, 0
	s_mov_b32 s13, exec_lo
	s_delay_alu instid0(VALU_DEP_2)
	v_cmpx_ne_u16_e32 0, v0
	s_cbranch_execz .LBB6_7001
; %bb.6994:                             ;   in Loop: Header=BB6_6741 Depth=3
	v_bfrev_b32_e32 v19, 1
	s_mov_b32 s45, exec_lo
	v_cmpx_ne_u16_e32 0x80, v0
	s_cbranch_execz .LBB6_7000
; %bb.6995:                             ;   in Loop: Header=BB6_6741 Depth=3
	v_and_b32_e32 v16, 0x7f, v120
	v_mov_b32_e32 v19, 0x7f800001
	s_mov_b32 s74, exec_lo
	s_delay_alu instid0(VALU_DEP_2)
	v_cmpx_ne_u32_e32 0x7f, v16
	s_cbranch_execz .LBB6_6999
; %bb.6996:                             ;   in Loop: Header=BB6_6741 Depth=3
	v_and_b32_e32 v2, 7, v0
	v_lshrrev_b32_e32 v0, 3, v16
	v_cmp_gt_u32_e32 vcc_lo, 8, v16
	s_delay_alu instid0(VALU_DEP_3)
	v_mov_b64_e32 v[16:17], v[2:3]
	s_and_saveexec_b32 s75, vcc_lo
; %bb.6997:                             ;   in Loop: Header=BB6_6741 Depth=3
	v_clz_i32_u32_e32 v0, v2
	s_delay_alu instid0(VALU_DEP_1) | instskip(NEXT) | instid1(VALU_DEP_1)
	v_min_u32_e32 v0, 32, v0
	v_subrev_nc_u32_e32 v16, 28, v0
	v_sub_nc_u32_e32 v0, 29, v0
	s_delay_alu instid0(VALU_DEP_2) | instskip(NEXT) | instid1(VALU_DEP_1)
	v_lshlrev_b64_e32 v[16:17], v16, v[2:3]
	v_and_b32_e32 v16, 7, v16
; %bb.6998:                             ;   in Loop: Header=BB6_6741 Depth=3
	s_or_b32 exec_lo, exec_lo, s75
	v_lshlrev_b32_e32 v2, 24, v120
	s_delay_alu instid0(VALU_DEP_2) | instskip(SKIP_1) | instid1(VALU_DEP_3)
	v_lshlrev_b32_e32 v16, 20, v16
	v_lshl_add_u32 v0, v0, 23, 0x3c000000
	v_and_b32_e32 v2, 0x80000000, v2
	s_delay_alu instid0(VALU_DEP_1)
	v_or3_b32 v19, v16, v2, v0
.LBB6_6999:                             ;   in Loop: Header=BB6_6741 Depth=3
	s_or_b32 exec_lo, exec_lo, s74
.LBB6_7000:                             ;   in Loop: Header=BB6_6741 Depth=3
	s_delay_alu instid0(SALU_CYCLE_1)
	s_or_b32 exec_lo, exec_lo, s45
.LBB6_7001:                             ;   in Loop: Header=BB6_6741 Depth=3
	s_delay_alu instid0(SALU_CYCLE_1) | instskip(SKIP_3) | instid1(VALU_DEP_1)
	s_or_b32 exec_lo, exec_lo, s13
	s_wait_loadcnt_dscnt 0x1818
	v_and_b32_e32 v0, 0xff, v55
	s_mov_b32 s13, exec_lo
	v_cmpx_ne_u16_e32 0, v0
	s_cbranch_execz .LBB6_7009
; %bb.7002:                             ;   in Loop: Header=BB6_6741 Depth=3
	v_bfrev_b32_e32 v18, 1
	s_mov_b32 s45, exec_lo
	v_cmpx_ne_u16_e32 0x80, v0
	s_cbranch_execz .LBB6_7008
; %bb.7003:                             ;   in Loop: Header=BB6_6741 Depth=3
	v_and_b32_e32 v16, 0x7f, v55
	v_mov_b32_e32 v18, 0x7f800001
	s_mov_b32 s74, exec_lo
	s_delay_alu instid0(VALU_DEP_2)
	v_cmpx_ne_u32_e32 0x7f, v16
	s_cbranch_execz .LBB6_7007
; %bb.7004:                             ;   in Loop: Header=BB6_6741 Depth=3
	v_and_b32_e32 v2, 7, v0
	v_lshrrev_b32_e32 v0, 3, v16
	v_cmp_gt_u32_e32 vcc_lo, 8, v16
	s_delay_alu instid0(VALU_DEP_3)
	v_mov_b64_e32 v[16:17], v[2:3]
	s_and_saveexec_b32 s75, vcc_lo
; %bb.7005:                             ;   in Loop: Header=BB6_6741 Depth=3
	v_clz_i32_u32_e32 v0, v2
	s_delay_alu instid0(VALU_DEP_1) | instskip(NEXT) | instid1(VALU_DEP_1)
	v_min_u32_e32 v0, 32, v0
	v_subrev_nc_u32_e32 v16, 28, v0
	v_sub_nc_u32_e32 v0, 29, v0
	s_delay_alu instid0(VALU_DEP_2) | instskip(NEXT) | instid1(VALU_DEP_1)
	v_lshlrev_b64_e32 v[16:17], v16, v[2:3]
	v_and_b32_e32 v16, 7, v16
; %bb.7006:                             ;   in Loop: Header=BB6_6741 Depth=3
	s_or_b32 exec_lo, exec_lo, s75
	s_delay_alu instid0(VALU_DEP_1) | instskip(SKIP_1) | instid1(VALU_DEP_2)
	v_dual_lshlrev_b32 v2, 24, v55 :: v_dual_lshlrev_b32 v16, 20, v16
	v_lshl_add_u32 v0, v0, 23, 0x3c000000
	v_and_b32_e32 v2, 0x80000000, v2
	s_delay_alu instid0(VALU_DEP_1)
	v_or3_b32 v18, v16, v2, v0
.LBB6_7007:                             ;   in Loop: Header=BB6_6741 Depth=3
	s_or_b32 exec_lo, exec_lo, s74
.LBB6_7008:                             ;   in Loop: Header=BB6_6741 Depth=3
	s_delay_alu instid0(SALU_CYCLE_1)
	s_or_b32 exec_lo, exec_lo, s45
.LBB6_7009:                             ;   in Loop: Header=BB6_6741 Depth=3
	s_delay_alu instid0(SALU_CYCLE_1) | instskip(NEXT) | instid1(VALU_DEP_1)
	s_or_b32 exec_lo, exec_lo, s13
	v_add_f32_e32 v0, v19, v18
                                        ; implicit-def: $vgpr55
	s_mov_b32 s13, exec_lo
	s_delay_alu instid0(VALU_DEP_1) | instskip(SKIP_1) | instid1(VALU_DEP_2)
	v_and_b32_e32 v2, 0x7f800000, v0
	v_lshrrev_b32_e32 v16, 24, v0
	v_cmpx_ne_u64_e32 0x7f800000, v[2:3]
	s_xor_b32 s45, exec_lo, s13
	s_cbranch_execz .LBB6_7027
; %bb.7010:                             ;   in Loop: Header=BB6_6741 Depth=3
	v_and_b32_e32 v2, 0x7fffffff, v0
	v_and_b32_e32 v66, 0x80, v16
                                        ; implicit-def: $vgpr55
	s_mov_b32 s13, exec_lo
	s_delay_alu instid0(VALU_DEP_2)
	v_cmpx_gt_u64_e32 0x43e00001, v[2:3]
	s_xor_b32 s74, exec_lo, s13
	s_cbranch_execz .LBB6_7024
; %bb.7011:                             ;   in Loop: Header=BB6_6741 Depth=3
	v_mov_b32_e32 v55, 0
	s_mov_b32 s75, exec_lo
	v_cmpx_ne_u32_e32 0, v0
	s_cbranch_execz .LBB6_7023
; %bb.7012:                             ;   in Loop: Header=BB6_6741 Depth=3
	v_bfe_u32 v55, v0, 23, 8
	v_and_b32_e32 v2, 0x7fffff, v0
	s_delay_alu instid0(VALU_DEP_2) | instskip(SKIP_2) | instid1(VALU_DEP_4)
	v_cmp_gt_u32_e64 s13, 0x7a, v55
	v_sub_nc_u32_e32 v0, 0x79, v55
	v_cmp_eq_u32_e32 vcc_lo, 0, v55
	v_or_b32_e32 v16, 0x800000, v2
	s_delay_alu instid0(VALU_DEP_1) | instskip(NEXT) | instid1(VALU_DEP_1)
	v_dual_cndmask_b32 v0, 0, v0, s13 :: v_dual_cndmask_b32 v2, v16, v2, vcc_lo
	v_cndmask_b32_e64 v0, v0, 0x78, vcc_lo
	s_delay_alu instid0(VALU_DEP_1) | instskip(NEXT) | instid1(VALU_DEP_1)
	v_dual_add_nc_u32 v16, 20, v0 :: v_dual_add_nc_u32 v18, 19, v0
	v_lshlrev_b64_e64 v[16:17], v16, -1
	s_delay_alu instid0(VALU_DEP_2) | instskip(NEXT) | instid1(VALU_DEP_2)
	v_lshlrev_b64_e64 v[18:19], v18, 1
	v_bfi_b32 v17, v17, 0, 0
	s_delay_alu instid0(VALU_DEP_3) | instskip(NEXT) | instid1(VALU_DEP_1)
	v_bfi_b32 v16, v16, 0, v2
	v_cmp_eq_u64_e64 s13, v[16:17], v[18:19]
	v_lshrrev_b64 v[16:17], v0, v[2:3]
	s_delay_alu instid0(VALU_DEP_1)
	v_mov_b64_e32 v[18:19], v[16:17]
	s_and_saveexec_b32 s76, s13
; %bb.7013:                             ;   in Loop: Header=BB6_6741 Depth=3
	v_bfe_u32 v2, v16, 20, 1
	s_delay_alu instid0(VALU_DEP_1) | instskip(NEXT) | instid1(VALU_DEP_1)
	v_add_nc_u64_e32 v[18:19], v[16:17], v[2:3]
	v_add_nc_u64_e32 v[18:19], -1, v[18:19]
; %bb.7014:                             ;   in Loop: Header=BB6_6741 Depth=3
	s_or_b32 exec_lo, exec_lo, s76
	v_add_nc_u32_e32 v2, 0xffffff81, v55
	v_lshrrev_b32_e32 v17, 23, v16
	s_mov_b32 s13, exec_lo
	s_delay_alu instid0(VALU_DEP_2) | instskip(NEXT) | instid1(VALU_DEP_1)
	v_cndmask_b32_e64 v2, v2, 0xffffff82, vcc_lo
	v_add3_u32 v19, v0, v2, v17
	v_and_b32_e32 v0, 0xfffff, v18
	s_delay_alu instid0(VALU_DEP_1) | instskip(NEXT) | instid1(VALU_DEP_1)
	v_dual_add_nc_u32 v18, 6, v19 :: v_dual_add_nc_u32 v2, v0, v16
                                        ; implicit-def: $vgpr16_vgpr17
                                        ; implicit-def: $vgpr0
	v_cmpx_ne_u32_e32 0, v18
	s_xor_b32 s13, exec_lo, s13
; %bb.7015:                             ;   in Loop: Header=BB6_6741 Depth=3
	s_delay_alu instid0(VALU_DEP_2) | instskip(SKIP_2) | instid1(VALU_DEP_2)
	v_cmp_lt_u64_e32 vcc_lo, 0xffffff, v[2:3]
	v_add_nc_u32_e32 v0, 7, v19
	v_cndmask_b32_e64 v16, 0, 1, vcc_lo
	v_cndmask_b32_e32 v0, v18, v0, vcc_lo
	s_delay_alu instid0(VALU_DEP_2)
	v_lshrrev_b64 v[16:17], v16, v[2:3]
; %bb.7016:                             ;   in Loop: Header=BB6_6741 Depth=3
	s_and_not1_saveexec_b32 s13, s13
; %bb.7017:                             ;   in Loop: Header=BB6_6741 Depth=3
	v_mov_b64_e32 v[16:17], v[2:3]
	v_bfe_u32 v0, v2, 23, 1
; %bb.7018:                             ;   in Loop: Header=BB6_6741 Depth=3
	s_or_b32 exec_lo, exec_lo, s13
	s_delay_alu instid0(VALU_DEP_2) | instskip(NEXT) | instid1(VALU_DEP_2)
	v_lshrrev_b64 v[16:17], 20, v[16:17]
	v_cmp_gt_i32_e32 vcc_lo, 16, v0
	v_cmp_ne_u32_e64 s13, 0, v0
                                        ; implicit-def: $vgpr55
	s_delay_alu instid0(VALU_DEP_3) | instskip(NEXT) | instid1(VALU_DEP_1)
	v_dual_cndmask_b32 v17, 0, v17 :: v_dual_cndmask_b32 v16, 7, v16
	v_cmp_ne_u64_e32 vcc_lo, 0, v[16:17]
	s_or_b32 s13, s13, vcc_lo
	s_delay_alu instid0(SALU_CYCLE_1) | instskip(NEXT) | instid1(SALU_CYCLE_1)
	s_and_saveexec_b32 s76, s13
	s_xor_b32 s13, exec_lo, s76
; %bb.7019:                             ;   in Loop: Header=BB6_6741 Depth=3
	v_min_i32_e32 v0, 15, v0
	s_delay_alu instid0(VALU_DEP_1) | instskip(NEXT) | instid1(VALU_DEP_1)
	v_lshl_or_b32 v0, v0, 3, v66
                                        ; implicit-def: $vgpr66
	v_and_or_b32 v55, v16, 7, v0
; %bb.7020:                             ;   in Loop: Header=BB6_6741 Depth=3
	s_and_not1_saveexec_b32 s13, s13
; %bb.7021:                             ;   in Loop: Header=BB6_6741 Depth=3
	v_mov_b32_e32 v55, v66
; %bb.7022:                             ;   in Loop: Header=BB6_6741 Depth=3
	s_or_b32 exec_lo, exec_lo, s13
.LBB6_7023:                             ;   in Loop: Header=BB6_6741 Depth=3
	s_delay_alu instid0(SALU_CYCLE_1)
	s_or_b32 exec_lo, exec_lo, s75
                                        ; implicit-def: $vgpr66
.LBB6_7024:                             ;   in Loop: Header=BB6_6741 Depth=3
	s_and_not1_saveexec_b32 s13, s74
; %bb.7025:                             ;   in Loop: Header=BB6_6741 Depth=3
	v_or_b32_e32 v55, 0x7e, v66
; %bb.7026:                             ;   in Loop: Header=BB6_6741 Depth=3
	s_or_b32 exec_lo, exec_lo, s13
                                        ; implicit-def: $vgpr16
.LBB6_7027:                             ;   in Loop: Header=BB6_6741 Depth=3
	s_and_not1_saveexec_b32 s13, s45
; %bb.7028:                             ;   in Loop: Header=BB6_6741 Depth=3
	v_or_b32_e32 v55, 0x7f, v16
; %bb.7029:                             ;   in Loop: Header=BB6_6741 Depth=3
	s_or_b32 exec_lo, exec_lo, s13
	v_and_b32_e32 v0, 0xff, v111
	v_dual_mov_b32 v18, 0 :: v_dual_mov_b32 v19, 0
	s_mov_b32 s13, exec_lo
	s_delay_alu instid0(VALU_DEP_2)
	v_cmpx_ne_u16_e32 0, v0
	s_cbranch_execz .LBB6_7037
; %bb.7030:                             ;   in Loop: Header=BB6_6741 Depth=3
	v_bfrev_b32_e32 v19, 1
	s_mov_b32 s45, exec_lo
	v_cmpx_ne_u16_e32 0x80, v0
	s_cbranch_execz .LBB6_7036
; %bb.7031:                             ;   in Loop: Header=BB6_6741 Depth=3
	v_and_b32_e32 v16, 0x7f, v111
	v_mov_b32_e32 v19, 0x7f800001
	s_mov_b32 s74, exec_lo
	s_delay_alu instid0(VALU_DEP_2)
	v_cmpx_ne_u32_e32 0x7f, v16
	s_cbranch_execz .LBB6_7035
; %bb.7032:                             ;   in Loop: Header=BB6_6741 Depth=3
	v_and_b32_e32 v2, 7, v0
	v_lshrrev_b32_e32 v0, 3, v16
	v_cmp_gt_u32_e32 vcc_lo, 8, v16
	s_delay_alu instid0(VALU_DEP_3)
	v_mov_b64_e32 v[16:17], v[2:3]
	s_and_saveexec_b32 s75, vcc_lo
; %bb.7033:                             ;   in Loop: Header=BB6_6741 Depth=3
	v_clz_i32_u32_e32 v0, v2
	s_delay_alu instid0(VALU_DEP_1) | instskip(NEXT) | instid1(VALU_DEP_1)
	v_min_u32_e32 v0, 32, v0
	v_subrev_nc_u32_e32 v16, 28, v0
	v_sub_nc_u32_e32 v0, 29, v0
	s_delay_alu instid0(VALU_DEP_2) | instskip(NEXT) | instid1(VALU_DEP_1)
	v_lshlrev_b64_e32 v[16:17], v16, v[2:3]
	v_and_b32_e32 v16, 7, v16
; %bb.7034:                             ;   in Loop: Header=BB6_6741 Depth=3
	s_or_b32 exec_lo, exec_lo, s75
	s_delay_alu instid0(VALU_DEP_1) | instskip(SKIP_1) | instid1(VALU_DEP_2)
	v_dual_lshlrev_b32 v2, 24, v111 :: v_dual_lshlrev_b32 v16, 20, v16
	v_lshl_add_u32 v0, v0, 23, 0x3c000000
	v_and_b32_e32 v2, 0x80000000, v2
	s_delay_alu instid0(VALU_DEP_1)
	v_or3_b32 v19, v16, v2, v0
.LBB6_7035:                             ;   in Loop: Header=BB6_6741 Depth=3
	s_or_b32 exec_lo, exec_lo, s74
.LBB6_7036:                             ;   in Loop: Header=BB6_6741 Depth=3
	s_delay_alu instid0(SALU_CYCLE_1)
	s_or_b32 exec_lo, exec_lo, s45
.LBB6_7037:                             ;   in Loop: Header=BB6_6741 Depth=3
	s_delay_alu instid0(SALU_CYCLE_1) | instskip(SKIP_3) | instid1(VALU_DEP_1)
	s_or_b32 exec_lo, exec_lo, s13
	s_wait_loadcnt_dscnt 0x1717
	v_and_b32_e32 v0, 0xff, v98
	s_mov_b32 s13, exec_lo
	v_cmpx_ne_u16_e32 0, v0
	s_cbranch_execz .LBB6_7045
; %bb.7038:                             ;   in Loop: Header=BB6_6741 Depth=3
	v_bfrev_b32_e32 v18, 1
	s_mov_b32 s45, exec_lo
	v_cmpx_ne_u16_e32 0x80, v0
	s_cbranch_execz .LBB6_7044
; %bb.7039:                             ;   in Loop: Header=BB6_6741 Depth=3
	v_and_b32_e32 v16, 0x7f, v98
	v_mov_b32_e32 v18, 0x7f800001
	s_mov_b32 s74, exec_lo
	s_delay_alu instid0(VALU_DEP_2)
	v_cmpx_ne_u32_e32 0x7f, v16
	s_cbranch_execz .LBB6_7043
; %bb.7040:                             ;   in Loop: Header=BB6_6741 Depth=3
	v_and_b32_e32 v2, 7, v0
	v_lshrrev_b32_e32 v0, 3, v16
	v_cmp_gt_u32_e32 vcc_lo, 8, v16
	s_delay_alu instid0(VALU_DEP_3)
	v_mov_b64_e32 v[16:17], v[2:3]
	s_and_saveexec_b32 s75, vcc_lo
; %bb.7041:                             ;   in Loop: Header=BB6_6741 Depth=3
	v_clz_i32_u32_e32 v0, v2
	s_delay_alu instid0(VALU_DEP_1) | instskip(NEXT) | instid1(VALU_DEP_1)
	v_min_u32_e32 v0, 32, v0
	v_subrev_nc_u32_e32 v16, 28, v0
	v_sub_nc_u32_e32 v0, 29, v0
	s_delay_alu instid0(VALU_DEP_2) | instskip(NEXT) | instid1(VALU_DEP_1)
	v_lshlrev_b64_e32 v[16:17], v16, v[2:3]
	v_and_b32_e32 v16, 7, v16
; %bb.7042:                             ;   in Loop: Header=BB6_6741 Depth=3
	s_or_b32 exec_lo, exec_lo, s75
	s_delay_alu instid0(VALU_DEP_1) | instskip(SKIP_1) | instid1(VALU_DEP_2)
	v_dual_lshlrev_b32 v2, 24, v98 :: v_dual_lshlrev_b32 v16, 20, v16
	v_lshl_add_u32 v0, v0, 23, 0x3c000000
	v_and_b32_e32 v2, 0x80000000, v2
	s_delay_alu instid0(VALU_DEP_1)
	v_or3_b32 v18, v16, v2, v0
.LBB6_7043:                             ;   in Loop: Header=BB6_6741 Depth=3
	s_or_b32 exec_lo, exec_lo, s74
.LBB6_7044:                             ;   in Loop: Header=BB6_6741 Depth=3
	s_delay_alu instid0(SALU_CYCLE_1)
	s_or_b32 exec_lo, exec_lo, s45
.LBB6_7045:                             ;   in Loop: Header=BB6_6741 Depth=3
	s_delay_alu instid0(SALU_CYCLE_1) | instskip(NEXT) | instid1(VALU_DEP_1)
	s_or_b32 exec_lo, exec_lo, s13
	v_add_f32_e32 v0, v19, v18
                                        ; implicit-def: $vgpr98
	s_mov_b32 s13, exec_lo
	s_delay_alu instid0(VALU_DEP_1) | instskip(SKIP_1) | instid1(VALU_DEP_2)
	v_and_b32_e32 v2, 0x7f800000, v0
	v_lshrrev_b32_e32 v16, 24, v0
	v_cmpx_ne_u64_e32 0x7f800000, v[2:3]
	s_xor_b32 s45, exec_lo, s13
	s_cbranch_execz .LBB6_7063
; %bb.7046:                             ;   in Loop: Header=BB6_6741 Depth=3
	v_and_b32_e32 v2, 0x7fffffff, v0
	v_and_b32_e32 v66, 0x80, v16
                                        ; implicit-def: $vgpr98
	s_mov_b32 s13, exec_lo
	s_delay_alu instid0(VALU_DEP_2)
	v_cmpx_gt_u64_e32 0x43e00001, v[2:3]
	s_xor_b32 s74, exec_lo, s13
	s_cbranch_execz .LBB6_7060
; %bb.7047:                             ;   in Loop: Header=BB6_6741 Depth=3
	v_mov_b32_e32 v98, 0
	s_mov_b32 s75, exec_lo
	v_cmpx_ne_u32_e32 0, v0
	s_cbranch_execz .LBB6_7059
; %bb.7048:                             ;   in Loop: Header=BB6_6741 Depth=3
	v_bfe_u32 v67, v0, 23, 8
	v_and_b32_e32 v2, 0x7fffff, v0
	s_delay_alu instid0(VALU_DEP_2) | instskip(SKIP_2) | instid1(VALU_DEP_4)
	v_cmp_gt_u32_e64 s13, 0x7a, v67
	v_sub_nc_u32_e32 v0, 0x79, v67
	v_cmp_eq_u32_e32 vcc_lo, 0, v67
	v_or_b32_e32 v16, 0x800000, v2
	s_delay_alu instid0(VALU_DEP_1) | instskip(NEXT) | instid1(VALU_DEP_1)
	v_dual_cndmask_b32 v0, 0, v0, s13 :: v_dual_cndmask_b32 v2, v16, v2, vcc_lo
	v_cndmask_b32_e64 v0, v0, 0x78, vcc_lo
	s_delay_alu instid0(VALU_DEP_1) | instskip(NEXT) | instid1(VALU_DEP_1)
	v_dual_add_nc_u32 v16, 20, v0 :: v_dual_add_nc_u32 v18, 19, v0
	v_lshlrev_b64_e64 v[16:17], v16, -1
	s_delay_alu instid0(VALU_DEP_2) | instskip(NEXT) | instid1(VALU_DEP_2)
	v_lshlrev_b64_e64 v[18:19], v18, 1
	v_bfi_b32 v17, v17, 0, 0
	s_delay_alu instid0(VALU_DEP_3) | instskip(NEXT) | instid1(VALU_DEP_1)
	v_bfi_b32 v16, v16, 0, v2
	v_cmp_eq_u64_e64 s13, v[16:17], v[18:19]
	v_lshrrev_b64 v[16:17], v0, v[2:3]
	s_delay_alu instid0(VALU_DEP_1)
	v_mov_b64_e32 v[18:19], v[16:17]
	s_and_saveexec_b32 s76, s13
; %bb.7049:                             ;   in Loop: Header=BB6_6741 Depth=3
	v_bfe_u32 v2, v16, 20, 1
	s_delay_alu instid0(VALU_DEP_1) | instskip(NEXT) | instid1(VALU_DEP_1)
	v_add_nc_u64_e32 v[18:19], v[16:17], v[2:3]
	v_add_nc_u64_e32 v[18:19], -1, v[18:19]
; %bb.7050:                             ;   in Loop: Header=BB6_6741 Depth=3
	s_or_b32 exec_lo, exec_lo, s76
	v_add_nc_u32_e32 v2, 0xffffff81, v67
	v_lshrrev_b32_e32 v17, 23, v16
	s_mov_b32 s13, exec_lo
	s_delay_alu instid0(VALU_DEP_2) | instskip(NEXT) | instid1(VALU_DEP_1)
	v_cndmask_b32_e64 v2, v2, 0xffffff82, vcc_lo
	v_add3_u32 v19, v0, v2, v17
	v_and_b32_e32 v0, 0xfffff, v18
	s_delay_alu instid0(VALU_DEP_1) | instskip(NEXT) | instid1(VALU_DEP_1)
	v_dual_add_nc_u32 v18, 6, v19 :: v_dual_add_nc_u32 v2, v0, v16
                                        ; implicit-def: $vgpr16_vgpr17
                                        ; implicit-def: $vgpr0
	v_cmpx_ne_u32_e32 0, v18
	s_xor_b32 s13, exec_lo, s13
; %bb.7051:                             ;   in Loop: Header=BB6_6741 Depth=3
	s_delay_alu instid0(VALU_DEP_2) | instskip(SKIP_2) | instid1(VALU_DEP_2)
	v_cmp_lt_u64_e32 vcc_lo, 0xffffff, v[2:3]
	v_add_nc_u32_e32 v0, 7, v19
	v_cndmask_b32_e64 v16, 0, 1, vcc_lo
	v_cndmask_b32_e32 v0, v18, v0, vcc_lo
	s_delay_alu instid0(VALU_DEP_2)
	v_lshrrev_b64 v[16:17], v16, v[2:3]
; %bb.7052:                             ;   in Loop: Header=BB6_6741 Depth=3
	s_and_not1_saveexec_b32 s13, s13
; %bb.7053:                             ;   in Loop: Header=BB6_6741 Depth=3
	v_mov_b64_e32 v[16:17], v[2:3]
	v_bfe_u32 v0, v2, 23, 1
; %bb.7054:                             ;   in Loop: Header=BB6_6741 Depth=3
	s_or_b32 exec_lo, exec_lo, s13
	s_delay_alu instid0(VALU_DEP_2) | instskip(NEXT) | instid1(VALU_DEP_2)
	v_lshrrev_b64 v[16:17], 20, v[16:17]
	v_cmp_gt_i32_e32 vcc_lo, 16, v0
	v_cmp_ne_u32_e64 s13, 0, v0
                                        ; implicit-def: $vgpr98
	s_delay_alu instid0(VALU_DEP_3) | instskip(NEXT) | instid1(VALU_DEP_1)
	v_dual_cndmask_b32 v17, 0, v17 :: v_dual_cndmask_b32 v16, 7, v16
	v_cmp_ne_u64_e32 vcc_lo, 0, v[16:17]
	s_or_b32 s13, s13, vcc_lo
	s_delay_alu instid0(SALU_CYCLE_1) | instskip(NEXT) | instid1(SALU_CYCLE_1)
	s_and_saveexec_b32 s76, s13
	s_xor_b32 s13, exec_lo, s76
; %bb.7055:                             ;   in Loop: Header=BB6_6741 Depth=3
	v_min_i32_e32 v0, 15, v0
	s_delay_alu instid0(VALU_DEP_1) | instskip(NEXT) | instid1(VALU_DEP_1)
	v_lshl_or_b32 v0, v0, 3, v66
                                        ; implicit-def: $vgpr66
	v_and_or_b32 v98, v16, 7, v0
; %bb.7056:                             ;   in Loop: Header=BB6_6741 Depth=3
	s_and_not1_saveexec_b32 s13, s13
; %bb.7057:                             ;   in Loop: Header=BB6_6741 Depth=3
	v_mov_b32_e32 v98, v66
; %bb.7058:                             ;   in Loop: Header=BB6_6741 Depth=3
	s_or_b32 exec_lo, exec_lo, s13
.LBB6_7059:                             ;   in Loop: Header=BB6_6741 Depth=3
	s_delay_alu instid0(SALU_CYCLE_1)
	s_or_b32 exec_lo, exec_lo, s75
                                        ; implicit-def: $vgpr66
.LBB6_7060:                             ;   in Loop: Header=BB6_6741 Depth=3
	s_and_not1_saveexec_b32 s13, s74
; %bb.7061:                             ;   in Loop: Header=BB6_6741 Depth=3
	v_or_b32_e32 v98, 0x7e, v66
; %bb.7062:                             ;   in Loop: Header=BB6_6741 Depth=3
	s_or_b32 exec_lo, exec_lo, s13
                                        ; implicit-def: $vgpr16
.LBB6_7063:                             ;   in Loop: Header=BB6_6741 Depth=3
	s_and_not1_saveexec_b32 s13, s45
; %bb.7064:                             ;   in Loop: Header=BB6_6741 Depth=3
	v_or_b32_e32 v98, 0x7f, v16
; %bb.7065:                             ;   in Loop: Header=BB6_6741 Depth=3
	s_or_b32 exec_lo, exec_lo, s13
	v_and_b32_e32 v0, 0xff, v110
	v_dual_mov_b32 v18, 0 :: v_dual_mov_b32 v19, 0
	s_mov_b32 s13, exec_lo
	s_delay_alu instid0(VALU_DEP_2)
	v_cmpx_ne_u16_e32 0, v0
	s_cbranch_execz .LBB6_7073
; %bb.7066:                             ;   in Loop: Header=BB6_6741 Depth=3
	v_bfrev_b32_e32 v19, 1
	s_mov_b32 s45, exec_lo
	v_cmpx_ne_u16_e32 0x80, v0
	s_cbranch_execz .LBB6_7072
; %bb.7067:                             ;   in Loop: Header=BB6_6741 Depth=3
	v_and_b32_e32 v16, 0x7f, v110
	v_mov_b32_e32 v19, 0x7f800001
	s_mov_b32 s74, exec_lo
	s_delay_alu instid0(VALU_DEP_2)
	v_cmpx_ne_u32_e32 0x7f, v16
	s_cbranch_execz .LBB6_7071
; %bb.7068:                             ;   in Loop: Header=BB6_6741 Depth=3
	v_and_b32_e32 v2, 7, v0
	v_lshrrev_b32_e32 v0, 3, v16
	v_cmp_gt_u32_e32 vcc_lo, 8, v16
	s_delay_alu instid0(VALU_DEP_3)
	v_mov_b64_e32 v[16:17], v[2:3]
	s_and_saveexec_b32 s75, vcc_lo
; %bb.7069:                             ;   in Loop: Header=BB6_6741 Depth=3
	v_clz_i32_u32_e32 v0, v2
	s_delay_alu instid0(VALU_DEP_1) | instskip(NEXT) | instid1(VALU_DEP_1)
	v_min_u32_e32 v0, 32, v0
	v_subrev_nc_u32_e32 v16, 28, v0
	v_sub_nc_u32_e32 v0, 29, v0
	s_delay_alu instid0(VALU_DEP_2) | instskip(NEXT) | instid1(VALU_DEP_1)
	v_lshlrev_b64_e32 v[16:17], v16, v[2:3]
	v_and_b32_e32 v16, 7, v16
; %bb.7070:                             ;   in Loop: Header=BB6_6741 Depth=3
	s_or_b32 exec_lo, exec_lo, s75
	s_delay_alu instid0(VALU_DEP_1) | instskip(SKIP_1) | instid1(VALU_DEP_2)
	v_dual_lshlrev_b32 v2, 24, v110 :: v_dual_lshlrev_b32 v16, 20, v16
	v_lshl_add_u32 v0, v0, 23, 0x3c000000
	v_and_b32_e32 v2, 0x80000000, v2
	s_delay_alu instid0(VALU_DEP_1)
	v_or3_b32 v19, v16, v2, v0
.LBB6_7071:                             ;   in Loop: Header=BB6_6741 Depth=3
	s_or_b32 exec_lo, exec_lo, s74
.LBB6_7072:                             ;   in Loop: Header=BB6_6741 Depth=3
	s_delay_alu instid0(SALU_CYCLE_1)
	s_or_b32 exec_lo, exec_lo, s45
.LBB6_7073:                             ;   in Loop: Header=BB6_6741 Depth=3
	s_delay_alu instid0(SALU_CYCLE_1) | instskip(SKIP_3) | instid1(VALU_DEP_1)
	s_or_b32 exec_lo, exec_lo, s13
	s_wait_loadcnt_dscnt 0x1616
	v_and_b32_e32 v0, 0xff, v101
	s_mov_b32 s13, exec_lo
	v_cmpx_ne_u16_e32 0, v0
	s_cbranch_execz .LBB6_7081
; %bb.7074:                             ;   in Loop: Header=BB6_6741 Depth=3
	v_bfrev_b32_e32 v18, 1
	s_mov_b32 s45, exec_lo
	v_cmpx_ne_u16_e32 0x80, v0
	s_cbranch_execz .LBB6_7080
; %bb.7075:                             ;   in Loop: Header=BB6_6741 Depth=3
	v_and_b32_e32 v16, 0x7f, v101
	v_mov_b32_e32 v18, 0x7f800001
	s_mov_b32 s74, exec_lo
	s_delay_alu instid0(VALU_DEP_2)
	v_cmpx_ne_u32_e32 0x7f, v16
	s_cbranch_execz .LBB6_7079
; %bb.7076:                             ;   in Loop: Header=BB6_6741 Depth=3
	v_and_b32_e32 v2, 7, v0
	v_lshrrev_b32_e32 v0, 3, v16
	v_cmp_gt_u32_e32 vcc_lo, 8, v16
	s_delay_alu instid0(VALU_DEP_3)
	v_mov_b64_e32 v[16:17], v[2:3]
	s_and_saveexec_b32 s75, vcc_lo
; %bb.7077:                             ;   in Loop: Header=BB6_6741 Depth=3
	v_clz_i32_u32_e32 v0, v2
	s_delay_alu instid0(VALU_DEP_1) | instskip(NEXT) | instid1(VALU_DEP_1)
	v_min_u32_e32 v0, 32, v0
	v_subrev_nc_u32_e32 v16, 28, v0
	v_sub_nc_u32_e32 v0, 29, v0
	s_delay_alu instid0(VALU_DEP_2) | instskip(NEXT) | instid1(VALU_DEP_1)
	v_lshlrev_b64_e32 v[16:17], v16, v[2:3]
	v_and_b32_e32 v16, 7, v16
; %bb.7078:                             ;   in Loop: Header=BB6_6741 Depth=3
	s_or_b32 exec_lo, exec_lo, s75
	s_delay_alu instid0(VALU_DEP_1) | instskip(SKIP_1) | instid1(VALU_DEP_2)
	v_dual_lshlrev_b32 v2, 24, v101 :: v_dual_lshlrev_b32 v16, 20, v16
	v_lshl_add_u32 v0, v0, 23, 0x3c000000
	v_and_b32_e32 v2, 0x80000000, v2
	s_delay_alu instid0(VALU_DEP_1)
	v_or3_b32 v18, v16, v2, v0
.LBB6_7079:                             ;   in Loop: Header=BB6_6741 Depth=3
	s_or_b32 exec_lo, exec_lo, s74
.LBB6_7080:                             ;   in Loop: Header=BB6_6741 Depth=3
	s_delay_alu instid0(SALU_CYCLE_1)
	s_or_b32 exec_lo, exec_lo, s45
.LBB6_7081:                             ;   in Loop: Header=BB6_6741 Depth=3
	s_delay_alu instid0(SALU_CYCLE_1) | instskip(NEXT) | instid1(VALU_DEP_1)
	s_or_b32 exec_lo, exec_lo, s13
	v_add_f32_e32 v0, v19, v18
                                        ; implicit-def: $vgpr101
	s_mov_b32 s13, exec_lo
	s_delay_alu instid0(VALU_DEP_1) | instskip(SKIP_1) | instid1(VALU_DEP_2)
	v_and_b32_e32 v2, 0x7f800000, v0
	v_lshrrev_b32_e32 v16, 24, v0
	v_cmpx_ne_u64_e32 0x7f800000, v[2:3]
	s_xor_b32 s45, exec_lo, s13
	s_cbranch_execz .LBB6_7099
; %bb.7082:                             ;   in Loop: Header=BB6_6741 Depth=3
	v_and_b32_e32 v2, 0x7fffffff, v0
	v_and_b32_e32 v66, 0x80, v16
                                        ; implicit-def: $vgpr101
	s_mov_b32 s13, exec_lo
	s_delay_alu instid0(VALU_DEP_2)
	v_cmpx_gt_u64_e32 0x43e00001, v[2:3]
	s_xor_b32 s74, exec_lo, s13
	s_cbranch_execz .LBB6_7096
; %bb.7083:                             ;   in Loop: Header=BB6_6741 Depth=3
	v_mov_b32_e32 v101, 0
	s_mov_b32 s75, exec_lo
	v_cmpx_ne_u32_e32 0, v0
	s_cbranch_execz .LBB6_7095
; %bb.7084:                             ;   in Loop: Header=BB6_6741 Depth=3
	v_bfe_u32 v67, v0, 23, 8
	v_and_b32_e32 v2, 0x7fffff, v0
	s_delay_alu instid0(VALU_DEP_2) | instskip(SKIP_2) | instid1(VALU_DEP_4)
	v_cmp_gt_u32_e64 s13, 0x7a, v67
	v_sub_nc_u32_e32 v0, 0x79, v67
	v_cmp_eq_u32_e32 vcc_lo, 0, v67
	v_or_b32_e32 v16, 0x800000, v2
	s_delay_alu instid0(VALU_DEP_1) | instskip(NEXT) | instid1(VALU_DEP_1)
	v_dual_cndmask_b32 v0, 0, v0, s13 :: v_dual_cndmask_b32 v2, v16, v2, vcc_lo
	v_cndmask_b32_e64 v0, v0, 0x78, vcc_lo
	s_delay_alu instid0(VALU_DEP_1) | instskip(NEXT) | instid1(VALU_DEP_1)
	v_dual_add_nc_u32 v16, 20, v0 :: v_dual_add_nc_u32 v18, 19, v0
	v_lshlrev_b64_e64 v[16:17], v16, -1
	s_delay_alu instid0(VALU_DEP_2) | instskip(NEXT) | instid1(VALU_DEP_2)
	v_lshlrev_b64_e64 v[18:19], v18, 1
	v_bfi_b32 v17, v17, 0, 0
	s_delay_alu instid0(VALU_DEP_3) | instskip(NEXT) | instid1(VALU_DEP_1)
	v_bfi_b32 v16, v16, 0, v2
	v_cmp_eq_u64_e64 s13, v[16:17], v[18:19]
	v_lshrrev_b64 v[16:17], v0, v[2:3]
	s_delay_alu instid0(VALU_DEP_1)
	v_mov_b64_e32 v[18:19], v[16:17]
	s_and_saveexec_b32 s76, s13
; %bb.7085:                             ;   in Loop: Header=BB6_6741 Depth=3
	v_bfe_u32 v2, v16, 20, 1
	s_delay_alu instid0(VALU_DEP_1) | instskip(NEXT) | instid1(VALU_DEP_1)
	v_add_nc_u64_e32 v[18:19], v[16:17], v[2:3]
	v_add_nc_u64_e32 v[18:19], -1, v[18:19]
; %bb.7086:                             ;   in Loop: Header=BB6_6741 Depth=3
	s_or_b32 exec_lo, exec_lo, s76
	v_add_nc_u32_e32 v2, 0xffffff81, v67
	v_lshrrev_b32_e32 v17, 23, v16
	s_mov_b32 s13, exec_lo
	s_delay_alu instid0(VALU_DEP_2) | instskip(NEXT) | instid1(VALU_DEP_1)
	v_cndmask_b32_e64 v2, v2, 0xffffff82, vcc_lo
	v_add3_u32 v19, v0, v2, v17
	v_and_b32_e32 v0, 0xfffff, v18
	s_delay_alu instid0(VALU_DEP_1) | instskip(NEXT) | instid1(VALU_DEP_1)
	v_dual_add_nc_u32 v18, 6, v19 :: v_dual_add_nc_u32 v2, v0, v16
                                        ; implicit-def: $vgpr16_vgpr17
                                        ; implicit-def: $vgpr0
	v_cmpx_ne_u32_e32 0, v18
	s_xor_b32 s13, exec_lo, s13
; %bb.7087:                             ;   in Loop: Header=BB6_6741 Depth=3
	s_delay_alu instid0(VALU_DEP_2) | instskip(SKIP_2) | instid1(VALU_DEP_2)
	v_cmp_lt_u64_e32 vcc_lo, 0xffffff, v[2:3]
	v_add_nc_u32_e32 v0, 7, v19
	v_cndmask_b32_e64 v16, 0, 1, vcc_lo
	v_cndmask_b32_e32 v0, v18, v0, vcc_lo
	s_delay_alu instid0(VALU_DEP_2)
	v_lshrrev_b64 v[16:17], v16, v[2:3]
; %bb.7088:                             ;   in Loop: Header=BB6_6741 Depth=3
	s_and_not1_saveexec_b32 s13, s13
; %bb.7089:                             ;   in Loop: Header=BB6_6741 Depth=3
	v_mov_b64_e32 v[16:17], v[2:3]
	v_bfe_u32 v0, v2, 23, 1
; %bb.7090:                             ;   in Loop: Header=BB6_6741 Depth=3
	s_or_b32 exec_lo, exec_lo, s13
	s_delay_alu instid0(VALU_DEP_2) | instskip(NEXT) | instid1(VALU_DEP_2)
	v_lshrrev_b64 v[16:17], 20, v[16:17]
	v_cmp_gt_i32_e32 vcc_lo, 16, v0
	v_cmp_ne_u32_e64 s13, 0, v0
                                        ; implicit-def: $vgpr101
	s_delay_alu instid0(VALU_DEP_3) | instskip(NEXT) | instid1(VALU_DEP_1)
	v_dual_cndmask_b32 v17, 0, v17 :: v_dual_cndmask_b32 v16, 7, v16
	v_cmp_ne_u64_e32 vcc_lo, 0, v[16:17]
	s_or_b32 s13, s13, vcc_lo
	s_delay_alu instid0(SALU_CYCLE_1) | instskip(NEXT) | instid1(SALU_CYCLE_1)
	s_and_saveexec_b32 s76, s13
	s_xor_b32 s13, exec_lo, s76
; %bb.7091:                             ;   in Loop: Header=BB6_6741 Depth=3
	v_min_i32_e32 v0, 15, v0
	s_delay_alu instid0(VALU_DEP_1) | instskip(NEXT) | instid1(VALU_DEP_1)
	v_lshl_or_b32 v0, v0, 3, v66
                                        ; implicit-def: $vgpr66
	v_and_or_b32 v101, v16, 7, v0
; %bb.7092:                             ;   in Loop: Header=BB6_6741 Depth=3
	s_and_not1_saveexec_b32 s13, s13
; %bb.7093:                             ;   in Loop: Header=BB6_6741 Depth=3
	v_mov_b32_e32 v101, v66
; %bb.7094:                             ;   in Loop: Header=BB6_6741 Depth=3
	s_or_b32 exec_lo, exec_lo, s13
.LBB6_7095:                             ;   in Loop: Header=BB6_6741 Depth=3
	s_delay_alu instid0(SALU_CYCLE_1)
	s_or_b32 exec_lo, exec_lo, s75
                                        ; implicit-def: $vgpr66
.LBB6_7096:                             ;   in Loop: Header=BB6_6741 Depth=3
	s_and_not1_saveexec_b32 s13, s74
; %bb.7097:                             ;   in Loop: Header=BB6_6741 Depth=3
	v_or_b32_e32 v101, 0x7e, v66
; %bb.7098:                             ;   in Loop: Header=BB6_6741 Depth=3
	s_or_b32 exec_lo, exec_lo, s13
                                        ; implicit-def: $vgpr16
.LBB6_7099:                             ;   in Loop: Header=BB6_6741 Depth=3
	s_and_not1_saveexec_b32 s13, s45
; %bb.7100:                             ;   in Loop: Header=BB6_6741 Depth=3
	v_or_b32_e32 v101, 0x7f, v16
; %bb.7101:                             ;   in Loop: Header=BB6_6741 Depth=3
	s_or_b32 exec_lo, exec_lo, s13
	v_and_b32_e32 v0, 0xff, v109
	v_dual_mov_b32 v18, 0 :: v_dual_mov_b32 v19, 0
	s_mov_b32 s13, exec_lo
	s_delay_alu instid0(VALU_DEP_2)
	v_cmpx_ne_u16_e32 0, v0
	s_cbranch_execz .LBB6_7109
; %bb.7102:                             ;   in Loop: Header=BB6_6741 Depth=3
	v_bfrev_b32_e32 v19, 1
	s_mov_b32 s45, exec_lo
	v_cmpx_ne_u16_e32 0x80, v0
	s_cbranch_execz .LBB6_7108
; %bb.7103:                             ;   in Loop: Header=BB6_6741 Depth=3
	v_and_b32_e32 v16, 0x7f, v109
	v_mov_b32_e32 v19, 0x7f800001
	s_mov_b32 s74, exec_lo
	s_delay_alu instid0(VALU_DEP_2)
	v_cmpx_ne_u32_e32 0x7f, v16
	s_cbranch_execz .LBB6_7107
; %bb.7104:                             ;   in Loop: Header=BB6_6741 Depth=3
	v_and_b32_e32 v2, 7, v0
	v_lshrrev_b32_e32 v0, 3, v16
	v_cmp_gt_u32_e32 vcc_lo, 8, v16
	s_delay_alu instid0(VALU_DEP_3)
	v_mov_b64_e32 v[16:17], v[2:3]
	s_and_saveexec_b32 s75, vcc_lo
; %bb.7105:                             ;   in Loop: Header=BB6_6741 Depth=3
	v_clz_i32_u32_e32 v0, v2
	s_delay_alu instid0(VALU_DEP_1) | instskip(NEXT) | instid1(VALU_DEP_1)
	v_min_u32_e32 v0, 32, v0
	v_subrev_nc_u32_e32 v16, 28, v0
	v_sub_nc_u32_e32 v0, 29, v0
	s_delay_alu instid0(VALU_DEP_2) | instskip(NEXT) | instid1(VALU_DEP_1)
	v_lshlrev_b64_e32 v[16:17], v16, v[2:3]
	v_and_b32_e32 v16, 7, v16
; %bb.7106:                             ;   in Loop: Header=BB6_6741 Depth=3
	s_or_b32 exec_lo, exec_lo, s75
	s_delay_alu instid0(VALU_DEP_1) | instskip(SKIP_1) | instid1(VALU_DEP_2)
	v_dual_lshlrev_b32 v2, 24, v109 :: v_dual_lshlrev_b32 v16, 20, v16
	v_lshl_add_u32 v0, v0, 23, 0x3c000000
	v_and_b32_e32 v2, 0x80000000, v2
	s_delay_alu instid0(VALU_DEP_1)
	v_or3_b32 v19, v16, v2, v0
.LBB6_7107:                             ;   in Loop: Header=BB6_6741 Depth=3
	s_or_b32 exec_lo, exec_lo, s74
.LBB6_7108:                             ;   in Loop: Header=BB6_6741 Depth=3
	s_delay_alu instid0(SALU_CYCLE_1)
	s_or_b32 exec_lo, exec_lo, s45
.LBB6_7109:                             ;   in Loop: Header=BB6_6741 Depth=3
	s_delay_alu instid0(SALU_CYCLE_1) | instskip(SKIP_3) | instid1(VALU_DEP_1)
	s_or_b32 exec_lo, exec_lo, s13
	s_wait_loadcnt_dscnt 0x1515
	v_and_b32_e32 v0, 0xff, v62
	s_mov_b32 s13, exec_lo
	v_cmpx_ne_u16_e32 0, v0
	s_cbranch_execz .LBB6_7117
; %bb.7110:                             ;   in Loop: Header=BB6_6741 Depth=3
	v_bfrev_b32_e32 v18, 1
	s_mov_b32 s45, exec_lo
	v_cmpx_ne_u16_e32 0x80, v0
	s_cbranch_execz .LBB6_7116
; %bb.7111:                             ;   in Loop: Header=BB6_6741 Depth=3
	v_and_b32_e32 v16, 0x7f, v62
	v_mov_b32_e32 v18, 0x7f800001
	s_mov_b32 s74, exec_lo
	s_delay_alu instid0(VALU_DEP_2)
	v_cmpx_ne_u32_e32 0x7f, v16
	s_cbranch_execz .LBB6_7115
; %bb.7112:                             ;   in Loop: Header=BB6_6741 Depth=3
	v_and_b32_e32 v2, 7, v0
	v_lshrrev_b32_e32 v0, 3, v16
	v_cmp_gt_u32_e32 vcc_lo, 8, v16
	s_delay_alu instid0(VALU_DEP_3)
	v_mov_b64_e32 v[16:17], v[2:3]
	s_and_saveexec_b32 s75, vcc_lo
; %bb.7113:                             ;   in Loop: Header=BB6_6741 Depth=3
	v_clz_i32_u32_e32 v0, v2
	s_delay_alu instid0(VALU_DEP_1) | instskip(NEXT) | instid1(VALU_DEP_1)
	v_min_u32_e32 v0, 32, v0
	v_subrev_nc_u32_e32 v16, 28, v0
	v_sub_nc_u32_e32 v0, 29, v0
	s_delay_alu instid0(VALU_DEP_2) | instskip(NEXT) | instid1(VALU_DEP_1)
	v_lshlrev_b64_e32 v[16:17], v16, v[2:3]
	v_and_b32_e32 v16, 7, v16
; %bb.7114:                             ;   in Loop: Header=BB6_6741 Depth=3
	s_or_b32 exec_lo, exec_lo, s75
	s_delay_alu instid0(VALU_DEP_1) | instskip(SKIP_1) | instid1(VALU_DEP_2)
	v_dual_lshlrev_b32 v2, 24, v62 :: v_dual_lshlrev_b32 v16, 20, v16
	v_lshl_add_u32 v0, v0, 23, 0x3c000000
	v_and_b32_e32 v2, 0x80000000, v2
	s_delay_alu instid0(VALU_DEP_1)
	v_or3_b32 v18, v16, v2, v0
.LBB6_7115:                             ;   in Loop: Header=BB6_6741 Depth=3
	s_or_b32 exec_lo, exec_lo, s74
.LBB6_7116:                             ;   in Loop: Header=BB6_6741 Depth=3
	s_delay_alu instid0(SALU_CYCLE_1)
	s_or_b32 exec_lo, exec_lo, s45
.LBB6_7117:                             ;   in Loop: Header=BB6_6741 Depth=3
	s_delay_alu instid0(SALU_CYCLE_1) | instskip(NEXT) | instid1(VALU_DEP_1)
	s_or_b32 exec_lo, exec_lo, s13
	v_add_f32_e32 v0, v19, v18
                                        ; implicit-def: $vgpr62
	s_mov_b32 s13, exec_lo
	s_delay_alu instid0(VALU_DEP_1) | instskip(SKIP_1) | instid1(VALU_DEP_2)
	v_and_b32_e32 v2, 0x7f800000, v0
	v_lshrrev_b32_e32 v16, 24, v0
	v_cmpx_ne_u64_e32 0x7f800000, v[2:3]
	s_xor_b32 s45, exec_lo, s13
	s_cbranch_execz .LBB6_7135
; %bb.7118:                             ;   in Loop: Header=BB6_6741 Depth=3
	v_and_b32_e32 v2, 0x7fffffff, v0
	v_and_b32_e32 v66, 0x80, v16
                                        ; implicit-def: $vgpr62
	s_mov_b32 s13, exec_lo
	s_delay_alu instid0(VALU_DEP_2)
	v_cmpx_gt_u64_e32 0x43e00001, v[2:3]
	s_xor_b32 s74, exec_lo, s13
	s_cbranch_execz .LBB6_7132
; %bb.7119:                             ;   in Loop: Header=BB6_6741 Depth=3
	v_mov_b32_e32 v62, 0
	s_mov_b32 s75, exec_lo
	v_cmpx_ne_u32_e32 0, v0
	s_cbranch_execz .LBB6_7131
; %bb.7120:                             ;   in Loop: Header=BB6_6741 Depth=3
	v_bfe_u32 v67, v0, 23, 8
	v_and_b32_e32 v2, 0x7fffff, v0
	s_delay_alu instid0(VALU_DEP_2) | instskip(SKIP_2) | instid1(VALU_DEP_4)
	v_cmp_gt_u32_e64 s13, 0x7a, v67
	v_sub_nc_u32_e32 v0, 0x79, v67
	v_cmp_eq_u32_e32 vcc_lo, 0, v67
	v_or_b32_e32 v16, 0x800000, v2
	s_delay_alu instid0(VALU_DEP_1) | instskip(NEXT) | instid1(VALU_DEP_1)
	v_dual_cndmask_b32 v0, 0, v0, s13 :: v_dual_cndmask_b32 v2, v16, v2, vcc_lo
	v_cndmask_b32_e64 v0, v0, 0x78, vcc_lo
	s_delay_alu instid0(VALU_DEP_1) | instskip(NEXT) | instid1(VALU_DEP_1)
	v_dual_add_nc_u32 v16, 20, v0 :: v_dual_add_nc_u32 v18, 19, v0
	v_lshlrev_b64_e64 v[16:17], v16, -1
	s_delay_alu instid0(VALU_DEP_2) | instskip(NEXT) | instid1(VALU_DEP_2)
	v_lshlrev_b64_e64 v[18:19], v18, 1
	v_bfi_b32 v17, v17, 0, 0
	s_delay_alu instid0(VALU_DEP_3) | instskip(NEXT) | instid1(VALU_DEP_1)
	v_bfi_b32 v16, v16, 0, v2
	v_cmp_eq_u64_e64 s13, v[16:17], v[18:19]
	v_lshrrev_b64 v[16:17], v0, v[2:3]
	s_delay_alu instid0(VALU_DEP_1)
	v_mov_b64_e32 v[18:19], v[16:17]
	s_and_saveexec_b32 s76, s13
; %bb.7121:                             ;   in Loop: Header=BB6_6741 Depth=3
	v_bfe_u32 v2, v16, 20, 1
	s_delay_alu instid0(VALU_DEP_1) | instskip(NEXT) | instid1(VALU_DEP_1)
	v_add_nc_u64_e32 v[18:19], v[16:17], v[2:3]
	v_add_nc_u64_e32 v[18:19], -1, v[18:19]
; %bb.7122:                             ;   in Loop: Header=BB6_6741 Depth=3
	s_or_b32 exec_lo, exec_lo, s76
	v_add_nc_u32_e32 v2, 0xffffff81, v67
	v_lshrrev_b32_e32 v17, 23, v16
	s_mov_b32 s13, exec_lo
	s_delay_alu instid0(VALU_DEP_2) | instskip(NEXT) | instid1(VALU_DEP_1)
	v_cndmask_b32_e64 v2, v2, 0xffffff82, vcc_lo
	v_add3_u32 v19, v0, v2, v17
	v_and_b32_e32 v0, 0xfffff, v18
	s_delay_alu instid0(VALU_DEP_1) | instskip(NEXT) | instid1(VALU_DEP_1)
	v_dual_add_nc_u32 v18, 6, v19 :: v_dual_add_nc_u32 v2, v0, v16
                                        ; implicit-def: $vgpr16_vgpr17
                                        ; implicit-def: $vgpr0
	v_cmpx_ne_u32_e32 0, v18
	s_xor_b32 s13, exec_lo, s13
; %bb.7123:                             ;   in Loop: Header=BB6_6741 Depth=3
	s_delay_alu instid0(VALU_DEP_2) | instskip(SKIP_2) | instid1(VALU_DEP_2)
	v_cmp_lt_u64_e32 vcc_lo, 0xffffff, v[2:3]
	v_add_nc_u32_e32 v0, 7, v19
	v_cndmask_b32_e64 v16, 0, 1, vcc_lo
	v_cndmask_b32_e32 v0, v18, v0, vcc_lo
	s_delay_alu instid0(VALU_DEP_2)
	v_lshrrev_b64 v[16:17], v16, v[2:3]
; %bb.7124:                             ;   in Loop: Header=BB6_6741 Depth=3
	s_and_not1_saveexec_b32 s13, s13
; %bb.7125:                             ;   in Loop: Header=BB6_6741 Depth=3
	v_mov_b64_e32 v[16:17], v[2:3]
	v_bfe_u32 v0, v2, 23, 1
; %bb.7126:                             ;   in Loop: Header=BB6_6741 Depth=3
	s_or_b32 exec_lo, exec_lo, s13
	s_delay_alu instid0(VALU_DEP_2) | instskip(NEXT) | instid1(VALU_DEP_2)
	v_lshrrev_b64 v[16:17], 20, v[16:17]
	v_cmp_gt_i32_e32 vcc_lo, 16, v0
	v_cmp_ne_u32_e64 s13, 0, v0
                                        ; implicit-def: $vgpr62
	s_delay_alu instid0(VALU_DEP_3) | instskip(NEXT) | instid1(VALU_DEP_1)
	v_dual_cndmask_b32 v17, 0, v17 :: v_dual_cndmask_b32 v16, 7, v16
	v_cmp_ne_u64_e32 vcc_lo, 0, v[16:17]
	s_or_b32 s13, s13, vcc_lo
	s_delay_alu instid0(SALU_CYCLE_1) | instskip(NEXT) | instid1(SALU_CYCLE_1)
	s_and_saveexec_b32 s76, s13
	s_xor_b32 s13, exec_lo, s76
; %bb.7127:                             ;   in Loop: Header=BB6_6741 Depth=3
	v_min_i32_e32 v0, 15, v0
	s_delay_alu instid0(VALU_DEP_1) | instskip(NEXT) | instid1(VALU_DEP_1)
	v_lshl_or_b32 v0, v0, 3, v66
                                        ; implicit-def: $vgpr66
	v_and_or_b32 v62, v16, 7, v0
; %bb.7128:                             ;   in Loop: Header=BB6_6741 Depth=3
	s_and_not1_saveexec_b32 s13, s13
; %bb.7129:                             ;   in Loop: Header=BB6_6741 Depth=3
	v_mov_b32_e32 v62, v66
; %bb.7130:                             ;   in Loop: Header=BB6_6741 Depth=3
	s_or_b32 exec_lo, exec_lo, s13
.LBB6_7131:                             ;   in Loop: Header=BB6_6741 Depth=3
	s_delay_alu instid0(SALU_CYCLE_1)
	s_or_b32 exec_lo, exec_lo, s75
                                        ; implicit-def: $vgpr66
.LBB6_7132:                             ;   in Loop: Header=BB6_6741 Depth=3
	s_and_not1_saveexec_b32 s13, s74
; %bb.7133:                             ;   in Loop: Header=BB6_6741 Depth=3
	v_or_b32_e32 v62, 0x7e, v66
; %bb.7134:                             ;   in Loop: Header=BB6_6741 Depth=3
	s_or_b32 exec_lo, exec_lo, s13
                                        ; implicit-def: $vgpr16
.LBB6_7135:                             ;   in Loop: Header=BB6_6741 Depth=3
	s_and_not1_saveexec_b32 s13, s45
; %bb.7136:                             ;   in Loop: Header=BB6_6741 Depth=3
	v_or_b32_e32 v62, 0x7f, v16
; %bb.7137:                             ;   in Loop: Header=BB6_6741 Depth=3
	s_or_b32 exec_lo, exec_lo, s13
	v_and_b32_e32 v0, 0xff, v79
	v_dual_mov_b32 v18, 0 :: v_dual_mov_b32 v19, 0
	s_mov_b32 s13, exec_lo
	s_delay_alu instid0(VALU_DEP_2)
	v_cmpx_ne_u16_e32 0, v0
	s_cbranch_execz .LBB6_7145
; %bb.7138:                             ;   in Loop: Header=BB6_6741 Depth=3
	v_bfrev_b32_e32 v19, 1
	s_mov_b32 s45, exec_lo
	v_cmpx_ne_u16_e32 0x80, v0
	s_cbranch_execz .LBB6_7144
; %bb.7139:                             ;   in Loop: Header=BB6_6741 Depth=3
	v_and_b32_e32 v16, 0x7f, v79
	v_mov_b32_e32 v19, 0x7f800001
	s_mov_b32 s74, exec_lo
	s_delay_alu instid0(VALU_DEP_2)
	v_cmpx_ne_u32_e32 0x7f, v16
	s_cbranch_execz .LBB6_7143
; %bb.7140:                             ;   in Loop: Header=BB6_6741 Depth=3
	v_and_b32_e32 v2, 7, v0
	v_lshrrev_b32_e32 v0, 3, v16
	v_cmp_gt_u32_e32 vcc_lo, 8, v16
	s_delay_alu instid0(VALU_DEP_3)
	v_mov_b64_e32 v[16:17], v[2:3]
	s_and_saveexec_b32 s75, vcc_lo
; %bb.7141:                             ;   in Loop: Header=BB6_6741 Depth=3
	v_clz_i32_u32_e32 v0, v2
	s_delay_alu instid0(VALU_DEP_1) | instskip(NEXT) | instid1(VALU_DEP_1)
	v_min_u32_e32 v0, 32, v0
	v_subrev_nc_u32_e32 v16, 28, v0
	v_sub_nc_u32_e32 v0, 29, v0
	s_delay_alu instid0(VALU_DEP_2) | instskip(NEXT) | instid1(VALU_DEP_1)
	v_lshlrev_b64_e32 v[16:17], v16, v[2:3]
	v_and_b32_e32 v16, 7, v16
; %bb.7142:                             ;   in Loop: Header=BB6_6741 Depth=3
	s_or_b32 exec_lo, exec_lo, s75
	s_delay_alu instid0(VALU_DEP_1) | instskip(SKIP_1) | instid1(VALU_DEP_2)
	v_dual_lshlrev_b32 v2, 24, v79 :: v_dual_lshlrev_b32 v16, 20, v16
	v_lshl_add_u32 v0, v0, 23, 0x3c000000
	v_and_b32_e32 v2, 0x80000000, v2
	s_delay_alu instid0(VALU_DEP_1)
	v_or3_b32 v19, v16, v2, v0
.LBB6_7143:                             ;   in Loop: Header=BB6_6741 Depth=3
	s_or_b32 exec_lo, exec_lo, s74
.LBB6_7144:                             ;   in Loop: Header=BB6_6741 Depth=3
	s_delay_alu instid0(SALU_CYCLE_1)
	s_or_b32 exec_lo, exec_lo, s45
.LBB6_7145:                             ;   in Loop: Header=BB6_6741 Depth=3
	s_delay_alu instid0(SALU_CYCLE_1) | instskip(SKIP_3) | instid1(VALU_DEP_1)
	s_or_b32 exec_lo, exec_lo, s13
	s_wait_loadcnt_dscnt 0x1414
	v_and_b32_e32 v0, 0xff, v73
	s_mov_b32 s13, exec_lo
	v_cmpx_ne_u16_e32 0, v0
	s_cbranch_execz .LBB6_7153
; %bb.7146:                             ;   in Loop: Header=BB6_6741 Depth=3
	v_bfrev_b32_e32 v18, 1
	s_mov_b32 s45, exec_lo
	v_cmpx_ne_u16_e32 0x80, v0
	s_cbranch_execz .LBB6_7152
; %bb.7147:                             ;   in Loop: Header=BB6_6741 Depth=3
	v_and_b32_e32 v16, 0x7f, v73
	v_mov_b32_e32 v18, 0x7f800001
	s_mov_b32 s74, exec_lo
	s_delay_alu instid0(VALU_DEP_2)
	v_cmpx_ne_u32_e32 0x7f, v16
	s_cbranch_execz .LBB6_7151
; %bb.7148:                             ;   in Loop: Header=BB6_6741 Depth=3
	v_and_b32_e32 v2, 7, v0
	v_lshrrev_b32_e32 v0, 3, v16
	v_cmp_gt_u32_e32 vcc_lo, 8, v16
	s_delay_alu instid0(VALU_DEP_3)
	v_mov_b64_e32 v[16:17], v[2:3]
	s_and_saveexec_b32 s75, vcc_lo
; %bb.7149:                             ;   in Loop: Header=BB6_6741 Depth=3
	v_clz_i32_u32_e32 v0, v2
	s_delay_alu instid0(VALU_DEP_1) | instskip(NEXT) | instid1(VALU_DEP_1)
	v_min_u32_e32 v0, 32, v0
	v_subrev_nc_u32_e32 v16, 28, v0
	v_sub_nc_u32_e32 v0, 29, v0
	s_delay_alu instid0(VALU_DEP_2) | instskip(NEXT) | instid1(VALU_DEP_1)
	v_lshlrev_b64_e32 v[16:17], v16, v[2:3]
	v_and_b32_e32 v16, 7, v16
; %bb.7150:                             ;   in Loop: Header=BB6_6741 Depth=3
	s_or_b32 exec_lo, exec_lo, s75
	s_delay_alu instid0(VALU_DEP_1) | instskip(SKIP_1) | instid1(VALU_DEP_2)
	v_dual_lshlrev_b32 v2, 24, v73 :: v_dual_lshlrev_b32 v16, 20, v16
	v_lshl_add_u32 v0, v0, 23, 0x3c000000
	v_and_b32_e32 v2, 0x80000000, v2
	s_delay_alu instid0(VALU_DEP_1)
	v_or3_b32 v18, v16, v2, v0
.LBB6_7151:                             ;   in Loop: Header=BB6_6741 Depth=3
	s_or_b32 exec_lo, exec_lo, s74
.LBB6_7152:                             ;   in Loop: Header=BB6_6741 Depth=3
	s_delay_alu instid0(SALU_CYCLE_1)
	s_or_b32 exec_lo, exec_lo, s45
.LBB6_7153:                             ;   in Loop: Header=BB6_6741 Depth=3
	s_delay_alu instid0(SALU_CYCLE_1) | instskip(NEXT) | instid1(VALU_DEP_1)
	s_or_b32 exec_lo, exec_lo, s13
	v_add_f32_e32 v0, v19, v18
                                        ; implicit-def: $vgpr73
	s_mov_b32 s13, exec_lo
	s_delay_alu instid0(VALU_DEP_1) | instskip(SKIP_1) | instid1(VALU_DEP_2)
	v_and_b32_e32 v2, 0x7f800000, v0
	v_lshrrev_b32_e32 v16, 24, v0
	v_cmpx_ne_u64_e32 0x7f800000, v[2:3]
	s_xor_b32 s45, exec_lo, s13
	s_cbranch_execz .LBB6_7171
; %bb.7154:                             ;   in Loop: Header=BB6_6741 Depth=3
	v_and_b32_e32 v2, 0x7fffffff, v0
	v_and_b32_e32 v66, 0x80, v16
                                        ; implicit-def: $vgpr73
	s_mov_b32 s13, exec_lo
	s_delay_alu instid0(VALU_DEP_2)
	v_cmpx_gt_u64_e32 0x43e00001, v[2:3]
	s_xor_b32 s74, exec_lo, s13
	s_cbranch_execz .LBB6_7168
; %bb.7155:                             ;   in Loop: Header=BB6_6741 Depth=3
	v_mov_b32_e32 v73, 0
	s_mov_b32 s75, exec_lo
	v_cmpx_ne_u32_e32 0, v0
	s_cbranch_execz .LBB6_7167
; %bb.7156:                             ;   in Loop: Header=BB6_6741 Depth=3
	v_bfe_u32 v67, v0, 23, 8
	v_and_b32_e32 v2, 0x7fffff, v0
	s_delay_alu instid0(VALU_DEP_2) | instskip(SKIP_2) | instid1(VALU_DEP_4)
	v_cmp_gt_u32_e64 s13, 0x7a, v67
	v_sub_nc_u32_e32 v0, 0x79, v67
	v_cmp_eq_u32_e32 vcc_lo, 0, v67
	v_or_b32_e32 v16, 0x800000, v2
	s_delay_alu instid0(VALU_DEP_1) | instskip(NEXT) | instid1(VALU_DEP_1)
	v_dual_cndmask_b32 v0, 0, v0, s13 :: v_dual_cndmask_b32 v2, v16, v2, vcc_lo
	v_cndmask_b32_e64 v0, v0, 0x78, vcc_lo
	s_delay_alu instid0(VALU_DEP_1) | instskip(NEXT) | instid1(VALU_DEP_1)
	v_dual_add_nc_u32 v16, 20, v0 :: v_dual_add_nc_u32 v18, 19, v0
	v_lshlrev_b64_e64 v[16:17], v16, -1
	s_delay_alu instid0(VALU_DEP_2) | instskip(NEXT) | instid1(VALU_DEP_2)
	v_lshlrev_b64_e64 v[18:19], v18, 1
	v_bfi_b32 v17, v17, 0, 0
	s_delay_alu instid0(VALU_DEP_3) | instskip(NEXT) | instid1(VALU_DEP_1)
	v_bfi_b32 v16, v16, 0, v2
	v_cmp_eq_u64_e64 s13, v[16:17], v[18:19]
	v_lshrrev_b64 v[16:17], v0, v[2:3]
	s_delay_alu instid0(VALU_DEP_1)
	v_mov_b64_e32 v[18:19], v[16:17]
	s_and_saveexec_b32 s76, s13
; %bb.7157:                             ;   in Loop: Header=BB6_6741 Depth=3
	v_bfe_u32 v2, v16, 20, 1
	s_delay_alu instid0(VALU_DEP_1) | instskip(NEXT) | instid1(VALU_DEP_1)
	v_add_nc_u64_e32 v[18:19], v[16:17], v[2:3]
	v_add_nc_u64_e32 v[18:19], -1, v[18:19]
; %bb.7158:                             ;   in Loop: Header=BB6_6741 Depth=3
	s_or_b32 exec_lo, exec_lo, s76
	v_add_nc_u32_e32 v2, 0xffffff81, v67
	v_lshrrev_b32_e32 v17, 23, v16
	s_mov_b32 s13, exec_lo
	s_delay_alu instid0(VALU_DEP_2) | instskip(NEXT) | instid1(VALU_DEP_1)
	v_cndmask_b32_e64 v2, v2, 0xffffff82, vcc_lo
	v_add3_u32 v19, v0, v2, v17
	v_and_b32_e32 v0, 0xfffff, v18
	s_delay_alu instid0(VALU_DEP_1) | instskip(NEXT) | instid1(VALU_DEP_1)
	v_dual_add_nc_u32 v18, 6, v19 :: v_dual_add_nc_u32 v2, v0, v16
                                        ; implicit-def: $vgpr16_vgpr17
                                        ; implicit-def: $vgpr0
	v_cmpx_ne_u32_e32 0, v18
	s_xor_b32 s13, exec_lo, s13
; %bb.7159:                             ;   in Loop: Header=BB6_6741 Depth=3
	s_delay_alu instid0(VALU_DEP_2) | instskip(SKIP_2) | instid1(VALU_DEP_2)
	v_cmp_lt_u64_e32 vcc_lo, 0xffffff, v[2:3]
	v_add_nc_u32_e32 v0, 7, v19
	v_cndmask_b32_e64 v16, 0, 1, vcc_lo
	v_cndmask_b32_e32 v0, v18, v0, vcc_lo
	s_delay_alu instid0(VALU_DEP_2)
	v_lshrrev_b64 v[16:17], v16, v[2:3]
; %bb.7160:                             ;   in Loop: Header=BB6_6741 Depth=3
	s_and_not1_saveexec_b32 s13, s13
; %bb.7161:                             ;   in Loop: Header=BB6_6741 Depth=3
	v_mov_b64_e32 v[16:17], v[2:3]
	v_bfe_u32 v0, v2, 23, 1
; %bb.7162:                             ;   in Loop: Header=BB6_6741 Depth=3
	s_or_b32 exec_lo, exec_lo, s13
	s_delay_alu instid0(VALU_DEP_2) | instskip(NEXT) | instid1(VALU_DEP_2)
	v_lshrrev_b64 v[16:17], 20, v[16:17]
	v_cmp_gt_i32_e32 vcc_lo, 16, v0
	v_cmp_ne_u32_e64 s13, 0, v0
                                        ; implicit-def: $vgpr73
	s_delay_alu instid0(VALU_DEP_3) | instskip(NEXT) | instid1(VALU_DEP_1)
	v_dual_cndmask_b32 v17, 0, v17 :: v_dual_cndmask_b32 v16, 7, v16
	v_cmp_ne_u64_e32 vcc_lo, 0, v[16:17]
	s_or_b32 s13, s13, vcc_lo
	s_delay_alu instid0(SALU_CYCLE_1) | instskip(NEXT) | instid1(SALU_CYCLE_1)
	s_and_saveexec_b32 s76, s13
	s_xor_b32 s13, exec_lo, s76
; %bb.7163:                             ;   in Loop: Header=BB6_6741 Depth=3
	v_min_i32_e32 v0, 15, v0
	s_delay_alu instid0(VALU_DEP_1) | instskip(NEXT) | instid1(VALU_DEP_1)
	v_lshl_or_b32 v0, v0, 3, v66
                                        ; implicit-def: $vgpr66
	v_and_or_b32 v73, v16, 7, v0
; %bb.7164:                             ;   in Loop: Header=BB6_6741 Depth=3
	s_and_not1_saveexec_b32 s13, s13
; %bb.7165:                             ;   in Loop: Header=BB6_6741 Depth=3
	v_mov_b32_e32 v73, v66
; %bb.7166:                             ;   in Loop: Header=BB6_6741 Depth=3
	s_or_b32 exec_lo, exec_lo, s13
.LBB6_7167:                             ;   in Loop: Header=BB6_6741 Depth=3
	s_delay_alu instid0(SALU_CYCLE_1)
	s_or_b32 exec_lo, exec_lo, s75
                                        ; implicit-def: $vgpr66
.LBB6_7168:                             ;   in Loop: Header=BB6_6741 Depth=3
	s_and_not1_saveexec_b32 s13, s74
; %bb.7169:                             ;   in Loop: Header=BB6_6741 Depth=3
	v_or_b32_e32 v73, 0x7e, v66
; %bb.7170:                             ;   in Loop: Header=BB6_6741 Depth=3
	s_or_b32 exec_lo, exec_lo, s13
                                        ; implicit-def: $vgpr16
.LBB6_7171:                             ;   in Loop: Header=BB6_6741 Depth=3
	s_and_not1_saveexec_b32 s13, s45
; %bb.7172:                             ;   in Loop: Header=BB6_6741 Depth=3
	v_or_b32_e32 v73, 0x7f, v16
; %bb.7173:                             ;   in Loop: Header=BB6_6741 Depth=3
	s_or_b32 exec_lo, exec_lo, s13
	v_and_b32_e32 v0, 0xff, v47
	v_dual_mov_b32 v18, 0 :: v_dual_mov_b32 v19, 0
	s_mov_b32 s13, exec_lo
	s_delay_alu instid0(VALU_DEP_2)
	v_cmpx_ne_u16_e32 0, v0
	s_cbranch_execz .LBB6_7181
; %bb.7174:                             ;   in Loop: Header=BB6_6741 Depth=3
	v_bfrev_b32_e32 v19, 1
	s_mov_b32 s45, exec_lo
	v_cmpx_ne_u16_e32 0x80, v0
	s_cbranch_execz .LBB6_7180
; %bb.7175:                             ;   in Loop: Header=BB6_6741 Depth=3
	v_and_b32_e32 v16, 0x7f, v47
	v_mov_b32_e32 v19, 0x7f800001
	s_mov_b32 s74, exec_lo
	s_delay_alu instid0(VALU_DEP_2)
	v_cmpx_ne_u32_e32 0x7f, v16
	s_cbranch_execz .LBB6_7179
; %bb.7176:                             ;   in Loop: Header=BB6_6741 Depth=3
	v_and_b32_e32 v2, 7, v0
	v_lshrrev_b32_e32 v0, 3, v16
	v_cmp_gt_u32_e32 vcc_lo, 8, v16
	s_delay_alu instid0(VALU_DEP_3)
	v_mov_b64_e32 v[16:17], v[2:3]
	s_and_saveexec_b32 s75, vcc_lo
; %bb.7177:                             ;   in Loop: Header=BB6_6741 Depth=3
	v_clz_i32_u32_e32 v0, v2
	s_delay_alu instid0(VALU_DEP_1) | instskip(NEXT) | instid1(VALU_DEP_1)
	v_min_u32_e32 v0, 32, v0
	v_subrev_nc_u32_e32 v16, 28, v0
	v_sub_nc_u32_e32 v0, 29, v0
	s_delay_alu instid0(VALU_DEP_2) | instskip(NEXT) | instid1(VALU_DEP_1)
	v_lshlrev_b64_e32 v[16:17], v16, v[2:3]
	v_and_b32_e32 v16, 7, v16
; %bb.7178:                             ;   in Loop: Header=BB6_6741 Depth=3
	s_or_b32 exec_lo, exec_lo, s75
	s_delay_alu instid0(VALU_DEP_1) | instskip(SKIP_1) | instid1(VALU_DEP_2)
	v_dual_lshlrev_b32 v2, 24, v47 :: v_dual_lshlrev_b32 v16, 20, v16
	v_lshl_add_u32 v0, v0, 23, 0x3c000000
	v_and_b32_e32 v2, 0x80000000, v2
	s_delay_alu instid0(VALU_DEP_1)
	v_or3_b32 v19, v16, v2, v0
.LBB6_7179:                             ;   in Loop: Header=BB6_6741 Depth=3
	s_or_b32 exec_lo, exec_lo, s74
.LBB6_7180:                             ;   in Loop: Header=BB6_6741 Depth=3
	s_delay_alu instid0(SALU_CYCLE_1)
	s_or_b32 exec_lo, exec_lo, s45
.LBB6_7181:                             ;   in Loop: Header=BB6_6741 Depth=3
	s_delay_alu instid0(SALU_CYCLE_1) | instskip(SKIP_3) | instid1(VALU_DEP_1)
	s_or_b32 exec_lo, exec_lo, s13
	s_wait_loadcnt_dscnt 0x1313
	v_and_b32_e32 v0, 0xff, v46
	s_mov_b32 s13, exec_lo
	v_cmpx_ne_u16_e32 0, v0
	s_cbranch_execz .LBB6_7189
; %bb.7182:                             ;   in Loop: Header=BB6_6741 Depth=3
	v_bfrev_b32_e32 v18, 1
	s_mov_b32 s45, exec_lo
	v_cmpx_ne_u16_e32 0x80, v0
	s_cbranch_execz .LBB6_7188
; %bb.7183:                             ;   in Loop: Header=BB6_6741 Depth=3
	v_and_b32_e32 v16, 0x7f, v46
	v_mov_b32_e32 v18, 0x7f800001
	s_mov_b32 s74, exec_lo
	s_delay_alu instid0(VALU_DEP_2)
	v_cmpx_ne_u32_e32 0x7f, v16
	s_cbranch_execz .LBB6_7187
; %bb.7184:                             ;   in Loop: Header=BB6_6741 Depth=3
	v_and_b32_e32 v2, 7, v0
	v_lshrrev_b32_e32 v0, 3, v16
	v_cmp_gt_u32_e32 vcc_lo, 8, v16
	s_delay_alu instid0(VALU_DEP_3)
	v_mov_b64_e32 v[16:17], v[2:3]
	s_and_saveexec_b32 s75, vcc_lo
; %bb.7185:                             ;   in Loop: Header=BB6_6741 Depth=3
	v_clz_i32_u32_e32 v0, v2
	s_delay_alu instid0(VALU_DEP_1) | instskip(NEXT) | instid1(VALU_DEP_1)
	v_min_u32_e32 v0, 32, v0
	v_subrev_nc_u32_e32 v16, 28, v0
	v_sub_nc_u32_e32 v0, 29, v0
	s_delay_alu instid0(VALU_DEP_2) | instskip(NEXT) | instid1(VALU_DEP_1)
	v_lshlrev_b64_e32 v[16:17], v16, v[2:3]
	v_and_b32_e32 v16, 7, v16
; %bb.7186:                             ;   in Loop: Header=BB6_6741 Depth=3
	s_or_b32 exec_lo, exec_lo, s75
	s_delay_alu instid0(VALU_DEP_1) | instskip(SKIP_1) | instid1(VALU_DEP_2)
	v_dual_lshlrev_b32 v2, 24, v46 :: v_dual_lshlrev_b32 v16, 20, v16
	v_lshl_add_u32 v0, v0, 23, 0x3c000000
	v_and_b32_e32 v2, 0x80000000, v2
	s_delay_alu instid0(VALU_DEP_1)
	v_or3_b32 v18, v16, v2, v0
.LBB6_7187:                             ;   in Loop: Header=BB6_6741 Depth=3
	s_or_b32 exec_lo, exec_lo, s74
.LBB6_7188:                             ;   in Loop: Header=BB6_6741 Depth=3
	s_delay_alu instid0(SALU_CYCLE_1)
	s_or_b32 exec_lo, exec_lo, s45
.LBB6_7189:                             ;   in Loop: Header=BB6_6741 Depth=3
	s_delay_alu instid0(SALU_CYCLE_1) | instskip(NEXT) | instid1(VALU_DEP_1)
	s_or_b32 exec_lo, exec_lo, s13
	v_add_f32_e32 v0, v19, v18
                                        ; implicit-def: $vgpr79
	s_mov_b32 s13, exec_lo
	s_delay_alu instid0(VALU_DEP_1) | instskip(SKIP_1) | instid1(VALU_DEP_2)
	v_and_b32_e32 v2, 0x7f800000, v0
	v_lshrrev_b32_e32 v16, 24, v0
	v_cmpx_ne_u64_e32 0x7f800000, v[2:3]
	s_xor_b32 s45, exec_lo, s13
	s_cbranch_execz .LBB6_7207
; %bb.7190:                             ;   in Loop: Header=BB6_6741 Depth=3
	v_and_b32_e32 v2, 0x7fffffff, v0
	v_and_b32_e32 v66, 0x80, v16
                                        ; implicit-def: $vgpr79
	s_mov_b32 s13, exec_lo
	s_delay_alu instid0(VALU_DEP_2)
	v_cmpx_gt_u64_e32 0x43e00001, v[2:3]
	s_xor_b32 s74, exec_lo, s13
	s_cbranch_execz .LBB6_7204
; %bb.7191:                             ;   in Loop: Header=BB6_6741 Depth=3
	v_mov_b32_e32 v79, 0
	s_mov_b32 s75, exec_lo
	v_cmpx_ne_u32_e32 0, v0
	s_cbranch_execz .LBB6_7203
; %bb.7192:                             ;   in Loop: Header=BB6_6741 Depth=3
	v_bfe_u32 v67, v0, 23, 8
	v_and_b32_e32 v2, 0x7fffff, v0
	s_delay_alu instid0(VALU_DEP_2) | instskip(SKIP_2) | instid1(VALU_DEP_4)
	v_cmp_gt_u32_e64 s13, 0x7a, v67
	v_sub_nc_u32_e32 v0, 0x79, v67
	v_cmp_eq_u32_e32 vcc_lo, 0, v67
	v_or_b32_e32 v16, 0x800000, v2
	s_delay_alu instid0(VALU_DEP_1) | instskip(NEXT) | instid1(VALU_DEP_1)
	v_dual_cndmask_b32 v0, 0, v0, s13 :: v_dual_cndmask_b32 v2, v16, v2, vcc_lo
	v_cndmask_b32_e64 v0, v0, 0x78, vcc_lo
	s_delay_alu instid0(VALU_DEP_1) | instskip(NEXT) | instid1(VALU_DEP_1)
	v_dual_add_nc_u32 v16, 20, v0 :: v_dual_add_nc_u32 v18, 19, v0
	v_lshlrev_b64_e64 v[16:17], v16, -1
	s_delay_alu instid0(VALU_DEP_2) | instskip(NEXT) | instid1(VALU_DEP_2)
	v_lshlrev_b64_e64 v[18:19], v18, 1
	v_bfi_b32 v17, v17, 0, 0
	s_delay_alu instid0(VALU_DEP_3) | instskip(NEXT) | instid1(VALU_DEP_1)
	v_bfi_b32 v16, v16, 0, v2
	v_cmp_eq_u64_e64 s13, v[16:17], v[18:19]
	v_lshrrev_b64 v[16:17], v0, v[2:3]
	s_delay_alu instid0(VALU_DEP_1)
	v_mov_b64_e32 v[18:19], v[16:17]
	s_and_saveexec_b32 s76, s13
; %bb.7193:                             ;   in Loop: Header=BB6_6741 Depth=3
	v_bfe_u32 v2, v16, 20, 1
	s_delay_alu instid0(VALU_DEP_1) | instskip(NEXT) | instid1(VALU_DEP_1)
	v_add_nc_u64_e32 v[18:19], v[16:17], v[2:3]
	v_add_nc_u64_e32 v[18:19], -1, v[18:19]
; %bb.7194:                             ;   in Loop: Header=BB6_6741 Depth=3
	s_or_b32 exec_lo, exec_lo, s76
	v_add_nc_u32_e32 v2, 0xffffff81, v67
	v_lshrrev_b32_e32 v17, 23, v16
	s_mov_b32 s13, exec_lo
	s_delay_alu instid0(VALU_DEP_2) | instskip(NEXT) | instid1(VALU_DEP_1)
	v_cndmask_b32_e64 v2, v2, 0xffffff82, vcc_lo
	v_add3_u32 v19, v0, v2, v17
	v_and_b32_e32 v0, 0xfffff, v18
	s_delay_alu instid0(VALU_DEP_1) | instskip(NEXT) | instid1(VALU_DEP_1)
	v_dual_add_nc_u32 v18, 6, v19 :: v_dual_add_nc_u32 v2, v0, v16
                                        ; implicit-def: $vgpr16_vgpr17
                                        ; implicit-def: $vgpr0
	v_cmpx_ne_u32_e32 0, v18
	s_xor_b32 s13, exec_lo, s13
; %bb.7195:                             ;   in Loop: Header=BB6_6741 Depth=3
	s_delay_alu instid0(VALU_DEP_2) | instskip(SKIP_2) | instid1(VALU_DEP_2)
	v_cmp_lt_u64_e32 vcc_lo, 0xffffff, v[2:3]
	v_add_nc_u32_e32 v0, 7, v19
	v_cndmask_b32_e64 v16, 0, 1, vcc_lo
	v_cndmask_b32_e32 v0, v18, v0, vcc_lo
	s_delay_alu instid0(VALU_DEP_2)
	v_lshrrev_b64 v[16:17], v16, v[2:3]
; %bb.7196:                             ;   in Loop: Header=BB6_6741 Depth=3
	s_and_not1_saveexec_b32 s13, s13
; %bb.7197:                             ;   in Loop: Header=BB6_6741 Depth=3
	v_mov_b64_e32 v[16:17], v[2:3]
	v_bfe_u32 v0, v2, 23, 1
; %bb.7198:                             ;   in Loop: Header=BB6_6741 Depth=3
	s_or_b32 exec_lo, exec_lo, s13
	s_delay_alu instid0(VALU_DEP_2) | instskip(NEXT) | instid1(VALU_DEP_2)
	v_lshrrev_b64 v[16:17], 20, v[16:17]
	v_cmp_gt_i32_e32 vcc_lo, 16, v0
	v_cmp_ne_u32_e64 s13, 0, v0
                                        ; implicit-def: $vgpr79
	s_delay_alu instid0(VALU_DEP_3) | instskip(NEXT) | instid1(VALU_DEP_1)
	v_dual_cndmask_b32 v17, 0, v17 :: v_dual_cndmask_b32 v16, 7, v16
	v_cmp_ne_u64_e32 vcc_lo, 0, v[16:17]
	s_or_b32 s13, s13, vcc_lo
	s_delay_alu instid0(SALU_CYCLE_1) | instskip(NEXT) | instid1(SALU_CYCLE_1)
	s_and_saveexec_b32 s76, s13
	s_xor_b32 s13, exec_lo, s76
; %bb.7199:                             ;   in Loop: Header=BB6_6741 Depth=3
	v_min_i32_e32 v0, 15, v0
	s_delay_alu instid0(VALU_DEP_1) | instskip(NEXT) | instid1(VALU_DEP_1)
	v_lshl_or_b32 v0, v0, 3, v66
                                        ; implicit-def: $vgpr66
	v_and_or_b32 v79, v16, 7, v0
; %bb.7200:                             ;   in Loop: Header=BB6_6741 Depth=3
	s_and_not1_saveexec_b32 s13, s13
; %bb.7201:                             ;   in Loop: Header=BB6_6741 Depth=3
	v_mov_b32_e32 v79, v66
; %bb.7202:                             ;   in Loop: Header=BB6_6741 Depth=3
	s_or_b32 exec_lo, exec_lo, s13
.LBB6_7203:                             ;   in Loop: Header=BB6_6741 Depth=3
	s_delay_alu instid0(SALU_CYCLE_1)
	s_or_b32 exec_lo, exec_lo, s75
                                        ; implicit-def: $vgpr66
.LBB6_7204:                             ;   in Loop: Header=BB6_6741 Depth=3
	s_and_not1_saveexec_b32 s13, s74
; %bb.7205:                             ;   in Loop: Header=BB6_6741 Depth=3
	v_or_b32_e32 v79, 0x7e, v66
; %bb.7206:                             ;   in Loop: Header=BB6_6741 Depth=3
	s_or_b32 exec_lo, exec_lo, s13
                                        ; implicit-def: $vgpr16
.LBB6_7207:                             ;   in Loop: Header=BB6_6741 Depth=3
	s_and_not1_saveexec_b32 s13, s45
; %bb.7208:                             ;   in Loop: Header=BB6_6741 Depth=3
	v_or_b32_e32 v79, 0x7f, v16
; %bb.7209:                             ;   in Loop: Header=BB6_6741 Depth=3
	s_or_b32 exec_lo, exec_lo, s13
	v_and_b32_e32 v0, 0xff, v108
	v_dual_mov_b32 v18, 0 :: v_dual_mov_b32 v19, 0
	s_mov_b32 s13, exec_lo
	s_delay_alu instid0(VALU_DEP_2)
	v_cmpx_ne_u16_e32 0, v0
	s_cbranch_execz .LBB6_7217
; %bb.7210:                             ;   in Loop: Header=BB6_6741 Depth=3
	v_bfrev_b32_e32 v19, 1
	s_mov_b32 s45, exec_lo
	v_cmpx_ne_u16_e32 0x80, v0
	s_cbranch_execz .LBB6_7216
; %bb.7211:                             ;   in Loop: Header=BB6_6741 Depth=3
	v_and_b32_e32 v16, 0x7f, v108
	v_mov_b32_e32 v19, 0x7f800001
	s_mov_b32 s74, exec_lo
	s_delay_alu instid0(VALU_DEP_2)
	v_cmpx_ne_u32_e32 0x7f, v16
	s_cbranch_execz .LBB6_7215
; %bb.7212:                             ;   in Loop: Header=BB6_6741 Depth=3
	v_and_b32_e32 v2, 7, v0
	v_lshrrev_b32_e32 v0, 3, v16
	v_cmp_gt_u32_e32 vcc_lo, 8, v16
	s_delay_alu instid0(VALU_DEP_3)
	v_mov_b64_e32 v[16:17], v[2:3]
	s_and_saveexec_b32 s75, vcc_lo
; %bb.7213:                             ;   in Loop: Header=BB6_6741 Depth=3
	v_clz_i32_u32_e32 v0, v2
	s_delay_alu instid0(VALU_DEP_1) | instskip(NEXT) | instid1(VALU_DEP_1)
	v_min_u32_e32 v0, 32, v0
	v_subrev_nc_u32_e32 v16, 28, v0
	v_sub_nc_u32_e32 v0, 29, v0
	s_delay_alu instid0(VALU_DEP_2) | instskip(NEXT) | instid1(VALU_DEP_1)
	v_lshlrev_b64_e32 v[16:17], v16, v[2:3]
	v_and_b32_e32 v16, 7, v16
; %bb.7214:                             ;   in Loop: Header=BB6_6741 Depth=3
	s_or_b32 exec_lo, exec_lo, s75
	v_lshlrev_b32_e32 v2, 24, v108
	s_delay_alu instid0(VALU_DEP_2) | instskip(SKIP_1) | instid1(VALU_DEP_3)
	v_lshlrev_b32_e32 v16, 20, v16
	v_lshl_add_u32 v0, v0, 23, 0x3c000000
	v_and_b32_e32 v2, 0x80000000, v2
	s_delay_alu instid0(VALU_DEP_1)
	v_or3_b32 v19, v16, v2, v0
.LBB6_7215:                             ;   in Loop: Header=BB6_6741 Depth=3
	s_or_b32 exec_lo, exec_lo, s74
.LBB6_7216:                             ;   in Loop: Header=BB6_6741 Depth=3
	s_delay_alu instid0(SALU_CYCLE_1)
	s_or_b32 exec_lo, exec_lo, s45
.LBB6_7217:                             ;   in Loop: Header=BB6_6741 Depth=3
	s_delay_alu instid0(SALU_CYCLE_1) | instskip(SKIP_3) | instid1(VALU_DEP_1)
	s_or_b32 exec_lo, exec_lo, s13
	s_wait_loadcnt_dscnt 0x1212
	v_and_b32_e32 v0, 0xff, v57
	s_mov_b32 s13, exec_lo
	v_cmpx_ne_u16_e32 0, v0
	s_cbranch_execz .LBB6_7225
; %bb.7218:                             ;   in Loop: Header=BB6_6741 Depth=3
	v_bfrev_b32_e32 v18, 1
	s_mov_b32 s45, exec_lo
	v_cmpx_ne_u16_e32 0x80, v0
	s_cbranch_execz .LBB6_7224
; %bb.7219:                             ;   in Loop: Header=BB6_6741 Depth=3
	v_and_b32_e32 v16, 0x7f, v57
	v_mov_b32_e32 v18, 0x7f800001
	s_mov_b32 s74, exec_lo
	s_delay_alu instid0(VALU_DEP_2)
	v_cmpx_ne_u32_e32 0x7f, v16
	s_cbranch_execz .LBB6_7223
; %bb.7220:                             ;   in Loop: Header=BB6_6741 Depth=3
	v_and_b32_e32 v2, 7, v0
	v_lshrrev_b32_e32 v0, 3, v16
	v_cmp_gt_u32_e32 vcc_lo, 8, v16
	s_delay_alu instid0(VALU_DEP_3)
	v_mov_b64_e32 v[16:17], v[2:3]
	s_and_saveexec_b32 s75, vcc_lo
; %bb.7221:                             ;   in Loop: Header=BB6_6741 Depth=3
	v_clz_i32_u32_e32 v0, v2
	s_delay_alu instid0(VALU_DEP_1) | instskip(NEXT) | instid1(VALU_DEP_1)
	v_min_u32_e32 v0, 32, v0
	v_subrev_nc_u32_e32 v16, 28, v0
	v_sub_nc_u32_e32 v0, 29, v0
	s_delay_alu instid0(VALU_DEP_2) | instskip(NEXT) | instid1(VALU_DEP_1)
	v_lshlrev_b64_e32 v[16:17], v16, v[2:3]
	v_and_b32_e32 v16, 7, v16
; %bb.7222:                             ;   in Loop: Header=BB6_6741 Depth=3
	s_or_b32 exec_lo, exec_lo, s75
	s_delay_alu instid0(VALU_DEP_1) | instskip(SKIP_1) | instid1(VALU_DEP_2)
	v_dual_lshlrev_b32 v2, 24, v57 :: v_dual_lshlrev_b32 v16, 20, v16
	v_lshl_add_u32 v0, v0, 23, 0x3c000000
	v_and_b32_e32 v2, 0x80000000, v2
	s_delay_alu instid0(VALU_DEP_1)
	v_or3_b32 v18, v16, v2, v0
.LBB6_7223:                             ;   in Loop: Header=BB6_6741 Depth=3
	s_or_b32 exec_lo, exec_lo, s74
.LBB6_7224:                             ;   in Loop: Header=BB6_6741 Depth=3
	s_delay_alu instid0(SALU_CYCLE_1)
	s_or_b32 exec_lo, exec_lo, s45
.LBB6_7225:                             ;   in Loop: Header=BB6_6741 Depth=3
	s_delay_alu instid0(SALU_CYCLE_1) | instskip(NEXT) | instid1(VALU_DEP_1)
	s_or_b32 exec_lo, exec_lo, s13
	v_add_f32_e32 v0, v19, v18
                                        ; implicit-def: $vgpr57
	s_mov_b32 s13, exec_lo
	s_delay_alu instid0(VALU_DEP_1) | instskip(SKIP_1) | instid1(VALU_DEP_2)
	v_and_b32_e32 v2, 0x7f800000, v0
	v_lshrrev_b32_e32 v16, 24, v0
	v_cmpx_ne_u64_e32 0x7f800000, v[2:3]
	s_xor_b32 s45, exec_lo, s13
	s_cbranch_execz .LBB6_7243
; %bb.7226:                             ;   in Loop: Header=BB6_6741 Depth=3
	v_and_b32_e32 v2, 0x7fffffff, v0
	v_and_b32_e32 v66, 0x80, v16
                                        ; implicit-def: $vgpr57
	s_mov_b32 s13, exec_lo
	s_delay_alu instid0(VALU_DEP_2)
	v_cmpx_gt_u64_e32 0x43e00001, v[2:3]
	s_xor_b32 s74, exec_lo, s13
	s_cbranch_execz .LBB6_7240
; %bb.7227:                             ;   in Loop: Header=BB6_6741 Depth=3
	v_mov_b32_e32 v57, 0
	s_mov_b32 s75, exec_lo
	v_cmpx_ne_u32_e32 0, v0
	s_cbranch_execz .LBB6_7239
; %bb.7228:                             ;   in Loop: Header=BB6_6741 Depth=3
	v_bfe_u32 v67, v0, 23, 8
	v_and_b32_e32 v2, 0x7fffff, v0
	s_delay_alu instid0(VALU_DEP_2) | instskip(SKIP_2) | instid1(VALU_DEP_4)
	v_cmp_gt_u32_e64 s13, 0x7a, v67
	v_sub_nc_u32_e32 v0, 0x79, v67
	v_cmp_eq_u32_e32 vcc_lo, 0, v67
	v_or_b32_e32 v16, 0x800000, v2
	s_delay_alu instid0(VALU_DEP_1) | instskip(NEXT) | instid1(VALU_DEP_1)
	v_dual_cndmask_b32 v0, 0, v0, s13 :: v_dual_cndmask_b32 v2, v16, v2, vcc_lo
	v_cndmask_b32_e64 v0, v0, 0x78, vcc_lo
	s_delay_alu instid0(VALU_DEP_1) | instskip(NEXT) | instid1(VALU_DEP_1)
	v_dual_add_nc_u32 v16, 20, v0 :: v_dual_add_nc_u32 v18, 19, v0
	v_lshlrev_b64_e64 v[16:17], v16, -1
	s_delay_alu instid0(VALU_DEP_2) | instskip(NEXT) | instid1(VALU_DEP_2)
	v_lshlrev_b64_e64 v[18:19], v18, 1
	v_bfi_b32 v17, v17, 0, 0
	s_delay_alu instid0(VALU_DEP_3) | instskip(NEXT) | instid1(VALU_DEP_1)
	v_bfi_b32 v16, v16, 0, v2
	v_cmp_eq_u64_e64 s13, v[16:17], v[18:19]
	v_lshrrev_b64 v[16:17], v0, v[2:3]
	s_delay_alu instid0(VALU_DEP_1)
	v_mov_b64_e32 v[18:19], v[16:17]
	s_and_saveexec_b32 s76, s13
; %bb.7229:                             ;   in Loop: Header=BB6_6741 Depth=3
	v_bfe_u32 v2, v16, 20, 1
	s_delay_alu instid0(VALU_DEP_1) | instskip(NEXT) | instid1(VALU_DEP_1)
	v_add_nc_u64_e32 v[18:19], v[16:17], v[2:3]
	v_add_nc_u64_e32 v[18:19], -1, v[18:19]
; %bb.7230:                             ;   in Loop: Header=BB6_6741 Depth=3
	s_or_b32 exec_lo, exec_lo, s76
	v_add_nc_u32_e32 v2, 0xffffff81, v67
	v_lshrrev_b32_e32 v17, 23, v16
	s_mov_b32 s13, exec_lo
	s_delay_alu instid0(VALU_DEP_2) | instskip(NEXT) | instid1(VALU_DEP_1)
	v_cndmask_b32_e64 v2, v2, 0xffffff82, vcc_lo
	v_add3_u32 v19, v0, v2, v17
	v_and_b32_e32 v0, 0xfffff, v18
	s_delay_alu instid0(VALU_DEP_1) | instskip(NEXT) | instid1(VALU_DEP_1)
	v_dual_add_nc_u32 v18, 6, v19 :: v_dual_add_nc_u32 v2, v0, v16
                                        ; implicit-def: $vgpr16_vgpr17
                                        ; implicit-def: $vgpr0
	v_cmpx_ne_u32_e32 0, v18
	s_xor_b32 s13, exec_lo, s13
; %bb.7231:                             ;   in Loop: Header=BB6_6741 Depth=3
	s_delay_alu instid0(VALU_DEP_2) | instskip(SKIP_2) | instid1(VALU_DEP_2)
	v_cmp_lt_u64_e32 vcc_lo, 0xffffff, v[2:3]
	v_add_nc_u32_e32 v0, 7, v19
	v_cndmask_b32_e64 v16, 0, 1, vcc_lo
	v_cndmask_b32_e32 v0, v18, v0, vcc_lo
	s_delay_alu instid0(VALU_DEP_2)
	v_lshrrev_b64 v[16:17], v16, v[2:3]
; %bb.7232:                             ;   in Loop: Header=BB6_6741 Depth=3
	s_and_not1_saveexec_b32 s13, s13
; %bb.7233:                             ;   in Loop: Header=BB6_6741 Depth=3
	v_mov_b64_e32 v[16:17], v[2:3]
	v_bfe_u32 v0, v2, 23, 1
; %bb.7234:                             ;   in Loop: Header=BB6_6741 Depth=3
	s_or_b32 exec_lo, exec_lo, s13
	s_delay_alu instid0(VALU_DEP_2) | instskip(NEXT) | instid1(VALU_DEP_2)
	v_lshrrev_b64 v[16:17], 20, v[16:17]
	v_cmp_gt_i32_e32 vcc_lo, 16, v0
	v_cmp_ne_u32_e64 s13, 0, v0
                                        ; implicit-def: $vgpr57
	s_delay_alu instid0(VALU_DEP_3) | instskip(NEXT) | instid1(VALU_DEP_1)
	v_dual_cndmask_b32 v17, 0, v17 :: v_dual_cndmask_b32 v16, 7, v16
	v_cmp_ne_u64_e32 vcc_lo, 0, v[16:17]
	s_or_b32 s13, s13, vcc_lo
	s_delay_alu instid0(SALU_CYCLE_1) | instskip(NEXT) | instid1(SALU_CYCLE_1)
	s_and_saveexec_b32 s76, s13
	s_xor_b32 s13, exec_lo, s76
; %bb.7235:                             ;   in Loop: Header=BB6_6741 Depth=3
	v_min_i32_e32 v0, 15, v0
	s_delay_alu instid0(VALU_DEP_1) | instskip(NEXT) | instid1(VALU_DEP_1)
	v_lshl_or_b32 v0, v0, 3, v66
                                        ; implicit-def: $vgpr66
	v_and_or_b32 v57, v16, 7, v0
; %bb.7236:                             ;   in Loop: Header=BB6_6741 Depth=3
	s_and_not1_saveexec_b32 s13, s13
; %bb.7237:                             ;   in Loop: Header=BB6_6741 Depth=3
	v_mov_b32_e32 v57, v66
; %bb.7238:                             ;   in Loop: Header=BB6_6741 Depth=3
	s_or_b32 exec_lo, exec_lo, s13
.LBB6_7239:                             ;   in Loop: Header=BB6_6741 Depth=3
	s_delay_alu instid0(SALU_CYCLE_1)
	s_or_b32 exec_lo, exec_lo, s75
                                        ; implicit-def: $vgpr66
.LBB6_7240:                             ;   in Loop: Header=BB6_6741 Depth=3
	s_and_not1_saveexec_b32 s13, s74
; %bb.7241:                             ;   in Loop: Header=BB6_6741 Depth=3
	v_or_b32_e32 v57, 0x7e, v66
; %bb.7242:                             ;   in Loop: Header=BB6_6741 Depth=3
	s_or_b32 exec_lo, exec_lo, s13
                                        ; implicit-def: $vgpr16
.LBB6_7243:                             ;   in Loop: Header=BB6_6741 Depth=3
	s_and_not1_saveexec_b32 s13, s45
; %bb.7244:                             ;   in Loop: Header=BB6_6741 Depth=3
	v_or_b32_e32 v57, 0x7f, v16
; %bb.7245:                             ;   in Loop: Header=BB6_6741 Depth=3
	s_or_b32 exec_lo, exec_lo, s13
	v_and_b32_e32 v0, 0xff, v107
	v_dual_mov_b32 v18, 0 :: v_dual_mov_b32 v19, 0
	s_mov_b32 s13, exec_lo
	s_delay_alu instid0(VALU_DEP_2)
	v_cmpx_ne_u16_e32 0, v0
	s_cbranch_execz .LBB6_7253
; %bb.7246:                             ;   in Loop: Header=BB6_6741 Depth=3
	v_bfrev_b32_e32 v19, 1
	s_mov_b32 s45, exec_lo
	v_cmpx_ne_u16_e32 0x80, v0
	s_cbranch_execz .LBB6_7252
; %bb.7247:                             ;   in Loop: Header=BB6_6741 Depth=3
	v_and_b32_e32 v16, 0x7f, v107
	v_mov_b32_e32 v19, 0x7f800001
	s_mov_b32 s74, exec_lo
	s_delay_alu instid0(VALU_DEP_2)
	v_cmpx_ne_u32_e32 0x7f, v16
	s_cbranch_execz .LBB6_7251
; %bb.7248:                             ;   in Loop: Header=BB6_6741 Depth=3
	v_and_b32_e32 v2, 7, v0
	v_lshrrev_b32_e32 v0, 3, v16
	v_cmp_gt_u32_e32 vcc_lo, 8, v16
	s_delay_alu instid0(VALU_DEP_3)
	v_mov_b64_e32 v[16:17], v[2:3]
	s_and_saveexec_b32 s75, vcc_lo
; %bb.7249:                             ;   in Loop: Header=BB6_6741 Depth=3
	v_clz_i32_u32_e32 v0, v2
	s_delay_alu instid0(VALU_DEP_1) | instskip(NEXT) | instid1(VALU_DEP_1)
	v_min_u32_e32 v0, 32, v0
	v_subrev_nc_u32_e32 v16, 28, v0
	v_sub_nc_u32_e32 v0, 29, v0
	s_delay_alu instid0(VALU_DEP_2) | instskip(NEXT) | instid1(VALU_DEP_1)
	v_lshlrev_b64_e32 v[16:17], v16, v[2:3]
	v_and_b32_e32 v16, 7, v16
; %bb.7250:                             ;   in Loop: Header=BB6_6741 Depth=3
	s_or_b32 exec_lo, exec_lo, s75
	s_delay_alu instid0(VALU_DEP_1) | instskip(SKIP_1) | instid1(VALU_DEP_2)
	v_dual_lshlrev_b32 v2, 24, v107 :: v_dual_lshlrev_b32 v16, 20, v16
	v_lshl_add_u32 v0, v0, 23, 0x3c000000
	v_and_b32_e32 v2, 0x80000000, v2
	s_delay_alu instid0(VALU_DEP_1)
	v_or3_b32 v19, v16, v2, v0
.LBB6_7251:                             ;   in Loop: Header=BB6_6741 Depth=3
	s_or_b32 exec_lo, exec_lo, s74
.LBB6_7252:                             ;   in Loop: Header=BB6_6741 Depth=3
	s_delay_alu instid0(SALU_CYCLE_1)
	s_or_b32 exec_lo, exec_lo, s45
.LBB6_7253:                             ;   in Loop: Header=BB6_6741 Depth=3
	s_delay_alu instid0(SALU_CYCLE_1) | instskip(SKIP_3) | instid1(VALU_DEP_1)
	s_or_b32 exec_lo, exec_lo, s13
	s_wait_loadcnt_dscnt 0x1111
	v_and_b32_e32 v0, 0xff, v93
	s_mov_b32 s13, exec_lo
	v_cmpx_ne_u16_e32 0, v0
	s_cbranch_execz .LBB6_7261
; %bb.7254:                             ;   in Loop: Header=BB6_6741 Depth=3
	v_bfrev_b32_e32 v18, 1
	s_mov_b32 s45, exec_lo
	v_cmpx_ne_u16_e32 0x80, v0
	s_cbranch_execz .LBB6_7260
; %bb.7255:                             ;   in Loop: Header=BB6_6741 Depth=3
	v_and_b32_e32 v16, 0x7f, v93
	v_mov_b32_e32 v18, 0x7f800001
	s_mov_b32 s74, exec_lo
	s_delay_alu instid0(VALU_DEP_2)
	v_cmpx_ne_u32_e32 0x7f, v16
	s_cbranch_execz .LBB6_7259
; %bb.7256:                             ;   in Loop: Header=BB6_6741 Depth=3
	v_and_b32_e32 v2, 7, v0
	v_lshrrev_b32_e32 v0, 3, v16
	v_cmp_gt_u32_e32 vcc_lo, 8, v16
	s_delay_alu instid0(VALU_DEP_3)
	v_mov_b64_e32 v[16:17], v[2:3]
	s_and_saveexec_b32 s75, vcc_lo
; %bb.7257:                             ;   in Loop: Header=BB6_6741 Depth=3
	v_clz_i32_u32_e32 v0, v2
	s_delay_alu instid0(VALU_DEP_1) | instskip(NEXT) | instid1(VALU_DEP_1)
	v_min_u32_e32 v0, 32, v0
	v_subrev_nc_u32_e32 v16, 28, v0
	v_sub_nc_u32_e32 v0, 29, v0
	s_delay_alu instid0(VALU_DEP_2) | instskip(NEXT) | instid1(VALU_DEP_1)
	v_lshlrev_b64_e32 v[16:17], v16, v[2:3]
	v_and_b32_e32 v16, 7, v16
; %bb.7258:                             ;   in Loop: Header=BB6_6741 Depth=3
	s_or_b32 exec_lo, exec_lo, s75
	s_delay_alu instid0(VALU_DEP_1) | instskip(SKIP_1) | instid1(VALU_DEP_2)
	v_dual_lshlrev_b32 v2, 24, v93 :: v_dual_lshlrev_b32 v16, 20, v16
	v_lshl_add_u32 v0, v0, 23, 0x3c000000
	v_and_b32_e32 v2, 0x80000000, v2
	s_delay_alu instid0(VALU_DEP_1)
	v_or3_b32 v18, v16, v2, v0
.LBB6_7259:                             ;   in Loop: Header=BB6_6741 Depth=3
	s_or_b32 exec_lo, exec_lo, s74
.LBB6_7260:                             ;   in Loop: Header=BB6_6741 Depth=3
	s_delay_alu instid0(SALU_CYCLE_1)
	s_or_b32 exec_lo, exec_lo, s45
.LBB6_7261:                             ;   in Loop: Header=BB6_6741 Depth=3
	s_delay_alu instid0(SALU_CYCLE_1) | instskip(NEXT) | instid1(VALU_DEP_1)
	s_or_b32 exec_lo, exec_lo, s13
	v_add_f32_e32 v0, v19, v18
                                        ; implicit-def: $vgpr93
	s_mov_b32 s13, exec_lo
	s_delay_alu instid0(VALU_DEP_1) | instskip(SKIP_1) | instid1(VALU_DEP_2)
	v_and_b32_e32 v2, 0x7f800000, v0
	v_lshrrev_b32_e32 v16, 24, v0
	v_cmpx_ne_u64_e32 0x7f800000, v[2:3]
	s_xor_b32 s45, exec_lo, s13
	s_cbranch_execz .LBB6_7279
; %bb.7262:                             ;   in Loop: Header=BB6_6741 Depth=3
	v_and_b32_e32 v2, 0x7fffffff, v0
	v_and_b32_e32 v66, 0x80, v16
                                        ; implicit-def: $vgpr93
	s_mov_b32 s13, exec_lo
	s_delay_alu instid0(VALU_DEP_2)
	v_cmpx_gt_u64_e32 0x43e00001, v[2:3]
	s_xor_b32 s74, exec_lo, s13
	s_cbranch_execz .LBB6_7276
; %bb.7263:                             ;   in Loop: Header=BB6_6741 Depth=3
	v_mov_b32_e32 v93, 0
	s_mov_b32 s75, exec_lo
	v_cmpx_ne_u32_e32 0, v0
	s_cbranch_execz .LBB6_7275
; %bb.7264:                             ;   in Loop: Header=BB6_6741 Depth=3
	v_bfe_u32 v67, v0, 23, 8
	v_and_b32_e32 v2, 0x7fffff, v0
	s_delay_alu instid0(VALU_DEP_2) | instskip(SKIP_2) | instid1(VALU_DEP_4)
	v_cmp_gt_u32_e64 s13, 0x7a, v67
	v_sub_nc_u32_e32 v0, 0x79, v67
	v_cmp_eq_u32_e32 vcc_lo, 0, v67
	v_or_b32_e32 v16, 0x800000, v2
	s_delay_alu instid0(VALU_DEP_1) | instskip(NEXT) | instid1(VALU_DEP_1)
	v_dual_cndmask_b32 v0, 0, v0, s13 :: v_dual_cndmask_b32 v2, v16, v2, vcc_lo
	v_cndmask_b32_e64 v0, v0, 0x78, vcc_lo
	s_delay_alu instid0(VALU_DEP_1) | instskip(NEXT) | instid1(VALU_DEP_1)
	v_dual_add_nc_u32 v16, 20, v0 :: v_dual_add_nc_u32 v18, 19, v0
	v_lshlrev_b64_e64 v[16:17], v16, -1
	s_delay_alu instid0(VALU_DEP_2) | instskip(NEXT) | instid1(VALU_DEP_2)
	v_lshlrev_b64_e64 v[18:19], v18, 1
	v_bfi_b32 v17, v17, 0, 0
	s_delay_alu instid0(VALU_DEP_3) | instskip(NEXT) | instid1(VALU_DEP_1)
	v_bfi_b32 v16, v16, 0, v2
	v_cmp_eq_u64_e64 s13, v[16:17], v[18:19]
	v_lshrrev_b64 v[16:17], v0, v[2:3]
	s_delay_alu instid0(VALU_DEP_1)
	v_mov_b64_e32 v[18:19], v[16:17]
	s_and_saveexec_b32 s76, s13
; %bb.7265:                             ;   in Loop: Header=BB6_6741 Depth=3
	v_bfe_u32 v2, v16, 20, 1
	s_delay_alu instid0(VALU_DEP_1) | instskip(NEXT) | instid1(VALU_DEP_1)
	v_add_nc_u64_e32 v[18:19], v[16:17], v[2:3]
	v_add_nc_u64_e32 v[18:19], -1, v[18:19]
; %bb.7266:                             ;   in Loop: Header=BB6_6741 Depth=3
	s_or_b32 exec_lo, exec_lo, s76
	v_add_nc_u32_e32 v2, 0xffffff81, v67
	v_lshrrev_b32_e32 v17, 23, v16
	s_mov_b32 s13, exec_lo
	s_delay_alu instid0(VALU_DEP_2) | instskip(NEXT) | instid1(VALU_DEP_1)
	v_cndmask_b32_e64 v2, v2, 0xffffff82, vcc_lo
	v_add3_u32 v19, v0, v2, v17
	v_and_b32_e32 v0, 0xfffff, v18
	s_delay_alu instid0(VALU_DEP_1) | instskip(NEXT) | instid1(VALU_DEP_1)
	v_dual_add_nc_u32 v18, 6, v19 :: v_dual_add_nc_u32 v2, v0, v16
                                        ; implicit-def: $vgpr16_vgpr17
                                        ; implicit-def: $vgpr0
	v_cmpx_ne_u32_e32 0, v18
	s_xor_b32 s13, exec_lo, s13
; %bb.7267:                             ;   in Loop: Header=BB6_6741 Depth=3
	s_delay_alu instid0(VALU_DEP_2) | instskip(SKIP_2) | instid1(VALU_DEP_2)
	v_cmp_lt_u64_e32 vcc_lo, 0xffffff, v[2:3]
	v_add_nc_u32_e32 v0, 7, v19
	v_cndmask_b32_e64 v16, 0, 1, vcc_lo
	v_cndmask_b32_e32 v0, v18, v0, vcc_lo
	s_delay_alu instid0(VALU_DEP_2)
	v_lshrrev_b64 v[16:17], v16, v[2:3]
; %bb.7268:                             ;   in Loop: Header=BB6_6741 Depth=3
	s_and_not1_saveexec_b32 s13, s13
; %bb.7269:                             ;   in Loop: Header=BB6_6741 Depth=3
	v_mov_b64_e32 v[16:17], v[2:3]
	v_bfe_u32 v0, v2, 23, 1
; %bb.7270:                             ;   in Loop: Header=BB6_6741 Depth=3
	s_or_b32 exec_lo, exec_lo, s13
	s_delay_alu instid0(VALU_DEP_2) | instskip(NEXT) | instid1(VALU_DEP_2)
	v_lshrrev_b64 v[16:17], 20, v[16:17]
	v_cmp_gt_i32_e32 vcc_lo, 16, v0
	v_cmp_ne_u32_e64 s13, 0, v0
                                        ; implicit-def: $vgpr93
	s_delay_alu instid0(VALU_DEP_3) | instskip(NEXT) | instid1(VALU_DEP_1)
	v_dual_cndmask_b32 v17, 0, v17 :: v_dual_cndmask_b32 v16, 7, v16
	v_cmp_ne_u64_e32 vcc_lo, 0, v[16:17]
	s_or_b32 s13, s13, vcc_lo
	s_delay_alu instid0(SALU_CYCLE_1) | instskip(NEXT) | instid1(SALU_CYCLE_1)
	s_and_saveexec_b32 s76, s13
	s_xor_b32 s13, exec_lo, s76
; %bb.7271:                             ;   in Loop: Header=BB6_6741 Depth=3
	v_min_i32_e32 v0, 15, v0
	s_delay_alu instid0(VALU_DEP_1) | instskip(NEXT) | instid1(VALU_DEP_1)
	v_lshl_or_b32 v0, v0, 3, v66
                                        ; implicit-def: $vgpr66
	v_and_or_b32 v93, v16, 7, v0
; %bb.7272:                             ;   in Loop: Header=BB6_6741 Depth=3
	s_and_not1_saveexec_b32 s13, s13
; %bb.7273:                             ;   in Loop: Header=BB6_6741 Depth=3
	v_mov_b32_e32 v93, v66
; %bb.7274:                             ;   in Loop: Header=BB6_6741 Depth=3
	s_or_b32 exec_lo, exec_lo, s13
.LBB6_7275:                             ;   in Loop: Header=BB6_6741 Depth=3
	s_delay_alu instid0(SALU_CYCLE_1)
	s_or_b32 exec_lo, exec_lo, s75
                                        ; implicit-def: $vgpr66
.LBB6_7276:                             ;   in Loop: Header=BB6_6741 Depth=3
	s_and_not1_saveexec_b32 s13, s74
; %bb.7277:                             ;   in Loop: Header=BB6_6741 Depth=3
	v_or_b32_e32 v93, 0x7e, v66
; %bb.7278:                             ;   in Loop: Header=BB6_6741 Depth=3
	s_or_b32 exec_lo, exec_lo, s13
                                        ; implicit-def: $vgpr16
.LBB6_7279:                             ;   in Loop: Header=BB6_6741 Depth=3
	s_and_not1_saveexec_b32 s13, s45
; %bb.7280:                             ;   in Loop: Header=BB6_6741 Depth=3
	v_or_b32_e32 v93, 0x7f, v16
; %bb.7281:                             ;   in Loop: Header=BB6_6741 Depth=3
	s_or_b32 exec_lo, exec_lo, s13
	v_and_b32_e32 v0, 0xff, v106
	v_dual_mov_b32 v18, 0 :: v_dual_mov_b32 v19, 0
	s_mov_b32 s13, exec_lo
	s_delay_alu instid0(VALU_DEP_2)
	v_cmpx_ne_u16_e32 0, v0
	s_cbranch_execz .LBB6_7289
; %bb.7282:                             ;   in Loop: Header=BB6_6741 Depth=3
	v_bfrev_b32_e32 v19, 1
	s_mov_b32 s45, exec_lo
	v_cmpx_ne_u16_e32 0x80, v0
	s_cbranch_execz .LBB6_7288
; %bb.7283:                             ;   in Loop: Header=BB6_6741 Depth=3
	v_and_b32_e32 v16, 0x7f, v106
	v_mov_b32_e32 v19, 0x7f800001
	s_mov_b32 s74, exec_lo
	s_delay_alu instid0(VALU_DEP_2)
	v_cmpx_ne_u32_e32 0x7f, v16
	s_cbranch_execz .LBB6_7287
; %bb.7284:                             ;   in Loop: Header=BB6_6741 Depth=3
	v_and_b32_e32 v2, 7, v0
	v_lshrrev_b32_e32 v0, 3, v16
	v_cmp_gt_u32_e32 vcc_lo, 8, v16
	s_delay_alu instid0(VALU_DEP_3)
	v_mov_b64_e32 v[16:17], v[2:3]
	s_and_saveexec_b32 s75, vcc_lo
; %bb.7285:                             ;   in Loop: Header=BB6_6741 Depth=3
	v_clz_i32_u32_e32 v0, v2
	s_delay_alu instid0(VALU_DEP_1) | instskip(NEXT) | instid1(VALU_DEP_1)
	v_min_u32_e32 v0, 32, v0
	v_subrev_nc_u32_e32 v16, 28, v0
	v_sub_nc_u32_e32 v0, 29, v0
	s_delay_alu instid0(VALU_DEP_2) | instskip(NEXT) | instid1(VALU_DEP_1)
	v_lshlrev_b64_e32 v[16:17], v16, v[2:3]
	v_and_b32_e32 v16, 7, v16
; %bb.7286:                             ;   in Loop: Header=BB6_6741 Depth=3
	s_or_b32 exec_lo, exec_lo, s75
	s_delay_alu instid0(VALU_DEP_1) | instskip(SKIP_1) | instid1(VALU_DEP_2)
	v_dual_lshlrev_b32 v2, 24, v106 :: v_dual_lshlrev_b32 v16, 20, v16
	v_lshl_add_u32 v0, v0, 23, 0x3c000000
	v_and_b32_e32 v2, 0x80000000, v2
	s_delay_alu instid0(VALU_DEP_1)
	v_or3_b32 v19, v16, v2, v0
.LBB6_7287:                             ;   in Loop: Header=BB6_6741 Depth=3
	s_or_b32 exec_lo, exec_lo, s74
.LBB6_7288:                             ;   in Loop: Header=BB6_6741 Depth=3
	s_delay_alu instid0(SALU_CYCLE_1)
	s_or_b32 exec_lo, exec_lo, s45
.LBB6_7289:                             ;   in Loop: Header=BB6_6741 Depth=3
	s_delay_alu instid0(SALU_CYCLE_1) | instskip(SKIP_3) | instid1(VALU_DEP_1)
	s_or_b32 exec_lo, exec_lo, s13
	s_wait_loadcnt_dscnt 0x1010
	v_and_b32_e32 v0, 0xff, v104
	s_mov_b32 s13, exec_lo
	v_cmpx_ne_u16_e32 0, v0
	s_cbranch_execz .LBB6_7297
; %bb.7290:                             ;   in Loop: Header=BB6_6741 Depth=3
	v_bfrev_b32_e32 v18, 1
	s_mov_b32 s45, exec_lo
	v_cmpx_ne_u16_e32 0x80, v0
	s_cbranch_execz .LBB6_7296
; %bb.7291:                             ;   in Loop: Header=BB6_6741 Depth=3
	v_and_b32_e32 v16, 0x7f, v104
	v_mov_b32_e32 v18, 0x7f800001
	s_mov_b32 s74, exec_lo
	s_delay_alu instid0(VALU_DEP_2)
	v_cmpx_ne_u32_e32 0x7f, v16
	s_cbranch_execz .LBB6_7295
; %bb.7292:                             ;   in Loop: Header=BB6_6741 Depth=3
	v_and_b32_e32 v2, 7, v0
	v_lshrrev_b32_e32 v0, 3, v16
	v_cmp_gt_u32_e32 vcc_lo, 8, v16
	s_delay_alu instid0(VALU_DEP_3)
	v_mov_b64_e32 v[16:17], v[2:3]
	s_and_saveexec_b32 s75, vcc_lo
; %bb.7293:                             ;   in Loop: Header=BB6_6741 Depth=3
	v_clz_i32_u32_e32 v0, v2
	s_delay_alu instid0(VALU_DEP_1) | instskip(NEXT) | instid1(VALU_DEP_1)
	v_min_u32_e32 v0, 32, v0
	v_subrev_nc_u32_e32 v16, 28, v0
	v_sub_nc_u32_e32 v0, 29, v0
	s_delay_alu instid0(VALU_DEP_2) | instskip(NEXT) | instid1(VALU_DEP_1)
	v_lshlrev_b64_e32 v[16:17], v16, v[2:3]
	v_and_b32_e32 v16, 7, v16
; %bb.7294:                             ;   in Loop: Header=BB6_6741 Depth=3
	s_or_b32 exec_lo, exec_lo, s75
	v_lshlrev_b32_e32 v2, 24, v104
	s_delay_alu instid0(VALU_DEP_2) | instskip(SKIP_1) | instid1(VALU_DEP_3)
	v_lshlrev_b32_e32 v16, 20, v16
	v_lshl_add_u32 v0, v0, 23, 0x3c000000
	v_and_b32_e32 v2, 0x80000000, v2
	s_delay_alu instid0(VALU_DEP_1)
	v_or3_b32 v18, v16, v2, v0
.LBB6_7295:                             ;   in Loop: Header=BB6_6741 Depth=3
	s_or_b32 exec_lo, exec_lo, s74
.LBB6_7296:                             ;   in Loop: Header=BB6_6741 Depth=3
	s_delay_alu instid0(SALU_CYCLE_1)
	s_or_b32 exec_lo, exec_lo, s45
.LBB6_7297:                             ;   in Loop: Header=BB6_6741 Depth=3
	s_delay_alu instid0(SALU_CYCLE_1) | instskip(NEXT) | instid1(VALU_DEP_1)
	s_or_b32 exec_lo, exec_lo, s13
	v_add_f32_e32 v0, v19, v18
                                        ; implicit-def: $vgpr104
	s_mov_b32 s13, exec_lo
	s_delay_alu instid0(VALU_DEP_1) | instskip(SKIP_1) | instid1(VALU_DEP_2)
	v_and_b32_e32 v2, 0x7f800000, v0
	v_lshrrev_b32_e32 v16, 24, v0
	v_cmpx_ne_u64_e32 0x7f800000, v[2:3]
	s_xor_b32 s45, exec_lo, s13
	s_cbranch_execz .LBB6_7315
; %bb.7298:                             ;   in Loop: Header=BB6_6741 Depth=3
	v_and_b32_e32 v2, 0x7fffffff, v0
	v_and_b32_e32 v66, 0x80, v16
                                        ; implicit-def: $vgpr104
	s_mov_b32 s13, exec_lo
	s_delay_alu instid0(VALU_DEP_2)
	v_cmpx_gt_u64_e32 0x43e00001, v[2:3]
	s_xor_b32 s74, exec_lo, s13
	s_cbranch_execz .LBB6_7312
; %bb.7299:                             ;   in Loop: Header=BB6_6741 Depth=3
	v_mov_b32_e32 v104, 0
	s_mov_b32 s75, exec_lo
	v_cmpx_ne_u32_e32 0, v0
	s_cbranch_execz .LBB6_7311
; %bb.7300:                             ;   in Loop: Header=BB6_6741 Depth=3
	v_bfe_u32 v67, v0, 23, 8
	v_and_b32_e32 v2, 0x7fffff, v0
	s_delay_alu instid0(VALU_DEP_2) | instskip(SKIP_2) | instid1(VALU_DEP_4)
	v_cmp_gt_u32_e64 s13, 0x7a, v67
	v_sub_nc_u32_e32 v0, 0x79, v67
	v_cmp_eq_u32_e32 vcc_lo, 0, v67
	v_or_b32_e32 v16, 0x800000, v2
	s_delay_alu instid0(VALU_DEP_1) | instskip(NEXT) | instid1(VALU_DEP_1)
	v_dual_cndmask_b32 v0, 0, v0, s13 :: v_dual_cndmask_b32 v2, v16, v2, vcc_lo
	v_cndmask_b32_e64 v0, v0, 0x78, vcc_lo
	s_delay_alu instid0(VALU_DEP_1) | instskip(NEXT) | instid1(VALU_DEP_1)
	v_dual_add_nc_u32 v16, 20, v0 :: v_dual_add_nc_u32 v18, 19, v0
	v_lshlrev_b64_e64 v[16:17], v16, -1
	s_delay_alu instid0(VALU_DEP_2) | instskip(NEXT) | instid1(VALU_DEP_2)
	v_lshlrev_b64_e64 v[18:19], v18, 1
	v_bfi_b32 v17, v17, 0, 0
	s_delay_alu instid0(VALU_DEP_3) | instskip(NEXT) | instid1(VALU_DEP_1)
	v_bfi_b32 v16, v16, 0, v2
	v_cmp_eq_u64_e64 s13, v[16:17], v[18:19]
	v_lshrrev_b64 v[16:17], v0, v[2:3]
	s_delay_alu instid0(VALU_DEP_1)
	v_mov_b64_e32 v[18:19], v[16:17]
	s_and_saveexec_b32 s76, s13
; %bb.7301:                             ;   in Loop: Header=BB6_6741 Depth=3
	v_bfe_u32 v2, v16, 20, 1
	s_delay_alu instid0(VALU_DEP_1) | instskip(NEXT) | instid1(VALU_DEP_1)
	v_add_nc_u64_e32 v[18:19], v[16:17], v[2:3]
	v_add_nc_u64_e32 v[18:19], -1, v[18:19]
; %bb.7302:                             ;   in Loop: Header=BB6_6741 Depth=3
	s_or_b32 exec_lo, exec_lo, s76
	v_add_nc_u32_e32 v2, 0xffffff81, v67
	v_lshrrev_b32_e32 v17, 23, v16
	s_mov_b32 s13, exec_lo
	s_delay_alu instid0(VALU_DEP_2) | instskip(NEXT) | instid1(VALU_DEP_1)
	v_cndmask_b32_e64 v2, v2, 0xffffff82, vcc_lo
	v_add3_u32 v19, v0, v2, v17
	v_and_b32_e32 v0, 0xfffff, v18
	s_delay_alu instid0(VALU_DEP_1) | instskip(NEXT) | instid1(VALU_DEP_1)
	v_dual_add_nc_u32 v18, 6, v19 :: v_dual_add_nc_u32 v2, v0, v16
                                        ; implicit-def: $vgpr16_vgpr17
                                        ; implicit-def: $vgpr0
	v_cmpx_ne_u32_e32 0, v18
	s_xor_b32 s13, exec_lo, s13
; %bb.7303:                             ;   in Loop: Header=BB6_6741 Depth=3
	s_delay_alu instid0(VALU_DEP_2) | instskip(SKIP_2) | instid1(VALU_DEP_2)
	v_cmp_lt_u64_e32 vcc_lo, 0xffffff, v[2:3]
	v_add_nc_u32_e32 v0, 7, v19
	v_cndmask_b32_e64 v16, 0, 1, vcc_lo
	v_cndmask_b32_e32 v0, v18, v0, vcc_lo
	s_delay_alu instid0(VALU_DEP_2)
	v_lshrrev_b64 v[16:17], v16, v[2:3]
; %bb.7304:                             ;   in Loop: Header=BB6_6741 Depth=3
	s_and_not1_saveexec_b32 s13, s13
; %bb.7305:                             ;   in Loop: Header=BB6_6741 Depth=3
	v_mov_b64_e32 v[16:17], v[2:3]
	v_bfe_u32 v0, v2, 23, 1
; %bb.7306:                             ;   in Loop: Header=BB6_6741 Depth=3
	s_or_b32 exec_lo, exec_lo, s13
	s_delay_alu instid0(VALU_DEP_2) | instskip(NEXT) | instid1(VALU_DEP_2)
	v_lshrrev_b64 v[16:17], 20, v[16:17]
	v_cmp_gt_i32_e32 vcc_lo, 16, v0
	v_cmp_ne_u32_e64 s13, 0, v0
                                        ; implicit-def: $vgpr104
	s_delay_alu instid0(VALU_DEP_3) | instskip(NEXT) | instid1(VALU_DEP_1)
	v_dual_cndmask_b32 v17, 0, v17 :: v_dual_cndmask_b32 v16, 7, v16
	v_cmp_ne_u64_e32 vcc_lo, 0, v[16:17]
	s_or_b32 s13, s13, vcc_lo
	s_delay_alu instid0(SALU_CYCLE_1) | instskip(NEXT) | instid1(SALU_CYCLE_1)
	s_and_saveexec_b32 s76, s13
	s_xor_b32 s13, exec_lo, s76
; %bb.7307:                             ;   in Loop: Header=BB6_6741 Depth=3
	v_min_i32_e32 v0, 15, v0
	s_delay_alu instid0(VALU_DEP_1) | instskip(NEXT) | instid1(VALU_DEP_1)
	v_lshl_or_b32 v0, v0, 3, v66
                                        ; implicit-def: $vgpr66
	v_and_or_b32 v104, v16, 7, v0
; %bb.7308:                             ;   in Loop: Header=BB6_6741 Depth=3
	s_and_not1_saveexec_b32 s13, s13
; %bb.7309:                             ;   in Loop: Header=BB6_6741 Depth=3
	v_mov_b32_e32 v104, v66
; %bb.7310:                             ;   in Loop: Header=BB6_6741 Depth=3
	s_or_b32 exec_lo, exec_lo, s13
.LBB6_7311:                             ;   in Loop: Header=BB6_6741 Depth=3
	s_delay_alu instid0(SALU_CYCLE_1)
	s_or_b32 exec_lo, exec_lo, s75
                                        ; implicit-def: $vgpr66
.LBB6_7312:                             ;   in Loop: Header=BB6_6741 Depth=3
	s_and_not1_saveexec_b32 s13, s74
; %bb.7313:                             ;   in Loop: Header=BB6_6741 Depth=3
	v_or_b32_e32 v104, 0x7e, v66
; %bb.7314:                             ;   in Loop: Header=BB6_6741 Depth=3
	s_or_b32 exec_lo, exec_lo, s13
                                        ; implicit-def: $vgpr16
.LBB6_7315:                             ;   in Loop: Header=BB6_6741 Depth=3
	s_and_not1_saveexec_b32 s13, s45
; %bb.7316:                             ;   in Loop: Header=BB6_6741 Depth=3
	v_or_b32_e32 v104, 0x7f, v16
; %bb.7317:                             ;   in Loop: Header=BB6_6741 Depth=3
	s_or_b32 exec_lo, exec_lo, s13
	v_and_b32_e32 v0, 0xff, v105
	v_dual_mov_b32 v18, 0 :: v_dual_mov_b32 v19, 0
	s_mov_b32 s13, exec_lo
	s_delay_alu instid0(VALU_DEP_2)
	v_cmpx_ne_u16_e32 0, v0
	s_cbranch_execz .LBB6_7325
; %bb.7318:                             ;   in Loop: Header=BB6_6741 Depth=3
	v_bfrev_b32_e32 v19, 1
	s_mov_b32 s45, exec_lo
	v_cmpx_ne_u16_e32 0x80, v0
	s_cbranch_execz .LBB6_7324
; %bb.7319:                             ;   in Loop: Header=BB6_6741 Depth=3
	v_and_b32_e32 v16, 0x7f, v105
	v_mov_b32_e32 v19, 0x7f800001
	s_mov_b32 s74, exec_lo
	s_delay_alu instid0(VALU_DEP_2)
	v_cmpx_ne_u32_e32 0x7f, v16
	s_cbranch_execz .LBB6_7323
; %bb.7320:                             ;   in Loop: Header=BB6_6741 Depth=3
	v_and_b32_e32 v2, 7, v0
	v_lshrrev_b32_e32 v0, 3, v16
	v_cmp_gt_u32_e32 vcc_lo, 8, v16
	s_delay_alu instid0(VALU_DEP_3)
	v_mov_b64_e32 v[16:17], v[2:3]
	s_and_saveexec_b32 s75, vcc_lo
; %bb.7321:                             ;   in Loop: Header=BB6_6741 Depth=3
	v_clz_i32_u32_e32 v0, v2
	s_delay_alu instid0(VALU_DEP_1) | instskip(NEXT) | instid1(VALU_DEP_1)
	v_min_u32_e32 v0, 32, v0
	v_subrev_nc_u32_e32 v16, 28, v0
	v_sub_nc_u32_e32 v0, 29, v0
	s_delay_alu instid0(VALU_DEP_2) | instskip(NEXT) | instid1(VALU_DEP_1)
	v_lshlrev_b64_e32 v[16:17], v16, v[2:3]
	v_and_b32_e32 v16, 7, v16
; %bb.7322:                             ;   in Loop: Header=BB6_6741 Depth=3
	s_or_b32 exec_lo, exec_lo, s75
	s_delay_alu instid0(VALU_DEP_1) | instskip(SKIP_1) | instid1(VALU_DEP_2)
	v_dual_lshlrev_b32 v2, 24, v105 :: v_dual_lshlrev_b32 v16, 20, v16
	v_lshl_add_u32 v0, v0, 23, 0x3c000000
	v_and_b32_e32 v2, 0x80000000, v2
	s_delay_alu instid0(VALU_DEP_1)
	v_or3_b32 v19, v16, v2, v0
.LBB6_7323:                             ;   in Loop: Header=BB6_6741 Depth=3
	s_or_b32 exec_lo, exec_lo, s74
.LBB6_7324:                             ;   in Loop: Header=BB6_6741 Depth=3
	s_delay_alu instid0(SALU_CYCLE_1)
	s_or_b32 exec_lo, exec_lo, s45
.LBB6_7325:                             ;   in Loop: Header=BB6_6741 Depth=3
	s_delay_alu instid0(SALU_CYCLE_1) | instskip(SKIP_3) | instid1(VALU_DEP_1)
	s_or_b32 exec_lo, exec_lo, s13
	s_wait_loadcnt_dscnt 0xf0f
	v_and_b32_e32 v0, 0xff, v95
	s_mov_b32 s13, exec_lo
	v_cmpx_ne_u16_e32 0, v0
	s_cbranch_execz .LBB6_7333
; %bb.7326:                             ;   in Loop: Header=BB6_6741 Depth=3
	v_bfrev_b32_e32 v18, 1
	s_mov_b32 s45, exec_lo
	v_cmpx_ne_u16_e32 0x80, v0
	s_cbranch_execz .LBB6_7332
; %bb.7327:                             ;   in Loop: Header=BB6_6741 Depth=3
	v_and_b32_e32 v16, 0x7f, v95
	v_mov_b32_e32 v18, 0x7f800001
	s_mov_b32 s74, exec_lo
	s_delay_alu instid0(VALU_DEP_2)
	v_cmpx_ne_u32_e32 0x7f, v16
	s_cbranch_execz .LBB6_7331
; %bb.7328:                             ;   in Loop: Header=BB6_6741 Depth=3
	v_and_b32_e32 v2, 7, v0
	v_lshrrev_b32_e32 v0, 3, v16
	v_cmp_gt_u32_e32 vcc_lo, 8, v16
	s_delay_alu instid0(VALU_DEP_3)
	v_mov_b64_e32 v[16:17], v[2:3]
	s_and_saveexec_b32 s75, vcc_lo
; %bb.7329:                             ;   in Loop: Header=BB6_6741 Depth=3
	v_clz_i32_u32_e32 v0, v2
	s_delay_alu instid0(VALU_DEP_1) | instskip(NEXT) | instid1(VALU_DEP_1)
	v_min_u32_e32 v0, 32, v0
	v_subrev_nc_u32_e32 v16, 28, v0
	v_sub_nc_u32_e32 v0, 29, v0
	s_delay_alu instid0(VALU_DEP_2) | instskip(NEXT) | instid1(VALU_DEP_1)
	v_lshlrev_b64_e32 v[16:17], v16, v[2:3]
	v_and_b32_e32 v16, 7, v16
; %bb.7330:                             ;   in Loop: Header=BB6_6741 Depth=3
	s_or_b32 exec_lo, exec_lo, s75
	s_delay_alu instid0(VALU_DEP_1) | instskip(SKIP_1) | instid1(VALU_DEP_2)
	v_dual_lshlrev_b32 v2, 24, v95 :: v_dual_lshlrev_b32 v16, 20, v16
	v_lshl_add_u32 v0, v0, 23, 0x3c000000
	v_and_b32_e32 v2, 0x80000000, v2
	s_delay_alu instid0(VALU_DEP_1)
	v_or3_b32 v18, v16, v2, v0
.LBB6_7331:                             ;   in Loop: Header=BB6_6741 Depth=3
	s_or_b32 exec_lo, exec_lo, s74
.LBB6_7332:                             ;   in Loop: Header=BB6_6741 Depth=3
	s_delay_alu instid0(SALU_CYCLE_1)
	s_or_b32 exec_lo, exec_lo, s45
.LBB6_7333:                             ;   in Loop: Header=BB6_6741 Depth=3
	s_delay_alu instid0(SALU_CYCLE_1) | instskip(NEXT) | instid1(VALU_DEP_1)
	s_or_b32 exec_lo, exec_lo, s13
	v_add_f32_e32 v0, v19, v18
                                        ; implicit-def: $vgpr95
	s_mov_b32 s13, exec_lo
	s_delay_alu instid0(VALU_DEP_1) | instskip(SKIP_1) | instid1(VALU_DEP_2)
	v_and_b32_e32 v2, 0x7f800000, v0
	v_lshrrev_b32_e32 v16, 24, v0
	v_cmpx_ne_u64_e32 0x7f800000, v[2:3]
	s_xor_b32 s45, exec_lo, s13
	s_cbranch_execz .LBB6_7351
; %bb.7334:                             ;   in Loop: Header=BB6_6741 Depth=3
	v_and_b32_e32 v2, 0x7fffffff, v0
	v_and_b32_e32 v66, 0x80, v16
                                        ; implicit-def: $vgpr95
	s_mov_b32 s13, exec_lo
	s_delay_alu instid0(VALU_DEP_2)
	v_cmpx_gt_u64_e32 0x43e00001, v[2:3]
	s_xor_b32 s74, exec_lo, s13
	s_cbranch_execz .LBB6_7348
; %bb.7335:                             ;   in Loop: Header=BB6_6741 Depth=3
	v_mov_b32_e32 v95, 0
	s_mov_b32 s75, exec_lo
	v_cmpx_ne_u32_e32 0, v0
	s_cbranch_execz .LBB6_7347
; %bb.7336:                             ;   in Loop: Header=BB6_6741 Depth=3
	v_bfe_u32 v67, v0, 23, 8
	v_and_b32_e32 v2, 0x7fffff, v0
	s_delay_alu instid0(VALU_DEP_2) | instskip(SKIP_2) | instid1(VALU_DEP_4)
	v_cmp_gt_u32_e64 s13, 0x7a, v67
	v_sub_nc_u32_e32 v0, 0x79, v67
	v_cmp_eq_u32_e32 vcc_lo, 0, v67
	v_or_b32_e32 v16, 0x800000, v2
	s_delay_alu instid0(VALU_DEP_1) | instskip(NEXT) | instid1(VALU_DEP_1)
	v_dual_cndmask_b32 v0, 0, v0, s13 :: v_dual_cndmask_b32 v2, v16, v2, vcc_lo
	v_cndmask_b32_e64 v0, v0, 0x78, vcc_lo
	s_delay_alu instid0(VALU_DEP_1) | instskip(NEXT) | instid1(VALU_DEP_1)
	v_dual_add_nc_u32 v16, 20, v0 :: v_dual_add_nc_u32 v18, 19, v0
	v_lshlrev_b64_e64 v[16:17], v16, -1
	s_delay_alu instid0(VALU_DEP_2) | instskip(NEXT) | instid1(VALU_DEP_2)
	v_lshlrev_b64_e64 v[18:19], v18, 1
	v_bfi_b32 v17, v17, 0, 0
	s_delay_alu instid0(VALU_DEP_3) | instskip(NEXT) | instid1(VALU_DEP_1)
	v_bfi_b32 v16, v16, 0, v2
	v_cmp_eq_u64_e64 s13, v[16:17], v[18:19]
	v_lshrrev_b64 v[16:17], v0, v[2:3]
	s_delay_alu instid0(VALU_DEP_1)
	v_mov_b64_e32 v[18:19], v[16:17]
	s_and_saveexec_b32 s76, s13
; %bb.7337:                             ;   in Loop: Header=BB6_6741 Depth=3
	v_bfe_u32 v2, v16, 20, 1
	s_delay_alu instid0(VALU_DEP_1) | instskip(NEXT) | instid1(VALU_DEP_1)
	v_add_nc_u64_e32 v[18:19], v[16:17], v[2:3]
	v_add_nc_u64_e32 v[18:19], -1, v[18:19]
; %bb.7338:                             ;   in Loop: Header=BB6_6741 Depth=3
	s_or_b32 exec_lo, exec_lo, s76
	v_add_nc_u32_e32 v2, 0xffffff81, v67
	v_lshrrev_b32_e32 v17, 23, v16
	s_mov_b32 s13, exec_lo
	s_delay_alu instid0(VALU_DEP_2) | instskip(NEXT) | instid1(VALU_DEP_1)
	v_cndmask_b32_e64 v2, v2, 0xffffff82, vcc_lo
	v_add3_u32 v19, v0, v2, v17
	v_and_b32_e32 v0, 0xfffff, v18
	s_delay_alu instid0(VALU_DEP_1) | instskip(NEXT) | instid1(VALU_DEP_1)
	v_dual_add_nc_u32 v18, 6, v19 :: v_dual_add_nc_u32 v2, v0, v16
                                        ; implicit-def: $vgpr16_vgpr17
                                        ; implicit-def: $vgpr0
	v_cmpx_ne_u32_e32 0, v18
	s_xor_b32 s13, exec_lo, s13
; %bb.7339:                             ;   in Loop: Header=BB6_6741 Depth=3
	s_delay_alu instid0(VALU_DEP_2) | instskip(SKIP_2) | instid1(VALU_DEP_2)
	v_cmp_lt_u64_e32 vcc_lo, 0xffffff, v[2:3]
	v_add_nc_u32_e32 v0, 7, v19
	v_cndmask_b32_e64 v16, 0, 1, vcc_lo
	v_cndmask_b32_e32 v0, v18, v0, vcc_lo
	s_delay_alu instid0(VALU_DEP_2)
	v_lshrrev_b64 v[16:17], v16, v[2:3]
; %bb.7340:                             ;   in Loop: Header=BB6_6741 Depth=3
	s_and_not1_saveexec_b32 s13, s13
; %bb.7341:                             ;   in Loop: Header=BB6_6741 Depth=3
	v_mov_b64_e32 v[16:17], v[2:3]
	v_bfe_u32 v0, v2, 23, 1
; %bb.7342:                             ;   in Loop: Header=BB6_6741 Depth=3
	s_or_b32 exec_lo, exec_lo, s13
	s_delay_alu instid0(VALU_DEP_2) | instskip(NEXT) | instid1(VALU_DEP_2)
	v_lshrrev_b64 v[16:17], 20, v[16:17]
	v_cmp_gt_i32_e32 vcc_lo, 16, v0
	v_cmp_ne_u32_e64 s13, 0, v0
                                        ; implicit-def: $vgpr95
	s_delay_alu instid0(VALU_DEP_3) | instskip(NEXT) | instid1(VALU_DEP_1)
	v_dual_cndmask_b32 v17, 0, v17 :: v_dual_cndmask_b32 v16, 7, v16
	v_cmp_ne_u64_e32 vcc_lo, 0, v[16:17]
	s_or_b32 s13, s13, vcc_lo
	s_delay_alu instid0(SALU_CYCLE_1) | instskip(NEXT) | instid1(SALU_CYCLE_1)
	s_and_saveexec_b32 s76, s13
	s_xor_b32 s13, exec_lo, s76
; %bb.7343:                             ;   in Loop: Header=BB6_6741 Depth=3
	v_min_i32_e32 v0, 15, v0
	s_delay_alu instid0(VALU_DEP_1) | instskip(NEXT) | instid1(VALU_DEP_1)
	v_lshl_or_b32 v0, v0, 3, v66
                                        ; implicit-def: $vgpr66
	v_and_or_b32 v95, v16, 7, v0
; %bb.7344:                             ;   in Loop: Header=BB6_6741 Depth=3
	s_and_not1_saveexec_b32 s13, s13
; %bb.7345:                             ;   in Loop: Header=BB6_6741 Depth=3
	v_mov_b32_e32 v95, v66
; %bb.7346:                             ;   in Loop: Header=BB6_6741 Depth=3
	s_or_b32 exec_lo, exec_lo, s13
.LBB6_7347:                             ;   in Loop: Header=BB6_6741 Depth=3
	s_delay_alu instid0(SALU_CYCLE_1)
	s_or_b32 exec_lo, exec_lo, s75
                                        ; implicit-def: $vgpr66
.LBB6_7348:                             ;   in Loop: Header=BB6_6741 Depth=3
	s_and_not1_saveexec_b32 s13, s74
; %bb.7349:                             ;   in Loop: Header=BB6_6741 Depth=3
	v_or_b32_e32 v95, 0x7e, v66
; %bb.7350:                             ;   in Loop: Header=BB6_6741 Depth=3
	s_or_b32 exec_lo, exec_lo, s13
                                        ; implicit-def: $vgpr16
.LBB6_7351:                             ;   in Loop: Header=BB6_6741 Depth=3
	s_and_not1_saveexec_b32 s13, s45
; %bb.7352:                             ;   in Loop: Header=BB6_6741 Depth=3
	v_or_b32_e32 v95, 0x7f, v16
; %bb.7353:                             ;   in Loop: Header=BB6_6741 Depth=3
	s_or_b32 exec_lo, exec_lo, s13
	v_and_b32_e32 v0, 0xff, v94
	v_dual_mov_b32 v18, 0 :: v_dual_mov_b32 v19, 0
	s_mov_b32 s13, exec_lo
	s_delay_alu instid0(VALU_DEP_2)
	v_cmpx_ne_u16_e32 0, v0
	s_cbranch_execz .LBB6_7361
; %bb.7354:                             ;   in Loop: Header=BB6_6741 Depth=3
	v_bfrev_b32_e32 v19, 1
	s_mov_b32 s45, exec_lo
	v_cmpx_ne_u16_e32 0x80, v0
	s_cbranch_execz .LBB6_7360
; %bb.7355:                             ;   in Loop: Header=BB6_6741 Depth=3
	v_and_b32_e32 v16, 0x7f, v94
	v_mov_b32_e32 v19, 0x7f800001
	s_mov_b32 s74, exec_lo
	s_delay_alu instid0(VALU_DEP_2)
	v_cmpx_ne_u32_e32 0x7f, v16
	s_cbranch_execz .LBB6_7359
; %bb.7356:                             ;   in Loop: Header=BB6_6741 Depth=3
	v_and_b32_e32 v2, 7, v0
	v_lshrrev_b32_e32 v0, 3, v16
	v_cmp_gt_u32_e32 vcc_lo, 8, v16
	s_delay_alu instid0(VALU_DEP_3)
	v_mov_b64_e32 v[16:17], v[2:3]
	s_and_saveexec_b32 s75, vcc_lo
; %bb.7357:                             ;   in Loop: Header=BB6_6741 Depth=3
	v_clz_i32_u32_e32 v0, v2
	s_delay_alu instid0(VALU_DEP_1) | instskip(NEXT) | instid1(VALU_DEP_1)
	v_min_u32_e32 v0, 32, v0
	v_subrev_nc_u32_e32 v16, 28, v0
	v_sub_nc_u32_e32 v0, 29, v0
	s_delay_alu instid0(VALU_DEP_2) | instskip(NEXT) | instid1(VALU_DEP_1)
	v_lshlrev_b64_e32 v[16:17], v16, v[2:3]
	v_and_b32_e32 v16, 7, v16
; %bb.7358:                             ;   in Loop: Header=BB6_6741 Depth=3
	s_or_b32 exec_lo, exec_lo, s75
	s_delay_alu instid0(VALU_DEP_1) | instskip(SKIP_1) | instid1(VALU_DEP_2)
	v_dual_lshlrev_b32 v2, 24, v94 :: v_dual_lshlrev_b32 v16, 20, v16
	v_lshl_add_u32 v0, v0, 23, 0x3c000000
	v_and_b32_e32 v2, 0x80000000, v2
	s_delay_alu instid0(VALU_DEP_1)
	v_or3_b32 v19, v16, v2, v0
.LBB6_7359:                             ;   in Loop: Header=BB6_6741 Depth=3
	s_or_b32 exec_lo, exec_lo, s74
.LBB6_7360:                             ;   in Loop: Header=BB6_6741 Depth=3
	s_delay_alu instid0(SALU_CYCLE_1)
	s_or_b32 exec_lo, exec_lo, s45
.LBB6_7361:                             ;   in Loop: Header=BB6_6741 Depth=3
	s_delay_alu instid0(SALU_CYCLE_1) | instskip(SKIP_3) | instid1(VALU_DEP_1)
	s_or_b32 exec_lo, exec_lo, s13
	s_wait_loadcnt_dscnt 0xe0e
	v_and_b32_e32 v0, 0xff, v92
	s_mov_b32 s13, exec_lo
	v_cmpx_ne_u16_e32 0, v0
	s_cbranch_execz .LBB6_7369
; %bb.7362:                             ;   in Loop: Header=BB6_6741 Depth=3
	v_bfrev_b32_e32 v18, 1
	s_mov_b32 s45, exec_lo
	v_cmpx_ne_u16_e32 0x80, v0
	s_cbranch_execz .LBB6_7368
; %bb.7363:                             ;   in Loop: Header=BB6_6741 Depth=3
	v_and_b32_e32 v16, 0x7f, v92
	v_mov_b32_e32 v18, 0x7f800001
	s_mov_b32 s74, exec_lo
	s_delay_alu instid0(VALU_DEP_2)
	v_cmpx_ne_u32_e32 0x7f, v16
	s_cbranch_execz .LBB6_7367
; %bb.7364:                             ;   in Loop: Header=BB6_6741 Depth=3
	v_and_b32_e32 v2, 7, v0
	v_lshrrev_b32_e32 v0, 3, v16
	v_cmp_gt_u32_e32 vcc_lo, 8, v16
	s_delay_alu instid0(VALU_DEP_3)
	v_mov_b64_e32 v[16:17], v[2:3]
	s_and_saveexec_b32 s75, vcc_lo
; %bb.7365:                             ;   in Loop: Header=BB6_6741 Depth=3
	v_clz_i32_u32_e32 v0, v2
	s_delay_alu instid0(VALU_DEP_1) | instskip(NEXT) | instid1(VALU_DEP_1)
	v_min_u32_e32 v0, 32, v0
	v_subrev_nc_u32_e32 v16, 28, v0
	v_sub_nc_u32_e32 v0, 29, v0
	s_delay_alu instid0(VALU_DEP_2) | instskip(NEXT) | instid1(VALU_DEP_1)
	v_lshlrev_b64_e32 v[16:17], v16, v[2:3]
	v_and_b32_e32 v16, 7, v16
; %bb.7366:                             ;   in Loop: Header=BB6_6741 Depth=3
	s_or_b32 exec_lo, exec_lo, s75
	v_lshlrev_b32_e32 v2, 24, v92
	s_delay_alu instid0(VALU_DEP_2) | instskip(SKIP_1) | instid1(VALU_DEP_3)
	v_lshlrev_b32_e32 v16, 20, v16
	v_lshl_add_u32 v0, v0, 23, 0x3c000000
	v_and_b32_e32 v2, 0x80000000, v2
	s_delay_alu instid0(VALU_DEP_1)
	v_or3_b32 v18, v16, v2, v0
.LBB6_7367:                             ;   in Loop: Header=BB6_6741 Depth=3
	s_or_b32 exec_lo, exec_lo, s74
.LBB6_7368:                             ;   in Loop: Header=BB6_6741 Depth=3
	s_delay_alu instid0(SALU_CYCLE_1)
	s_or_b32 exec_lo, exec_lo, s45
.LBB6_7369:                             ;   in Loop: Header=BB6_6741 Depth=3
	s_delay_alu instid0(SALU_CYCLE_1) | instskip(NEXT) | instid1(VALU_DEP_1)
	s_or_b32 exec_lo, exec_lo, s13
	v_add_f32_e32 v0, v19, v18
                                        ; implicit-def: $vgpr92
	s_mov_b32 s13, exec_lo
	s_delay_alu instid0(VALU_DEP_1) | instskip(SKIP_1) | instid1(VALU_DEP_2)
	v_and_b32_e32 v2, 0x7f800000, v0
	v_lshrrev_b32_e32 v16, 24, v0
	v_cmpx_ne_u64_e32 0x7f800000, v[2:3]
	s_xor_b32 s45, exec_lo, s13
	s_cbranch_execz .LBB6_7387
; %bb.7370:                             ;   in Loop: Header=BB6_6741 Depth=3
	v_and_b32_e32 v2, 0x7fffffff, v0
	v_and_b32_e32 v66, 0x80, v16
                                        ; implicit-def: $vgpr92
	s_mov_b32 s13, exec_lo
	s_delay_alu instid0(VALU_DEP_2)
	v_cmpx_gt_u64_e32 0x43e00001, v[2:3]
	s_xor_b32 s74, exec_lo, s13
	s_cbranch_execz .LBB6_7384
; %bb.7371:                             ;   in Loop: Header=BB6_6741 Depth=3
	v_mov_b32_e32 v92, 0
	s_mov_b32 s75, exec_lo
	v_cmpx_ne_u32_e32 0, v0
	s_cbranch_execz .LBB6_7383
; %bb.7372:                             ;   in Loop: Header=BB6_6741 Depth=3
	v_bfe_u32 v67, v0, 23, 8
	v_and_b32_e32 v2, 0x7fffff, v0
	s_delay_alu instid0(VALU_DEP_2) | instskip(SKIP_2) | instid1(VALU_DEP_4)
	v_cmp_gt_u32_e64 s13, 0x7a, v67
	v_sub_nc_u32_e32 v0, 0x79, v67
	v_cmp_eq_u32_e32 vcc_lo, 0, v67
	v_or_b32_e32 v16, 0x800000, v2
	s_delay_alu instid0(VALU_DEP_1) | instskip(NEXT) | instid1(VALU_DEP_1)
	v_dual_cndmask_b32 v0, 0, v0, s13 :: v_dual_cndmask_b32 v2, v16, v2, vcc_lo
	v_cndmask_b32_e64 v0, v0, 0x78, vcc_lo
	s_delay_alu instid0(VALU_DEP_1) | instskip(NEXT) | instid1(VALU_DEP_1)
	v_dual_add_nc_u32 v16, 20, v0 :: v_dual_add_nc_u32 v18, 19, v0
	v_lshlrev_b64_e64 v[16:17], v16, -1
	s_delay_alu instid0(VALU_DEP_2) | instskip(NEXT) | instid1(VALU_DEP_2)
	v_lshlrev_b64_e64 v[18:19], v18, 1
	v_bfi_b32 v17, v17, 0, 0
	s_delay_alu instid0(VALU_DEP_3) | instskip(NEXT) | instid1(VALU_DEP_1)
	v_bfi_b32 v16, v16, 0, v2
	v_cmp_eq_u64_e64 s13, v[16:17], v[18:19]
	v_lshrrev_b64 v[16:17], v0, v[2:3]
	s_delay_alu instid0(VALU_DEP_1)
	v_mov_b64_e32 v[18:19], v[16:17]
	s_and_saveexec_b32 s76, s13
; %bb.7373:                             ;   in Loop: Header=BB6_6741 Depth=3
	v_bfe_u32 v2, v16, 20, 1
	s_delay_alu instid0(VALU_DEP_1) | instskip(NEXT) | instid1(VALU_DEP_1)
	v_add_nc_u64_e32 v[18:19], v[16:17], v[2:3]
	v_add_nc_u64_e32 v[18:19], -1, v[18:19]
; %bb.7374:                             ;   in Loop: Header=BB6_6741 Depth=3
	s_or_b32 exec_lo, exec_lo, s76
	v_add_nc_u32_e32 v2, 0xffffff81, v67
	v_lshrrev_b32_e32 v17, 23, v16
	s_mov_b32 s13, exec_lo
	s_delay_alu instid0(VALU_DEP_2) | instskip(NEXT) | instid1(VALU_DEP_1)
	v_cndmask_b32_e64 v2, v2, 0xffffff82, vcc_lo
	v_add3_u32 v19, v0, v2, v17
	v_and_b32_e32 v0, 0xfffff, v18
	s_delay_alu instid0(VALU_DEP_1) | instskip(NEXT) | instid1(VALU_DEP_1)
	v_dual_add_nc_u32 v18, 6, v19 :: v_dual_add_nc_u32 v2, v0, v16
                                        ; implicit-def: $vgpr16_vgpr17
                                        ; implicit-def: $vgpr0
	v_cmpx_ne_u32_e32 0, v18
	s_xor_b32 s13, exec_lo, s13
; %bb.7375:                             ;   in Loop: Header=BB6_6741 Depth=3
	s_delay_alu instid0(VALU_DEP_2) | instskip(SKIP_2) | instid1(VALU_DEP_2)
	v_cmp_lt_u64_e32 vcc_lo, 0xffffff, v[2:3]
	v_add_nc_u32_e32 v0, 7, v19
	v_cndmask_b32_e64 v16, 0, 1, vcc_lo
	v_cndmask_b32_e32 v0, v18, v0, vcc_lo
	s_delay_alu instid0(VALU_DEP_2)
	v_lshrrev_b64 v[16:17], v16, v[2:3]
; %bb.7376:                             ;   in Loop: Header=BB6_6741 Depth=3
	s_and_not1_saveexec_b32 s13, s13
; %bb.7377:                             ;   in Loop: Header=BB6_6741 Depth=3
	v_mov_b64_e32 v[16:17], v[2:3]
	v_bfe_u32 v0, v2, 23, 1
; %bb.7378:                             ;   in Loop: Header=BB6_6741 Depth=3
	s_or_b32 exec_lo, exec_lo, s13
	s_delay_alu instid0(VALU_DEP_2) | instskip(NEXT) | instid1(VALU_DEP_2)
	v_lshrrev_b64 v[16:17], 20, v[16:17]
	v_cmp_gt_i32_e32 vcc_lo, 16, v0
	v_cmp_ne_u32_e64 s13, 0, v0
                                        ; implicit-def: $vgpr92
	s_delay_alu instid0(VALU_DEP_3) | instskip(NEXT) | instid1(VALU_DEP_1)
	v_dual_cndmask_b32 v17, 0, v17 :: v_dual_cndmask_b32 v16, 7, v16
	v_cmp_ne_u64_e32 vcc_lo, 0, v[16:17]
	s_or_b32 s13, s13, vcc_lo
	s_delay_alu instid0(SALU_CYCLE_1) | instskip(NEXT) | instid1(SALU_CYCLE_1)
	s_and_saveexec_b32 s76, s13
	s_xor_b32 s13, exec_lo, s76
; %bb.7379:                             ;   in Loop: Header=BB6_6741 Depth=3
	v_min_i32_e32 v0, 15, v0
	s_delay_alu instid0(VALU_DEP_1) | instskip(NEXT) | instid1(VALU_DEP_1)
	v_lshl_or_b32 v0, v0, 3, v66
                                        ; implicit-def: $vgpr66
	v_and_or_b32 v92, v16, 7, v0
; %bb.7380:                             ;   in Loop: Header=BB6_6741 Depth=3
	s_and_not1_saveexec_b32 s13, s13
; %bb.7381:                             ;   in Loop: Header=BB6_6741 Depth=3
	v_mov_b32_e32 v92, v66
; %bb.7382:                             ;   in Loop: Header=BB6_6741 Depth=3
	s_or_b32 exec_lo, exec_lo, s13
.LBB6_7383:                             ;   in Loop: Header=BB6_6741 Depth=3
	s_delay_alu instid0(SALU_CYCLE_1)
	s_or_b32 exec_lo, exec_lo, s75
                                        ; implicit-def: $vgpr66
.LBB6_7384:                             ;   in Loop: Header=BB6_6741 Depth=3
	s_and_not1_saveexec_b32 s13, s74
; %bb.7385:                             ;   in Loop: Header=BB6_6741 Depth=3
	v_or_b32_e32 v92, 0x7e, v66
; %bb.7386:                             ;   in Loop: Header=BB6_6741 Depth=3
	s_or_b32 exec_lo, exec_lo, s13
                                        ; implicit-def: $vgpr16
.LBB6_7387:                             ;   in Loop: Header=BB6_6741 Depth=3
	s_and_not1_saveexec_b32 s13, s45
; %bb.7388:                             ;   in Loop: Header=BB6_6741 Depth=3
	v_or_b32_e32 v92, 0x7f, v16
; %bb.7389:                             ;   in Loop: Header=BB6_6741 Depth=3
	s_or_b32 exec_lo, exec_lo, s13
	v_and_b32_e32 v0, 0xff, v91
	v_dual_mov_b32 v18, 0 :: v_dual_mov_b32 v19, 0
	s_mov_b32 s13, exec_lo
	s_delay_alu instid0(VALU_DEP_2)
	v_cmpx_ne_u16_e32 0, v0
	s_cbranch_execz .LBB6_7397
; %bb.7390:                             ;   in Loop: Header=BB6_6741 Depth=3
	v_bfrev_b32_e32 v19, 1
	s_mov_b32 s45, exec_lo
	v_cmpx_ne_u16_e32 0x80, v0
	s_cbranch_execz .LBB6_7396
; %bb.7391:                             ;   in Loop: Header=BB6_6741 Depth=3
	v_and_b32_e32 v16, 0x7f, v91
	v_mov_b32_e32 v19, 0x7f800001
	s_mov_b32 s74, exec_lo
	s_delay_alu instid0(VALU_DEP_2)
	v_cmpx_ne_u32_e32 0x7f, v16
	s_cbranch_execz .LBB6_7395
; %bb.7392:                             ;   in Loop: Header=BB6_6741 Depth=3
	v_and_b32_e32 v2, 7, v0
	v_lshrrev_b32_e32 v0, 3, v16
	v_cmp_gt_u32_e32 vcc_lo, 8, v16
	s_delay_alu instid0(VALU_DEP_3)
	v_mov_b64_e32 v[16:17], v[2:3]
	s_and_saveexec_b32 s75, vcc_lo
; %bb.7393:                             ;   in Loop: Header=BB6_6741 Depth=3
	v_clz_i32_u32_e32 v0, v2
	s_delay_alu instid0(VALU_DEP_1) | instskip(NEXT) | instid1(VALU_DEP_1)
	v_min_u32_e32 v0, 32, v0
	v_subrev_nc_u32_e32 v16, 28, v0
	v_sub_nc_u32_e32 v0, 29, v0
	s_delay_alu instid0(VALU_DEP_2) | instskip(NEXT) | instid1(VALU_DEP_1)
	v_lshlrev_b64_e32 v[16:17], v16, v[2:3]
	v_and_b32_e32 v16, 7, v16
; %bb.7394:                             ;   in Loop: Header=BB6_6741 Depth=3
	s_or_b32 exec_lo, exec_lo, s75
	s_delay_alu instid0(VALU_DEP_1) | instskip(SKIP_1) | instid1(VALU_DEP_2)
	v_dual_lshlrev_b32 v2, 24, v91 :: v_dual_lshlrev_b32 v16, 20, v16
	v_lshl_add_u32 v0, v0, 23, 0x3c000000
	v_and_b32_e32 v2, 0x80000000, v2
	s_delay_alu instid0(VALU_DEP_1)
	v_or3_b32 v19, v16, v2, v0
.LBB6_7395:                             ;   in Loop: Header=BB6_6741 Depth=3
	s_or_b32 exec_lo, exec_lo, s74
.LBB6_7396:                             ;   in Loop: Header=BB6_6741 Depth=3
	s_delay_alu instid0(SALU_CYCLE_1)
	s_or_b32 exec_lo, exec_lo, s45
.LBB6_7397:                             ;   in Loop: Header=BB6_6741 Depth=3
	s_delay_alu instid0(SALU_CYCLE_1) | instskip(SKIP_3) | instid1(VALU_DEP_1)
	s_or_b32 exec_lo, exec_lo, s13
	s_wait_loadcnt_dscnt 0xd0d
	v_and_b32_e32 v0, 0xff, v56
	s_mov_b32 s13, exec_lo
	v_cmpx_ne_u16_e32 0, v0
	s_cbranch_execz .LBB6_7405
; %bb.7398:                             ;   in Loop: Header=BB6_6741 Depth=3
	v_bfrev_b32_e32 v18, 1
	s_mov_b32 s45, exec_lo
	v_cmpx_ne_u16_e32 0x80, v0
	s_cbranch_execz .LBB6_7404
; %bb.7399:                             ;   in Loop: Header=BB6_6741 Depth=3
	v_and_b32_e32 v16, 0x7f, v56
	v_mov_b32_e32 v18, 0x7f800001
	s_mov_b32 s74, exec_lo
	s_delay_alu instid0(VALU_DEP_2)
	v_cmpx_ne_u32_e32 0x7f, v16
	s_cbranch_execz .LBB6_7403
; %bb.7400:                             ;   in Loop: Header=BB6_6741 Depth=3
	v_and_b32_e32 v2, 7, v0
	v_lshrrev_b32_e32 v0, 3, v16
	v_cmp_gt_u32_e32 vcc_lo, 8, v16
	s_delay_alu instid0(VALU_DEP_3)
	v_mov_b64_e32 v[16:17], v[2:3]
	s_and_saveexec_b32 s75, vcc_lo
; %bb.7401:                             ;   in Loop: Header=BB6_6741 Depth=3
	v_clz_i32_u32_e32 v0, v2
	s_delay_alu instid0(VALU_DEP_1) | instskip(NEXT) | instid1(VALU_DEP_1)
	v_min_u32_e32 v0, 32, v0
	v_subrev_nc_u32_e32 v16, 28, v0
	v_sub_nc_u32_e32 v0, 29, v0
	s_delay_alu instid0(VALU_DEP_2) | instskip(NEXT) | instid1(VALU_DEP_1)
	v_lshlrev_b64_e32 v[16:17], v16, v[2:3]
	v_and_b32_e32 v16, 7, v16
; %bb.7402:                             ;   in Loop: Header=BB6_6741 Depth=3
	s_or_b32 exec_lo, exec_lo, s75
	v_lshlrev_b32_e32 v2, 24, v56
	s_delay_alu instid0(VALU_DEP_2) | instskip(SKIP_1) | instid1(VALU_DEP_3)
	v_lshlrev_b32_e32 v16, 20, v16
	v_lshl_add_u32 v0, v0, 23, 0x3c000000
	v_and_b32_e32 v2, 0x80000000, v2
	s_delay_alu instid0(VALU_DEP_1)
	v_or3_b32 v18, v16, v2, v0
.LBB6_7403:                             ;   in Loop: Header=BB6_6741 Depth=3
	s_or_b32 exec_lo, exec_lo, s74
.LBB6_7404:                             ;   in Loop: Header=BB6_6741 Depth=3
	s_delay_alu instid0(SALU_CYCLE_1)
	s_or_b32 exec_lo, exec_lo, s45
.LBB6_7405:                             ;   in Loop: Header=BB6_6741 Depth=3
	s_delay_alu instid0(SALU_CYCLE_1) | instskip(NEXT) | instid1(VALU_DEP_1)
	s_or_b32 exec_lo, exec_lo, s13
	v_add_f32_e32 v0, v19, v18
                                        ; implicit-def: $vgpr56
	s_mov_b32 s13, exec_lo
	s_delay_alu instid0(VALU_DEP_1) | instskip(SKIP_1) | instid1(VALU_DEP_2)
	v_and_b32_e32 v2, 0x7f800000, v0
	v_lshrrev_b32_e32 v16, 24, v0
	v_cmpx_ne_u64_e32 0x7f800000, v[2:3]
	s_xor_b32 s45, exec_lo, s13
	s_cbranch_execz .LBB6_7423
; %bb.7406:                             ;   in Loop: Header=BB6_6741 Depth=3
	v_and_b32_e32 v2, 0x7fffffff, v0
	v_and_b32_e32 v66, 0x80, v16
                                        ; implicit-def: $vgpr56
	s_mov_b32 s13, exec_lo
	s_delay_alu instid0(VALU_DEP_2)
	v_cmpx_gt_u64_e32 0x43e00001, v[2:3]
	s_xor_b32 s74, exec_lo, s13
	s_cbranch_execz .LBB6_7420
; %bb.7407:                             ;   in Loop: Header=BB6_6741 Depth=3
	v_mov_b32_e32 v56, 0
	s_mov_b32 s75, exec_lo
	v_cmpx_ne_u32_e32 0, v0
	s_cbranch_execz .LBB6_7419
; %bb.7408:                             ;   in Loop: Header=BB6_6741 Depth=3
	v_bfe_u32 v67, v0, 23, 8
	v_and_b32_e32 v2, 0x7fffff, v0
	s_delay_alu instid0(VALU_DEP_2) | instskip(SKIP_2) | instid1(VALU_DEP_4)
	v_cmp_gt_u32_e64 s13, 0x7a, v67
	v_sub_nc_u32_e32 v0, 0x79, v67
	v_cmp_eq_u32_e32 vcc_lo, 0, v67
	v_or_b32_e32 v16, 0x800000, v2
	s_delay_alu instid0(VALU_DEP_1) | instskip(NEXT) | instid1(VALU_DEP_1)
	v_dual_cndmask_b32 v0, 0, v0, s13 :: v_dual_cndmask_b32 v2, v16, v2, vcc_lo
	v_cndmask_b32_e64 v0, v0, 0x78, vcc_lo
	s_delay_alu instid0(VALU_DEP_1) | instskip(NEXT) | instid1(VALU_DEP_1)
	v_dual_add_nc_u32 v16, 20, v0 :: v_dual_add_nc_u32 v18, 19, v0
	v_lshlrev_b64_e64 v[16:17], v16, -1
	s_delay_alu instid0(VALU_DEP_2) | instskip(NEXT) | instid1(VALU_DEP_2)
	v_lshlrev_b64_e64 v[18:19], v18, 1
	v_bfi_b32 v17, v17, 0, 0
	s_delay_alu instid0(VALU_DEP_3) | instskip(NEXT) | instid1(VALU_DEP_1)
	v_bfi_b32 v16, v16, 0, v2
	v_cmp_eq_u64_e64 s13, v[16:17], v[18:19]
	v_lshrrev_b64 v[16:17], v0, v[2:3]
	s_delay_alu instid0(VALU_DEP_1)
	v_mov_b64_e32 v[18:19], v[16:17]
	s_and_saveexec_b32 s76, s13
; %bb.7409:                             ;   in Loop: Header=BB6_6741 Depth=3
	v_bfe_u32 v2, v16, 20, 1
	s_delay_alu instid0(VALU_DEP_1) | instskip(NEXT) | instid1(VALU_DEP_1)
	v_add_nc_u64_e32 v[18:19], v[16:17], v[2:3]
	v_add_nc_u64_e32 v[18:19], -1, v[18:19]
; %bb.7410:                             ;   in Loop: Header=BB6_6741 Depth=3
	s_or_b32 exec_lo, exec_lo, s76
	v_add_nc_u32_e32 v2, 0xffffff81, v67
	v_lshrrev_b32_e32 v17, 23, v16
	s_mov_b32 s13, exec_lo
	s_delay_alu instid0(VALU_DEP_2) | instskip(NEXT) | instid1(VALU_DEP_1)
	v_cndmask_b32_e64 v2, v2, 0xffffff82, vcc_lo
	v_add3_u32 v19, v0, v2, v17
	v_and_b32_e32 v0, 0xfffff, v18
	s_delay_alu instid0(VALU_DEP_1) | instskip(NEXT) | instid1(VALU_DEP_1)
	v_dual_add_nc_u32 v18, 6, v19 :: v_dual_add_nc_u32 v2, v0, v16
                                        ; implicit-def: $vgpr16_vgpr17
                                        ; implicit-def: $vgpr0
	v_cmpx_ne_u32_e32 0, v18
	s_xor_b32 s13, exec_lo, s13
; %bb.7411:                             ;   in Loop: Header=BB6_6741 Depth=3
	s_delay_alu instid0(VALU_DEP_2) | instskip(SKIP_2) | instid1(VALU_DEP_2)
	v_cmp_lt_u64_e32 vcc_lo, 0xffffff, v[2:3]
	v_add_nc_u32_e32 v0, 7, v19
	v_cndmask_b32_e64 v16, 0, 1, vcc_lo
	v_cndmask_b32_e32 v0, v18, v0, vcc_lo
	s_delay_alu instid0(VALU_DEP_2)
	v_lshrrev_b64 v[16:17], v16, v[2:3]
; %bb.7412:                             ;   in Loop: Header=BB6_6741 Depth=3
	s_and_not1_saveexec_b32 s13, s13
; %bb.7413:                             ;   in Loop: Header=BB6_6741 Depth=3
	v_mov_b64_e32 v[16:17], v[2:3]
	v_bfe_u32 v0, v2, 23, 1
; %bb.7414:                             ;   in Loop: Header=BB6_6741 Depth=3
	s_or_b32 exec_lo, exec_lo, s13
	s_delay_alu instid0(VALU_DEP_2) | instskip(NEXT) | instid1(VALU_DEP_2)
	v_lshrrev_b64 v[16:17], 20, v[16:17]
	v_cmp_gt_i32_e32 vcc_lo, 16, v0
	v_cmp_ne_u32_e64 s13, 0, v0
                                        ; implicit-def: $vgpr56
	s_delay_alu instid0(VALU_DEP_3) | instskip(NEXT) | instid1(VALU_DEP_1)
	v_dual_cndmask_b32 v17, 0, v17 :: v_dual_cndmask_b32 v16, 7, v16
	v_cmp_ne_u64_e32 vcc_lo, 0, v[16:17]
	s_or_b32 s13, s13, vcc_lo
	s_delay_alu instid0(SALU_CYCLE_1) | instskip(NEXT) | instid1(SALU_CYCLE_1)
	s_and_saveexec_b32 s76, s13
	s_xor_b32 s13, exec_lo, s76
; %bb.7415:                             ;   in Loop: Header=BB6_6741 Depth=3
	v_min_i32_e32 v0, 15, v0
	s_delay_alu instid0(VALU_DEP_1) | instskip(NEXT) | instid1(VALU_DEP_1)
	v_lshl_or_b32 v0, v0, 3, v66
                                        ; implicit-def: $vgpr66
	v_and_or_b32 v56, v16, 7, v0
; %bb.7416:                             ;   in Loop: Header=BB6_6741 Depth=3
	s_and_not1_saveexec_b32 s13, s13
; %bb.7417:                             ;   in Loop: Header=BB6_6741 Depth=3
	v_mov_b32_e32 v56, v66
; %bb.7418:                             ;   in Loop: Header=BB6_6741 Depth=3
	s_or_b32 exec_lo, exec_lo, s13
.LBB6_7419:                             ;   in Loop: Header=BB6_6741 Depth=3
	s_delay_alu instid0(SALU_CYCLE_1)
	s_or_b32 exec_lo, exec_lo, s75
                                        ; implicit-def: $vgpr66
.LBB6_7420:                             ;   in Loop: Header=BB6_6741 Depth=3
	s_and_not1_saveexec_b32 s13, s74
; %bb.7421:                             ;   in Loop: Header=BB6_6741 Depth=3
	v_or_b32_e32 v56, 0x7e, v66
; %bb.7422:                             ;   in Loop: Header=BB6_6741 Depth=3
	s_or_b32 exec_lo, exec_lo, s13
                                        ; implicit-def: $vgpr16
.LBB6_7423:                             ;   in Loop: Header=BB6_6741 Depth=3
	s_and_not1_saveexec_b32 s13, s45
; %bb.7424:                             ;   in Loop: Header=BB6_6741 Depth=3
	v_or_b32_e32 v56, 0x7f, v16
; %bb.7425:                             ;   in Loop: Header=BB6_6741 Depth=3
	s_or_b32 exec_lo, exec_lo, s13
	v_and_b32_e32 v0, 0xff, v90
	v_dual_mov_b32 v18, 0 :: v_dual_mov_b32 v19, 0
	s_mov_b32 s13, exec_lo
	s_delay_alu instid0(VALU_DEP_2)
	v_cmpx_ne_u16_e32 0, v0
	s_cbranch_execz .LBB6_7433
; %bb.7426:                             ;   in Loop: Header=BB6_6741 Depth=3
	v_bfrev_b32_e32 v19, 1
	s_mov_b32 s45, exec_lo
	v_cmpx_ne_u16_e32 0x80, v0
	s_cbranch_execz .LBB6_7432
; %bb.7427:                             ;   in Loop: Header=BB6_6741 Depth=3
	v_and_b32_e32 v16, 0x7f, v90
	v_mov_b32_e32 v19, 0x7f800001
	s_mov_b32 s74, exec_lo
	s_delay_alu instid0(VALU_DEP_2)
	v_cmpx_ne_u32_e32 0x7f, v16
	s_cbranch_execz .LBB6_7431
; %bb.7428:                             ;   in Loop: Header=BB6_6741 Depth=3
	v_and_b32_e32 v2, 7, v0
	v_lshrrev_b32_e32 v0, 3, v16
	v_cmp_gt_u32_e32 vcc_lo, 8, v16
	s_delay_alu instid0(VALU_DEP_3)
	v_mov_b64_e32 v[16:17], v[2:3]
	s_and_saveexec_b32 s75, vcc_lo
; %bb.7429:                             ;   in Loop: Header=BB6_6741 Depth=3
	v_clz_i32_u32_e32 v0, v2
	s_delay_alu instid0(VALU_DEP_1) | instskip(NEXT) | instid1(VALU_DEP_1)
	v_min_u32_e32 v0, 32, v0
	v_subrev_nc_u32_e32 v16, 28, v0
	v_sub_nc_u32_e32 v0, 29, v0
	s_delay_alu instid0(VALU_DEP_2) | instskip(NEXT) | instid1(VALU_DEP_1)
	v_lshlrev_b64_e32 v[16:17], v16, v[2:3]
	v_and_b32_e32 v16, 7, v16
; %bb.7430:                             ;   in Loop: Header=BB6_6741 Depth=3
	s_or_b32 exec_lo, exec_lo, s75
	s_delay_alu instid0(VALU_DEP_1) | instskip(SKIP_1) | instid1(VALU_DEP_2)
	v_dual_lshlrev_b32 v2, 24, v90 :: v_dual_lshlrev_b32 v16, 20, v16
	v_lshl_add_u32 v0, v0, 23, 0x3c000000
	v_and_b32_e32 v2, 0x80000000, v2
	s_delay_alu instid0(VALU_DEP_1)
	v_or3_b32 v19, v16, v2, v0
.LBB6_7431:                             ;   in Loop: Header=BB6_6741 Depth=3
	s_or_b32 exec_lo, exec_lo, s74
.LBB6_7432:                             ;   in Loop: Header=BB6_6741 Depth=3
	s_delay_alu instid0(SALU_CYCLE_1)
	s_or_b32 exec_lo, exec_lo, s45
.LBB6_7433:                             ;   in Loop: Header=BB6_6741 Depth=3
	s_delay_alu instid0(SALU_CYCLE_1) | instskip(SKIP_3) | instid1(VALU_DEP_1)
	s_or_b32 exec_lo, exec_lo, s13
	s_wait_loadcnt_dscnt 0xc0c
	v_and_b32_e32 v0, 0xff, v78
	s_mov_b32 s13, exec_lo
	v_cmpx_ne_u16_e32 0, v0
	s_cbranch_execz .LBB6_7441
; %bb.7434:                             ;   in Loop: Header=BB6_6741 Depth=3
	v_bfrev_b32_e32 v18, 1
	s_mov_b32 s45, exec_lo
	v_cmpx_ne_u16_e32 0x80, v0
	s_cbranch_execz .LBB6_7440
; %bb.7435:                             ;   in Loop: Header=BB6_6741 Depth=3
	v_and_b32_e32 v16, 0x7f, v78
	v_mov_b32_e32 v18, 0x7f800001
	s_mov_b32 s74, exec_lo
	s_delay_alu instid0(VALU_DEP_2)
	v_cmpx_ne_u32_e32 0x7f, v16
	s_cbranch_execz .LBB6_7439
; %bb.7436:                             ;   in Loop: Header=BB6_6741 Depth=3
	v_and_b32_e32 v2, 7, v0
	v_lshrrev_b32_e32 v0, 3, v16
	v_cmp_gt_u32_e32 vcc_lo, 8, v16
	s_delay_alu instid0(VALU_DEP_3)
	v_mov_b64_e32 v[16:17], v[2:3]
	s_and_saveexec_b32 s75, vcc_lo
; %bb.7437:                             ;   in Loop: Header=BB6_6741 Depth=3
	v_clz_i32_u32_e32 v0, v2
	s_delay_alu instid0(VALU_DEP_1) | instskip(NEXT) | instid1(VALU_DEP_1)
	v_min_u32_e32 v0, 32, v0
	v_subrev_nc_u32_e32 v16, 28, v0
	v_sub_nc_u32_e32 v0, 29, v0
	s_delay_alu instid0(VALU_DEP_2) | instskip(NEXT) | instid1(VALU_DEP_1)
	v_lshlrev_b64_e32 v[16:17], v16, v[2:3]
	v_and_b32_e32 v16, 7, v16
; %bb.7438:                             ;   in Loop: Header=BB6_6741 Depth=3
	s_or_b32 exec_lo, exec_lo, s75
	s_delay_alu instid0(VALU_DEP_1) | instskip(SKIP_1) | instid1(VALU_DEP_2)
	v_dual_lshlrev_b32 v2, 24, v78 :: v_dual_lshlrev_b32 v16, 20, v16
	v_lshl_add_u32 v0, v0, 23, 0x3c000000
	v_and_b32_e32 v2, 0x80000000, v2
	s_delay_alu instid0(VALU_DEP_1)
	v_or3_b32 v18, v16, v2, v0
.LBB6_7439:                             ;   in Loop: Header=BB6_6741 Depth=3
	s_or_b32 exec_lo, exec_lo, s74
.LBB6_7440:                             ;   in Loop: Header=BB6_6741 Depth=3
	s_delay_alu instid0(SALU_CYCLE_1)
	s_or_b32 exec_lo, exec_lo, s45
.LBB6_7441:                             ;   in Loop: Header=BB6_6741 Depth=3
	s_delay_alu instid0(SALU_CYCLE_1) | instskip(NEXT) | instid1(VALU_DEP_1)
	s_or_b32 exec_lo, exec_lo, s13
	v_add_f32_e32 v0, v19, v18
                                        ; implicit-def: $vgpr46
	s_mov_b32 s13, exec_lo
	s_delay_alu instid0(VALU_DEP_1) | instskip(SKIP_1) | instid1(VALU_DEP_2)
	v_and_b32_e32 v2, 0x7f800000, v0
	v_lshrrev_b32_e32 v16, 24, v0
	v_cmpx_ne_u64_e32 0x7f800000, v[2:3]
	s_xor_b32 s45, exec_lo, s13
	s_cbranch_execz .LBB6_7459
; %bb.7442:                             ;   in Loop: Header=BB6_6741 Depth=3
	v_and_b32_e32 v2, 0x7fffffff, v0
	v_and_b32_e32 v66, 0x80, v16
                                        ; implicit-def: $vgpr46
	s_mov_b32 s13, exec_lo
	s_delay_alu instid0(VALU_DEP_2)
	v_cmpx_gt_u64_e32 0x43e00001, v[2:3]
	s_xor_b32 s74, exec_lo, s13
	s_cbranch_execz .LBB6_7456
; %bb.7443:                             ;   in Loop: Header=BB6_6741 Depth=3
	v_mov_b32_e32 v46, 0
	s_mov_b32 s75, exec_lo
	v_cmpx_ne_u32_e32 0, v0
	s_cbranch_execz .LBB6_7455
; %bb.7444:                             ;   in Loop: Header=BB6_6741 Depth=3
	v_bfe_u32 v67, v0, 23, 8
	v_and_b32_e32 v2, 0x7fffff, v0
	s_delay_alu instid0(VALU_DEP_2) | instskip(SKIP_2) | instid1(VALU_DEP_4)
	v_cmp_gt_u32_e64 s13, 0x7a, v67
	v_sub_nc_u32_e32 v0, 0x79, v67
	v_cmp_eq_u32_e32 vcc_lo, 0, v67
	v_or_b32_e32 v16, 0x800000, v2
	s_delay_alu instid0(VALU_DEP_1) | instskip(NEXT) | instid1(VALU_DEP_1)
	v_dual_cndmask_b32 v0, 0, v0, s13 :: v_dual_cndmask_b32 v2, v16, v2, vcc_lo
	v_cndmask_b32_e64 v0, v0, 0x78, vcc_lo
	s_delay_alu instid0(VALU_DEP_1) | instskip(NEXT) | instid1(VALU_DEP_1)
	v_dual_add_nc_u32 v16, 20, v0 :: v_dual_add_nc_u32 v18, 19, v0
	v_lshlrev_b64_e64 v[16:17], v16, -1
	s_delay_alu instid0(VALU_DEP_2) | instskip(NEXT) | instid1(VALU_DEP_2)
	v_lshlrev_b64_e64 v[18:19], v18, 1
	v_bfi_b32 v17, v17, 0, 0
	s_delay_alu instid0(VALU_DEP_3) | instskip(NEXT) | instid1(VALU_DEP_1)
	v_bfi_b32 v16, v16, 0, v2
	v_cmp_eq_u64_e64 s13, v[16:17], v[18:19]
	v_lshrrev_b64 v[16:17], v0, v[2:3]
	s_delay_alu instid0(VALU_DEP_1)
	v_mov_b64_e32 v[18:19], v[16:17]
	s_and_saveexec_b32 s76, s13
; %bb.7445:                             ;   in Loop: Header=BB6_6741 Depth=3
	v_bfe_u32 v2, v16, 20, 1
	s_delay_alu instid0(VALU_DEP_1) | instskip(NEXT) | instid1(VALU_DEP_1)
	v_add_nc_u64_e32 v[18:19], v[16:17], v[2:3]
	v_add_nc_u64_e32 v[18:19], -1, v[18:19]
; %bb.7446:                             ;   in Loop: Header=BB6_6741 Depth=3
	s_or_b32 exec_lo, exec_lo, s76
	v_add_nc_u32_e32 v2, 0xffffff81, v67
	v_lshrrev_b32_e32 v17, 23, v16
	s_mov_b32 s13, exec_lo
	s_delay_alu instid0(VALU_DEP_2) | instskip(NEXT) | instid1(VALU_DEP_1)
	v_cndmask_b32_e64 v2, v2, 0xffffff82, vcc_lo
	v_add3_u32 v19, v0, v2, v17
	v_and_b32_e32 v0, 0xfffff, v18
	s_delay_alu instid0(VALU_DEP_1) | instskip(NEXT) | instid1(VALU_DEP_1)
	v_dual_add_nc_u32 v18, 6, v19 :: v_dual_add_nc_u32 v2, v0, v16
                                        ; implicit-def: $vgpr16_vgpr17
                                        ; implicit-def: $vgpr0
	v_cmpx_ne_u32_e32 0, v18
	s_xor_b32 s13, exec_lo, s13
; %bb.7447:                             ;   in Loop: Header=BB6_6741 Depth=3
	s_delay_alu instid0(VALU_DEP_2) | instskip(SKIP_2) | instid1(VALU_DEP_2)
	v_cmp_lt_u64_e32 vcc_lo, 0xffffff, v[2:3]
	v_add_nc_u32_e32 v0, 7, v19
	v_cndmask_b32_e64 v16, 0, 1, vcc_lo
	v_cndmask_b32_e32 v0, v18, v0, vcc_lo
	s_delay_alu instid0(VALU_DEP_2)
	v_lshrrev_b64 v[16:17], v16, v[2:3]
; %bb.7448:                             ;   in Loop: Header=BB6_6741 Depth=3
	s_and_not1_saveexec_b32 s13, s13
; %bb.7449:                             ;   in Loop: Header=BB6_6741 Depth=3
	v_mov_b64_e32 v[16:17], v[2:3]
	v_bfe_u32 v0, v2, 23, 1
; %bb.7450:                             ;   in Loop: Header=BB6_6741 Depth=3
	s_or_b32 exec_lo, exec_lo, s13
	s_delay_alu instid0(VALU_DEP_2) | instskip(NEXT) | instid1(VALU_DEP_2)
	v_lshrrev_b64 v[16:17], 20, v[16:17]
	v_cmp_gt_i32_e32 vcc_lo, 16, v0
	v_cmp_ne_u32_e64 s13, 0, v0
                                        ; implicit-def: $vgpr46
	s_delay_alu instid0(VALU_DEP_3) | instskip(NEXT) | instid1(VALU_DEP_1)
	v_dual_cndmask_b32 v17, 0, v17 :: v_dual_cndmask_b32 v16, 7, v16
	v_cmp_ne_u64_e32 vcc_lo, 0, v[16:17]
	s_or_b32 s13, s13, vcc_lo
	s_delay_alu instid0(SALU_CYCLE_1) | instskip(NEXT) | instid1(SALU_CYCLE_1)
	s_and_saveexec_b32 s76, s13
	s_xor_b32 s13, exec_lo, s76
; %bb.7451:                             ;   in Loop: Header=BB6_6741 Depth=3
	v_min_i32_e32 v0, 15, v0
	s_delay_alu instid0(VALU_DEP_1) | instskip(NEXT) | instid1(VALU_DEP_1)
	v_lshl_or_b32 v0, v0, 3, v66
                                        ; implicit-def: $vgpr66
	v_and_or_b32 v46, v16, 7, v0
; %bb.7452:                             ;   in Loop: Header=BB6_6741 Depth=3
	s_and_not1_saveexec_b32 s13, s13
; %bb.7453:                             ;   in Loop: Header=BB6_6741 Depth=3
	v_mov_b32_e32 v46, v66
; %bb.7454:                             ;   in Loop: Header=BB6_6741 Depth=3
	s_or_b32 exec_lo, exec_lo, s13
.LBB6_7455:                             ;   in Loop: Header=BB6_6741 Depth=3
	s_delay_alu instid0(SALU_CYCLE_1)
	s_or_b32 exec_lo, exec_lo, s75
                                        ; implicit-def: $vgpr66
.LBB6_7456:                             ;   in Loop: Header=BB6_6741 Depth=3
	s_and_not1_saveexec_b32 s13, s74
; %bb.7457:                             ;   in Loop: Header=BB6_6741 Depth=3
	v_or_b32_e32 v46, 0x7e, v66
; %bb.7458:                             ;   in Loop: Header=BB6_6741 Depth=3
	s_or_b32 exec_lo, exec_lo, s13
                                        ; implicit-def: $vgpr16
.LBB6_7459:                             ;   in Loop: Header=BB6_6741 Depth=3
	s_and_not1_saveexec_b32 s13, s45
; %bb.7460:                             ;   in Loop: Header=BB6_6741 Depth=3
	v_or_b32_e32 v46, 0x7f, v16
; %bb.7461:                             ;   in Loop: Header=BB6_6741 Depth=3
	s_or_b32 exec_lo, exec_lo, s13
	v_and_b32_e32 v0, 0xff, v77
	v_dual_mov_b32 v18, 0 :: v_dual_mov_b32 v19, 0
	s_mov_b32 s13, exec_lo
	s_delay_alu instid0(VALU_DEP_2)
	v_cmpx_ne_u16_e32 0, v0
	s_cbranch_execz .LBB6_7469
; %bb.7462:                             ;   in Loop: Header=BB6_6741 Depth=3
	v_bfrev_b32_e32 v19, 1
	s_mov_b32 s45, exec_lo
	v_cmpx_ne_u16_e32 0x80, v0
	s_cbranch_execz .LBB6_7468
; %bb.7463:                             ;   in Loop: Header=BB6_6741 Depth=3
	v_and_b32_e32 v16, 0x7f, v77
	v_mov_b32_e32 v19, 0x7f800001
	s_mov_b32 s74, exec_lo
	s_delay_alu instid0(VALU_DEP_2)
	v_cmpx_ne_u32_e32 0x7f, v16
	s_cbranch_execz .LBB6_7467
; %bb.7464:                             ;   in Loop: Header=BB6_6741 Depth=3
	v_and_b32_e32 v2, 7, v0
	v_lshrrev_b32_e32 v0, 3, v16
	v_cmp_gt_u32_e32 vcc_lo, 8, v16
	s_delay_alu instid0(VALU_DEP_3)
	v_mov_b64_e32 v[16:17], v[2:3]
	s_and_saveexec_b32 s75, vcc_lo
; %bb.7465:                             ;   in Loop: Header=BB6_6741 Depth=3
	v_clz_i32_u32_e32 v0, v2
	s_delay_alu instid0(VALU_DEP_1) | instskip(NEXT) | instid1(VALU_DEP_1)
	v_min_u32_e32 v0, 32, v0
	v_subrev_nc_u32_e32 v16, 28, v0
	v_sub_nc_u32_e32 v0, 29, v0
	s_delay_alu instid0(VALU_DEP_2) | instskip(NEXT) | instid1(VALU_DEP_1)
	v_lshlrev_b64_e32 v[16:17], v16, v[2:3]
	v_and_b32_e32 v16, 7, v16
; %bb.7466:                             ;   in Loop: Header=BB6_6741 Depth=3
	s_or_b32 exec_lo, exec_lo, s75
	s_delay_alu instid0(VALU_DEP_1) | instskip(SKIP_1) | instid1(VALU_DEP_2)
	v_dual_lshlrev_b32 v2, 24, v77 :: v_dual_lshlrev_b32 v16, 20, v16
	v_lshl_add_u32 v0, v0, 23, 0x3c000000
	v_and_b32_e32 v2, 0x80000000, v2
	s_delay_alu instid0(VALU_DEP_1)
	v_or3_b32 v19, v16, v2, v0
.LBB6_7467:                             ;   in Loop: Header=BB6_6741 Depth=3
	s_or_b32 exec_lo, exec_lo, s74
.LBB6_7468:                             ;   in Loop: Header=BB6_6741 Depth=3
	s_delay_alu instid0(SALU_CYCLE_1)
	s_or_b32 exec_lo, exec_lo, s45
.LBB6_7469:                             ;   in Loop: Header=BB6_6741 Depth=3
	s_delay_alu instid0(SALU_CYCLE_1) | instskip(SKIP_3) | instid1(VALU_DEP_1)
	s_or_b32 exec_lo, exec_lo, s13
	s_wait_loadcnt_dscnt 0xb0b
	v_and_b32_e32 v0, 0xff, v72
	s_mov_b32 s13, exec_lo
	v_cmpx_ne_u16_e32 0, v0
	s_cbranch_execz .LBB6_7477
; %bb.7470:                             ;   in Loop: Header=BB6_6741 Depth=3
	v_bfrev_b32_e32 v18, 1
	s_mov_b32 s45, exec_lo
	v_cmpx_ne_u16_e32 0x80, v0
	s_cbranch_execz .LBB6_7476
; %bb.7471:                             ;   in Loop: Header=BB6_6741 Depth=3
	v_and_b32_e32 v16, 0x7f, v72
	v_mov_b32_e32 v18, 0x7f800001
	s_mov_b32 s74, exec_lo
	s_delay_alu instid0(VALU_DEP_2)
	v_cmpx_ne_u32_e32 0x7f, v16
	s_cbranch_execz .LBB6_7475
; %bb.7472:                             ;   in Loop: Header=BB6_6741 Depth=3
	v_and_b32_e32 v2, 7, v0
	v_lshrrev_b32_e32 v0, 3, v16
	v_cmp_gt_u32_e32 vcc_lo, 8, v16
	s_delay_alu instid0(VALU_DEP_3)
	v_mov_b64_e32 v[16:17], v[2:3]
	s_and_saveexec_b32 s75, vcc_lo
; %bb.7473:                             ;   in Loop: Header=BB6_6741 Depth=3
	v_clz_i32_u32_e32 v0, v2
	s_delay_alu instid0(VALU_DEP_1) | instskip(NEXT) | instid1(VALU_DEP_1)
	v_min_u32_e32 v0, 32, v0
	v_subrev_nc_u32_e32 v16, 28, v0
	v_sub_nc_u32_e32 v0, 29, v0
	s_delay_alu instid0(VALU_DEP_2) | instskip(NEXT) | instid1(VALU_DEP_1)
	v_lshlrev_b64_e32 v[16:17], v16, v[2:3]
	v_and_b32_e32 v16, 7, v16
; %bb.7474:                             ;   in Loop: Header=BB6_6741 Depth=3
	s_or_b32 exec_lo, exec_lo, s75
	v_lshlrev_b32_e32 v2, 24, v72
	s_delay_alu instid0(VALU_DEP_2) | instskip(SKIP_1) | instid1(VALU_DEP_3)
	v_lshlrev_b32_e32 v16, 20, v16
	v_lshl_add_u32 v0, v0, 23, 0x3c000000
	v_and_b32_e32 v2, 0x80000000, v2
	s_delay_alu instid0(VALU_DEP_1)
	v_or3_b32 v18, v16, v2, v0
.LBB6_7475:                             ;   in Loop: Header=BB6_6741 Depth=3
	s_or_b32 exec_lo, exec_lo, s74
.LBB6_7476:                             ;   in Loop: Header=BB6_6741 Depth=3
	s_delay_alu instid0(SALU_CYCLE_1)
	s_or_b32 exec_lo, exec_lo, s45
.LBB6_7477:                             ;   in Loop: Header=BB6_6741 Depth=3
	s_delay_alu instid0(SALU_CYCLE_1) | instskip(NEXT) | instid1(VALU_DEP_1)
	s_or_b32 exec_lo, exec_lo, s13
	v_add_f32_e32 v0, v19, v18
                                        ; implicit-def: $vgpr47
	s_mov_b32 s13, exec_lo
	s_delay_alu instid0(VALU_DEP_1) | instskip(SKIP_1) | instid1(VALU_DEP_2)
	v_and_b32_e32 v2, 0x7f800000, v0
	v_lshrrev_b32_e32 v16, 24, v0
	v_cmpx_ne_u64_e32 0x7f800000, v[2:3]
	s_xor_b32 s45, exec_lo, s13
	s_cbranch_execz .LBB6_7495
; %bb.7478:                             ;   in Loop: Header=BB6_6741 Depth=3
	v_and_b32_e32 v2, 0x7fffffff, v0
	v_and_b32_e32 v66, 0x80, v16
                                        ; implicit-def: $vgpr47
	s_mov_b32 s13, exec_lo
	s_delay_alu instid0(VALU_DEP_2)
	v_cmpx_gt_u64_e32 0x43e00001, v[2:3]
	s_xor_b32 s74, exec_lo, s13
	s_cbranch_execz .LBB6_7492
; %bb.7479:                             ;   in Loop: Header=BB6_6741 Depth=3
	v_mov_b32_e32 v47, 0
	s_mov_b32 s75, exec_lo
	v_cmpx_ne_u32_e32 0, v0
	s_cbranch_execz .LBB6_7491
; %bb.7480:                             ;   in Loop: Header=BB6_6741 Depth=3
	v_bfe_u32 v67, v0, 23, 8
	v_and_b32_e32 v2, 0x7fffff, v0
	s_delay_alu instid0(VALU_DEP_2) | instskip(SKIP_2) | instid1(VALU_DEP_4)
	v_cmp_gt_u32_e64 s13, 0x7a, v67
	v_sub_nc_u32_e32 v0, 0x79, v67
	v_cmp_eq_u32_e32 vcc_lo, 0, v67
	v_or_b32_e32 v16, 0x800000, v2
	s_delay_alu instid0(VALU_DEP_1) | instskip(NEXT) | instid1(VALU_DEP_1)
	v_dual_cndmask_b32 v0, 0, v0, s13 :: v_dual_cndmask_b32 v2, v16, v2, vcc_lo
	v_cndmask_b32_e64 v0, v0, 0x78, vcc_lo
	s_delay_alu instid0(VALU_DEP_1) | instskip(NEXT) | instid1(VALU_DEP_1)
	v_dual_add_nc_u32 v16, 20, v0 :: v_dual_add_nc_u32 v18, 19, v0
	v_lshlrev_b64_e64 v[16:17], v16, -1
	s_delay_alu instid0(VALU_DEP_2) | instskip(NEXT) | instid1(VALU_DEP_2)
	v_lshlrev_b64_e64 v[18:19], v18, 1
	v_bfi_b32 v17, v17, 0, 0
	s_delay_alu instid0(VALU_DEP_3) | instskip(NEXT) | instid1(VALU_DEP_1)
	v_bfi_b32 v16, v16, 0, v2
	v_cmp_eq_u64_e64 s13, v[16:17], v[18:19]
	v_lshrrev_b64 v[16:17], v0, v[2:3]
	s_delay_alu instid0(VALU_DEP_1)
	v_mov_b64_e32 v[18:19], v[16:17]
	s_and_saveexec_b32 s76, s13
; %bb.7481:                             ;   in Loop: Header=BB6_6741 Depth=3
	v_bfe_u32 v2, v16, 20, 1
	s_delay_alu instid0(VALU_DEP_1) | instskip(NEXT) | instid1(VALU_DEP_1)
	v_add_nc_u64_e32 v[18:19], v[16:17], v[2:3]
	v_add_nc_u64_e32 v[18:19], -1, v[18:19]
; %bb.7482:                             ;   in Loop: Header=BB6_6741 Depth=3
	s_or_b32 exec_lo, exec_lo, s76
	v_add_nc_u32_e32 v2, 0xffffff81, v67
	v_lshrrev_b32_e32 v17, 23, v16
	s_mov_b32 s13, exec_lo
	s_delay_alu instid0(VALU_DEP_2) | instskip(NEXT) | instid1(VALU_DEP_1)
	v_cndmask_b32_e64 v2, v2, 0xffffff82, vcc_lo
	v_add3_u32 v19, v0, v2, v17
	v_and_b32_e32 v0, 0xfffff, v18
	s_delay_alu instid0(VALU_DEP_1) | instskip(NEXT) | instid1(VALU_DEP_1)
	v_dual_add_nc_u32 v18, 6, v19 :: v_dual_add_nc_u32 v2, v0, v16
                                        ; implicit-def: $vgpr16_vgpr17
                                        ; implicit-def: $vgpr0
	v_cmpx_ne_u32_e32 0, v18
	s_xor_b32 s13, exec_lo, s13
; %bb.7483:                             ;   in Loop: Header=BB6_6741 Depth=3
	s_delay_alu instid0(VALU_DEP_2) | instskip(SKIP_2) | instid1(VALU_DEP_2)
	v_cmp_lt_u64_e32 vcc_lo, 0xffffff, v[2:3]
	v_add_nc_u32_e32 v0, 7, v19
	v_cndmask_b32_e64 v16, 0, 1, vcc_lo
	v_cndmask_b32_e32 v0, v18, v0, vcc_lo
	s_delay_alu instid0(VALU_DEP_2)
	v_lshrrev_b64 v[16:17], v16, v[2:3]
; %bb.7484:                             ;   in Loop: Header=BB6_6741 Depth=3
	s_and_not1_saveexec_b32 s13, s13
; %bb.7485:                             ;   in Loop: Header=BB6_6741 Depth=3
	v_mov_b64_e32 v[16:17], v[2:3]
	v_bfe_u32 v0, v2, 23, 1
; %bb.7486:                             ;   in Loop: Header=BB6_6741 Depth=3
	s_or_b32 exec_lo, exec_lo, s13
	s_delay_alu instid0(VALU_DEP_2) | instskip(NEXT) | instid1(VALU_DEP_2)
	v_lshrrev_b64 v[16:17], 20, v[16:17]
	v_cmp_gt_i32_e32 vcc_lo, 16, v0
	v_cmp_ne_u32_e64 s13, 0, v0
                                        ; implicit-def: $vgpr47
	s_delay_alu instid0(VALU_DEP_3) | instskip(NEXT) | instid1(VALU_DEP_1)
	v_dual_cndmask_b32 v17, 0, v17 :: v_dual_cndmask_b32 v16, 7, v16
	v_cmp_ne_u64_e32 vcc_lo, 0, v[16:17]
	s_or_b32 s13, s13, vcc_lo
	s_delay_alu instid0(SALU_CYCLE_1) | instskip(NEXT) | instid1(SALU_CYCLE_1)
	s_and_saveexec_b32 s76, s13
	s_xor_b32 s13, exec_lo, s76
; %bb.7487:                             ;   in Loop: Header=BB6_6741 Depth=3
	v_min_i32_e32 v0, 15, v0
	s_delay_alu instid0(VALU_DEP_1) | instskip(NEXT) | instid1(VALU_DEP_1)
	v_lshl_or_b32 v0, v0, 3, v66
                                        ; implicit-def: $vgpr66
	v_and_or_b32 v47, v16, 7, v0
; %bb.7488:                             ;   in Loop: Header=BB6_6741 Depth=3
	s_and_not1_saveexec_b32 s13, s13
; %bb.7489:                             ;   in Loop: Header=BB6_6741 Depth=3
	v_mov_b32_e32 v47, v66
; %bb.7490:                             ;   in Loop: Header=BB6_6741 Depth=3
	s_or_b32 exec_lo, exec_lo, s13
.LBB6_7491:                             ;   in Loop: Header=BB6_6741 Depth=3
	s_delay_alu instid0(SALU_CYCLE_1)
	s_or_b32 exec_lo, exec_lo, s75
                                        ; implicit-def: $vgpr66
.LBB6_7492:                             ;   in Loop: Header=BB6_6741 Depth=3
	s_and_not1_saveexec_b32 s13, s74
; %bb.7493:                             ;   in Loop: Header=BB6_6741 Depth=3
	v_or_b32_e32 v47, 0x7e, v66
; %bb.7494:                             ;   in Loop: Header=BB6_6741 Depth=3
	s_or_b32 exec_lo, exec_lo, s13
                                        ; implicit-def: $vgpr16
.LBB6_7495:                             ;   in Loop: Header=BB6_6741 Depth=3
	s_and_not1_saveexec_b32 s13, s45
; %bb.7496:                             ;   in Loop: Header=BB6_6741 Depth=3
	v_or_b32_e32 v47, 0x7f, v16
; %bb.7497:                             ;   in Loop: Header=BB6_6741 Depth=3
	s_or_b32 exec_lo, exec_lo, s13
	v_and_b32_e32 v0, 0xff, v63
	v_dual_mov_b32 v18, 0 :: v_dual_mov_b32 v19, 0
	s_mov_b32 s13, exec_lo
	s_delay_alu instid0(VALU_DEP_2)
	v_cmpx_ne_u16_e32 0, v0
	s_cbranch_execz .LBB6_7505
; %bb.7498:                             ;   in Loop: Header=BB6_6741 Depth=3
	v_bfrev_b32_e32 v19, 1
	s_mov_b32 s45, exec_lo
	v_cmpx_ne_u16_e32 0x80, v0
	s_cbranch_execz .LBB6_7504
; %bb.7499:                             ;   in Loop: Header=BB6_6741 Depth=3
	v_and_b32_e32 v16, 0x7f, v63
	v_mov_b32_e32 v19, 0x7f800001
	s_mov_b32 s74, exec_lo
	s_delay_alu instid0(VALU_DEP_2)
	v_cmpx_ne_u32_e32 0x7f, v16
	s_cbranch_execz .LBB6_7503
; %bb.7500:                             ;   in Loop: Header=BB6_6741 Depth=3
	v_and_b32_e32 v2, 7, v0
	v_lshrrev_b32_e32 v0, 3, v16
	v_cmp_gt_u32_e32 vcc_lo, 8, v16
	s_delay_alu instid0(VALU_DEP_3)
	v_mov_b64_e32 v[16:17], v[2:3]
	s_and_saveexec_b32 s75, vcc_lo
; %bb.7501:                             ;   in Loop: Header=BB6_6741 Depth=3
	v_clz_i32_u32_e32 v0, v2
	s_delay_alu instid0(VALU_DEP_1) | instskip(NEXT) | instid1(VALU_DEP_1)
	v_min_u32_e32 v0, 32, v0
	v_subrev_nc_u32_e32 v16, 28, v0
	v_sub_nc_u32_e32 v0, 29, v0
	s_delay_alu instid0(VALU_DEP_2) | instskip(NEXT) | instid1(VALU_DEP_1)
	v_lshlrev_b64_e32 v[16:17], v16, v[2:3]
	v_and_b32_e32 v16, 7, v16
; %bb.7502:                             ;   in Loop: Header=BB6_6741 Depth=3
	s_or_b32 exec_lo, exec_lo, s75
	s_delay_alu instid0(VALU_DEP_1) | instskip(SKIP_1) | instid1(VALU_DEP_2)
	v_dual_lshlrev_b32 v2, 24, v63 :: v_dual_lshlrev_b32 v16, 20, v16
	v_lshl_add_u32 v0, v0, 23, 0x3c000000
	v_and_b32_e32 v2, 0x80000000, v2
	s_delay_alu instid0(VALU_DEP_1)
	v_or3_b32 v19, v16, v2, v0
.LBB6_7503:                             ;   in Loop: Header=BB6_6741 Depth=3
	s_or_b32 exec_lo, exec_lo, s74
.LBB6_7504:                             ;   in Loop: Header=BB6_6741 Depth=3
	s_delay_alu instid0(SALU_CYCLE_1)
	s_or_b32 exec_lo, exec_lo, s45
.LBB6_7505:                             ;   in Loop: Header=BB6_6741 Depth=3
	s_delay_alu instid0(SALU_CYCLE_1) | instskip(SKIP_3) | instid1(VALU_DEP_1)
	s_or_b32 exec_lo, exec_lo, s13
	s_wait_loadcnt_dscnt 0xa0a
	v_and_b32_e32 v0, 0xff, v59
	s_mov_b32 s13, exec_lo
	v_cmpx_ne_u16_e32 0, v0
	s_cbranch_execz .LBB6_7513
; %bb.7506:                             ;   in Loop: Header=BB6_6741 Depth=3
	v_bfrev_b32_e32 v18, 1
	s_mov_b32 s45, exec_lo
	v_cmpx_ne_u16_e32 0x80, v0
	s_cbranch_execz .LBB6_7512
; %bb.7507:                             ;   in Loop: Header=BB6_6741 Depth=3
	v_and_b32_e32 v16, 0x7f, v59
	v_mov_b32_e32 v18, 0x7f800001
	s_mov_b32 s74, exec_lo
	s_delay_alu instid0(VALU_DEP_2)
	v_cmpx_ne_u32_e32 0x7f, v16
	s_cbranch_execz .LBB6_7511
; %bb.7508:                             ;   in Loop: Header=BB6_6741 Depth=3
	v_and_b32_e32 v2, 7, v0
	v_lshrrev_b32_e32 v0, 3, v16
	v_cmp_gt_u32_e32 vcc_lo, 8, v16
	s_delay_alu instid0(VALU_DEP_3)
	v_mov_b64_e32 v[16:17], v[2:3]
	s_and_saveexec_b32 s75, vcc_lo
; %bb.7509:                             ;   in Loop: Header=BB6_6741 Depth=3
	v_clz_i32_u32_e32 v0, v2
	s_delay_alu instid0(VALU_DEP_1) | instskip(NEXT) | instid1(VALU_DEP_1)
	v_min_u32_e32 v0, 32, v0
	v_subrev_nc_u32_e32 v16, 28, v0
	v_sub_nc_u32_e32 v0, 29, v0
	s_delay_alu instid0(VALU_DEP_2) | instskip(NEXT) | instid1(VALU_DEP_1)
	v_lshlrev_b64_e32 v[16:17], v16, v[2:3]
	v_and_b32_e32 v16, 7, v16
; %bb.7510:                             ;   in Loop: Header=BB6_6741 Depth=3
	s_or_b32 exec_lo, exec_lo, s75
	s_delay_alu instid0(VALU_DEP_1) | instskip(SKIP_1) | instid1(VALU_DEP_2)
	v_dual_lshlrev_b32 v2, 24, v59 :: v_dual_lshlrev_b32 v16, 20, v16
	v_lshl_add_u32 v0, v0, 23, 0x3c000000
	v_and_b32_e32 v2, 0x80000000, v2
	s_delay_alu instid0(VALU_DEP_1)
	v_or3_b32 v18, v16, v2, v0
.LBB6_7511:                             ;   in Loop: Header=BB6_6741 Depth=3
	s_or_b32 exec_lo, exec_lo, s74
.LBB6_7512:                             ;   in Loop: Header=BB6_6741 Depth=3
	s_delay_alu instid0(SALU_CYCLE_1)
	s_or_b32 exec_lo, exec_lo, s45
.LBB6_7513:                             ;   in Loop: Header=BB6_6741 Depth=3
	s_delay_alu instid0(SALU_CYCLE_1) | instskip(NEXT) | instid1(VALU_DEP_1)
	s_or_b32 exec_lo, exec_lo, s13
	v_add_f32_e32 v0, v19, v18
                                        ; implicit-def: $vgpr59
	s_mov_b32 s13, exec_lo
	s_delay_alu instid0(VALU_DEP_1) | instskip(SKIP_1) | instid1(VALU_DEP_2)
	v_and_b32_e32 v2, 0x7f800000, v0
	v_lshrrev_b32_e32 v16, 24, v0
	v_cmpx_ne_u64_e32 0x7f800000, v[2:3]
	s_xor_b32 s45, exec_lo, s13
	s_cbranch_execz .LBB6_7531
; %bb.7514:                             ;   in Loop: Header=BB6_6741 Depth=3
	v_and_b32_e32 v2, 0x7fffffff, v0
	v_and_b32_e32 v66, 0x80, v16
                                        ; implicit-def: $vgpr59
	s_mov_b32 s13, exec_lo
	s_delay_alu instid0(VALU_DEP_2)
	v_cmpx_gt_u64_e32 0x43e00001, v[2:3]
	s_xor_b32 s74, exec_lo, s13
	s_cbranch_execz .LBB6_7528
; %bb.7515:                             ;   in Loop: Header=BB6_6741 Depth=3
	v_mov_b32_e32 v59, 0
	s_mov_b32 s75, exec_lo
	v_cmpx_ne_u32_e32 0, v0
	s_cbranch_execz .LBB6_7527
; %bb.7516:                             ;   in Loop: Header=BB6_6741 Depth=3
	v_bfe_u32 v67, v0, 23, 8
	v_and_b32_e32 v2, 0x7fffff, v0
	s_delay_alu instid0(VALU_DEP_2) | instskip(SKIP_2) | instid1(VALU_DEP_4)
	v_cmp_gt_u32_e64 s13, 0x7a, v67
	v_sub_nc_u32_e32 v0, 0x79, v67
	v_cmp_eq_u32_e32 vcc_lo, 0, v67
	v_or_b32_e32 v16, 0x800000, v2
	s_delay_alu instid0(VALU_DEP_1) | instskip(NEXT) | instid1(VALU_DEP_1)
	v_dual_cndmask_b32 v0, 0, v0, s13 :: v_dual_cndmask_b32 v2, v16, v2, vcc_lo
	v_cndmask_b32_e64 v0, v0, 0x78, vcc_lo
	s_delay_alu instid0(VALU_DEP_1) | instskip(NEXT) | instid1(VALU_DEP_1)
	v_dual_add_nc_u32 v16, 20, v0 :: v_dual_add_nc_u32 v18, 19, v0
	v_lshlrev_b64_e64 v[16:17], v16, -1
	s_delay_alu instid0(VALU_DEP_2) | instskip(NEXT) | instid1(VALU_DEP_2)
	v_lshlrev_b64_e64 v[18:19], v18, 1
	v_bfi_b32 v17, v17, 0, 0
	s_delay_alu instid0(VALU_DEP_3) | instskip(NEXT) | instid1(VALU_DEP_1)
	v_bfi_b32 v16, v16, 0, v2
	v_cmp_eq_u64_e64 s13, v[16:17], v[18:19]
	v_lshrrev_b64 v[16:17], v0, v[2:3]
	s_delay_alu instid0(VALU_DEP_1)
	v_mov_b64_e32 v[18:19], v[16:17]
	s_and_saveexec_b32 s76, s13
; %bb.7517:                             ;   in Loop: Header=BB6_6741 Depth=3
	v_bfe_u32 v2, v16, 20, 1
	s_delay_alu instid0(VALU_DEP_1) | instskip(NEXT) | instid1(VALU_DEP_1)
	v_add_nc_u64_e32 v[18:19], v[16:17], v[2:3]
	v_add_nc_u64_e32 v[18:19], -1, v[18:19]
; %bb.7518:                             ;   in Loop: Header=BB6_6741 Depth=3
	s_or_b32 exec_lo, exec_lo, s76
	v_add_nc_u32_e32 v2, 0xffffff81, v67
	v_lshrrev_b32_e32 v17, 23, v16
	s_mov_b32 s13, exec_lo
	s_delay_alu instid0(VALU_DEP_2) | instskip(NEXT) | instid1(VALU_DEP_1)
	v_cndmask_b32_e64 v2, v2, 0xffffff82, vcc_lo
	v_add3_u32 v19, v0, v2, v17
	v_and_b32_e32 v0, 0xfffff, v18
	s_delay_alu instid0(VALU_DEP_1) | instskip(NEXT) | instid1(VALU_DEP_1)
	v_dual_add_nc_u32 v18, 6, v19 :: v_dual_add_nc_u32 v2, v0, v16
                                        ; implicit-def: $vgpr16_vgpr17
                                        ; implicit-def: $vgpr0
	v_cmpx_ne_u32_e32 0, v18
	s_xor_b32 s13, exec_lo, s13
; %bb.7519:                             ;   in Loop: Header=BB6_6741 Depth=3
	s_delay_alu instid0(VALU_DEP_2) | instskip(SKIP_2) | instid1(VALU_DEP_2)
	v_cmp_lt_u64_e32 vcc_lo, 0xffffff, v[2:3]
	v_add_nc_u32_e32 v0, 7, v19
	v_cndmask_b32_e64 v16, 0, 1, vcc_lo
	v_cndmask_b32_e32 v0, v18, v0, vcc_lo
	s_delay_alu instid0(VALU_DEP_2)
	v_lshrrev_b64 v[16:17], v16, v[2:3]
; %bb.7520:                             ;   in Loop: Header=BB6_6741 Depth=3
	s_and_not1_saveexec_b32 s13, s13
; %bb.7521:                             ;   in Loop: Header=BB6_6741 Depth=3
	v_mov_b64_e32 v[16:17], v[2:3]
	v_bfe_u32 v0, v2, 23, 1
; %bb.7522:                             ;   in Loop: Header=BB6_6741 Depth=3
	s_or_b32 exec_lo, exec_lo, s13
	s_delay_alu instid0(VALU_DEP_2) | instskip(NEXT) | instid1(VALU_DEP_2)
	v_lshrrev_b64 v[16:17], 20, v[16:17]
	v_cmp_gt_i32_e32 vcc_lo, 16, v0
	v_cmp_ne_u32_e64 s13, 0, v0
                                        ; implicit-def: $vgpr59
	s_delay_alu instid0(VALU_DEP_3) | instskip(NEXT) | instid1(VALU_DEP_1)
	v_dual_cndmask_b32 v17, 0, v17 :: v_dual_cndmask_b32 v16, 7, v16
	v_cmp_ne_u64_e32 vcc_lo, 0, v[16:17]
	s_or_b32 s13, s13, vcc_lo
	s_delay_alu instid0(SALU_CYCLE_1) | instskip(NEXT) | instid1(SALU_CYCLE_1)
	s_and_saveexec_b32 s76, s13
	s_xor_b32 s13, exec_lo, s76
; %bb.7523:                             ;   in Loop: Header=BB6_6741 Depth=3
	v_min_i32_e32 v0, 15, v0
	s_delay_alu instid0(VALU_DEP_1) | instskip(NEXT) | instid1(VALU_DEP_1)
	v_lshl_or_b32 v0, v0, 3, v66
                                        ; implicit-def: $vgpr66
	v_and_or_b32 v59, v16, 7, v0
; %bb.7524:                             ;   in Loop: Header=BB6_6741 Depth=3
	s_and_not1_saveexec_b32 s13, s13
; %bb.7525:                             ;   in Loop: Header=BB6_6741 Depth=3
	v_mov_b32_e32 v59, v66
; %bb.7526:                             ;   in Loop: Header=BB6_6741 Depth=3
	s_or_b32 exec_lo, exec_lo, s13
.LBB6_7527:                             ;   in Loop: Header=BB6_6741 Depth=3
	s_delay_alu instid0(SALU_CYCLE_1)
	s_or_b32 exec_lo, exec_lo, s75
                                        ; implicit-def: $vgpr66
.LBB6_7528:                             ;   in Loop: Header=BB6_6741 Depth=3
	s_and_not1_saveexec_b32 s13, s74
; %bb.7529:                             ;   in Loop: Header=BB6_6741 Depth=3
	v_or_b32_e32 v59, 0x7e, v66
; %bb.7530:                             ;   in Loop: Header=BB6_6741 Depth=3
	s_or_b32 exec_lo, exec_lo, s13
                                        ; implicit-def: $vgpr16
.LBB6_7531:                             ;   in Loop: Header=BB6_6741 Depth=3
	s_and_not1_saveexec_b32 s13, s45
; %bb.7532:                             ;   in Loop: Header=BB6_6741 Depth=3
	v_or_b32_e32 v59, 0x7f, v16
; %bb.7533:                             ;   in Loop: Header=BB6_6741 Depth=3
	s_or_b32 exec_lo, exec_lo, s13
	v_and_b32_e32 v0, 0xff, v58
	v_dual_mov_b32 v18, 0 :: v_dual_mov_b32 v19, 0
	s_mov_b32 s13, exec_lo
	s_delay_alu instid0(VALU_DEP_2)
	v_cmpx_ne_u16_e32 0, v0
	s_cbranch_execz .LBB6_7541
; %bb.7534:                             ;   in Loop: Header=BB6_6741 Depth=3
	v_bfrev_b32_e32 v19, 1
	s_mov_b32 s45, exec_lo
	v_cmpx_ne_u16_e32 0x80, v0
	s_cbranch_execz .LBB6_7540
; %bb.7535:                             ;   in Loop: Header=BB6_6741 Depth=3
	v_and_b32_e32 v16, 0x7f, v58
	v_mov_b32_e32 v19, 0x7f800001
	s_mov_b32 s74, exec_lo
	s_delay_alu instid0(VALU_DEP_2)
	v_cmpx_ne_u32_e32 0x7f, v16
	s_cbranch_execz .LBB6_7539
; %bb.7536:                             ;   in Loop: Header=BB6_6741 Depth=3
	v_and_b32_e32 v2, 7, v0
	v_lshrrev_b32_e32 v0, 3, v16
	v_cmp_gt_u32_e32 vcc_lo, 8, v16
	s_delay_alu instid0(VALU_DEP_3)
	v_mov_b64_e32 v[16:17], v[2:3]
	s_and_saveexec_b32 s75, vcc_lo
; %bb.7537:                             ;   in Loop: Header=BB6_6741 Depth=3
	v_clz_i32_u32_e32 v0, v2
	s_delay_alu instid0(VALU_DEP_1) | instskip(NEXT) | instid1(VALU_DEP_1)
	v_min_u32_e32 v0, 32, v0
	v_subrev_nc_u32_e32 v16, 28, v0
	v_sub_nc_u32_e32 v0, 29, v0
	s_delay_alu instid0(VALU_DEP_2) | instskip(NEXT) | instid1(VALU_DEP_1)
	v_lshlrev_b64_e32 v[16:17], v16, v[2:3]
	v_and_b32_e32 v16, 7, v16
; %bb.7538:                             ;   in Loop: Header=BB6_6741 Depth=3
	s_or_b32 exec_lo, exec_lo, s75
	s_delay_alu instid0(VALU_DEP_1) | instskip(SKIP_1) | instid1(VALU_DEP_2)
	v_dual_lshlrev_b32 v2, 24, v58 :: v_dual_lshlrev_b32 v16, 20, v16
	v_lshl_add_u32 v0, v0, 23, 0x3c000000
	v_and_b32_e32 v2, 0x80000000, v2
	s_delay_alu instid0(VALU_DEP_1)
	v_or3_b32 v19, v16, v2, v0
.LBB6_7539:                             ;   in Loop: Header=BB6_6741 Depth=3
	s_or_b32 exec_lo, exec_lo, s74
.LBB6_7540:                             ;   in Loop: Header=BB6_6741 Depth=3
	s_delay_alu instid0(SALU_CYCLE_1)
	s_or_b32 exec_lo, exec_lo, s45
.LBB6_7541:                             ;   in Loop: Header=BB6_6741 Depth=3
	s_delay_alu instid0(SALU_CYCLE_1) | instskip(SKIP_3) | instid1(VALU_DEP_1)
	s_or_b32 exec_lo, exec_lo, s13
	s_wait_loadcnt_dscnt 0x909
	v_and_b32_e32 v0, 0xff, v100
	s_mov_b32 s13, exec_lo
	v_cmpx_ne_u16_e32 0, v0
	s_cbranch_execz .LBB6_7549
; %bb.7542:                             ;   in Loop: Header=BB6_6741 Depth=3
	v_bfrev_b32_e32 v18, 1
	s_mov_b32 s45, exec_lo
	v_cmpx_ne_u16_e32 0x80, v0
	s_cbranch_execz .LBB6_7548
; %bb.7543:                             ;   in Loop: Header=BB6_6741 Depth=3
	v_and_b32_e32 v16, 0x7f, v100
	v_mov_b32_e32 v18, 0x7f800001
	s_mov_b32 s74, exec_lo
	s_delay_alu instid0(VALU_DEP_2)
	v_cmpx_ne_u32_e32 0x7f, v16
	s_cbranch_execz .LBB6_7547
; %bb.7544:                             ;   in Loop: Header=BB6_6741 Depth=3
	v_and_b32_e32 v2, 7, v0
	v_lshrrev_b32_e32 v0, 3, v16
	v_cmp_gt_u32_e32 vcc_lo, 8, v16
	s_delay_alu instid0(VALU_DEP_3)
	v_mov_b64_e32 v[16:17], v[2:3]
	s_and_saveexec_b32 s75, vcc_lo
; %bb.7545:                             ;   in Loop: Header=BB6_6741 Depth=3
	v_clz_i32_u32_e32 v0, v2
	s_delay_alu instid0(VALU_DEP_1) | instskip(NEXT) | instid1(VALU_DEP_1)
	v_min_u32_e32 v0, 32, v0
	v_subrev_nc_u32_e32 v16, 28, v0
	v_sub_nc_u32_e32 v0, 29, v0
	s_delay_alu instid0(VALU_DEP_2) | instskip(NEXT) | instid1(VALU_DEP_1)
	v_lshlrev_b64_e32 v[16:17], v16, v[2:3]
	v_and_b32_e32 v16, 7, v16
; %bb.7546:                             ;   in Loop: Header=BB6_6741 Depth=3
	s_or_b32 exec_lo, exec_lo, s75
	v_lshlrev_b32_e32 v2, 24, v100
	s_delay_alu instid0(VALU_DEP_2) | instskip(SKIP_1) | instid1(VALU_DEP_3)
	v_lshlrev_b32_e32 v16, 20, v16
	v_lshl_add_u32 v0, v0, 23, 0x3c000000
	v_and_b32_e32 v2, 0x80000000, v2
	s_delay_alu instid0(VALU_DEP_1)
	v_or3_b32 v18, v16, v2, v0
.LBB6_7547:                             ;   in Loop: Header=BB6_6741 Depth=3
	s_or_b32 exec_lo, exec_lo, s74
.LBB6_7548:                             ;   in Loop: Header=BB6_6741 Depth=3
	s_delay_alu instid0(SALU_CYCLE_1)
	s_or_b32 exec_lo, exec_lo, s45
.LBB6_7549:                             ;   in Loop: Header=BB6_6741 Depth=3
	s_delay_alu instid0(SALU_CYCLE_1) | instskip(NEXT) | instid1(VALU_DEP_1)
	s_or_b32 exec_lo, exec_lo, s13
	v_add_f32_e32 v0, v19, v18
                                        ; implicit-def: $vgpr100
	s_mov_b32 s13, exec_lo
	s_delay_alu instid0(VALU_DEP_1) | instskip(SKIP_1) | instid1(VALU_DEP_2)
	v_and_b32_e32 v2, 0x7f800000, v0
	v_lshrrev_b32_e32 v16, 24, v0
	v_cmpx_ne_u64_e32 0x7f800000, v[2:3]
	s_xor_b32 s45, exec_lo, s13
	s_cbranch_execz .LBB6_7567
; %bb.7550:                             ;   in Loop: Header=BB6_6741 Depth=3
	v_and_b32_e32 v2, 0x7fffffff, v0
	v_and_b32_e32 v66, 0x80, v16
                                        ; implicit-def: $vgpr100
	s_mov_b32 s13, exec_lo
	s_delay_alu instid0(VALU_DEP_2)
	v_cmpx_gt_u64_e32 0x43e00001, v[2:3]
	s_xor_b32 s74, exec_lo, s13
	s_cbranch_execz .LBB6_7564
; %bb.7551:                             ;   in Loop: Header=BB6_6741 Depth=3
	v_mov_b32_e32 v100, 0
	s_mov_b32 s75, exec_lo
	v_cmpx_ne_u32_e32 0, v0
	s_cbranch_execz .LBB6_7563
; %bb.7552:                             ;   in Loop: Header=BB6_6741 Depth=3
	v_bfe_u32 v67, v0, 23, 8
	v_and_b32_e32 v2, 0x7fffff, v0
	s_delay_alu instid0(VALU_DEP_2) | instskip(SKIP_2) | instid1(VALU_DEP_4)
	v_cmp_gt_u32_e64 s13, 0x7a, v67
	v_sub_nc_u32_e32 v0, 0x79, v67
	v_cmp_eq_u32_e32 vcc_lo, 0, v67
	v_or_b32_e32 v16, 0x800000, v2
	s_delay_alu instid0(VALU_DEP_1) | instskip(NEXT) | instid1(VALU_DEP_1)
	v_dual_cndmask_b32 v0, 0, v0, s13 :: v_dual_cndmask_b32 v2, v16, v2, vcc_lo
	v_cndmask_b32_e64 v0, v0, 0x78, vcc_lo
	s_delay_alu instid0(VALU_DEP_1) | instskip(NEXT) | instid1(VALU_DEP_1)
	v_dual_add_nc_u32 v16, 20, v0 :: v_dual_add_nc_u32 v18, 19, v0
	v_lshlrev_b64_e64 v[16:17], v16, -1
	s_delay_alu instid0(VALU_DEP_2) | instskip(NEXT) | instid1(VALU_DEP_2)
	v_lshlrev_b64_e64 v[18:19], v18, 1
	v_bfi_b32 v17, v17, 0, 0
	s_delay_alu instid0(VALU_DEP_3) | instskip(NEXT) | instid1(VALU_DEP_1)
	v_bfi_b32 v16, v16, 0, v2
	v_cmp_eq_u64_e64 s13, v[16:17], v[18:19]
	v_lshrrev_b64 v[16:17], v0, v[2:3]
	s_delay_alu instid0(VALU_DEP_1)
	v_mov_b64_e32 v[18:19], v[16:17]
	s_and_saveexec_b32 s76, s13
; %bb.7553:                             ;   in Loop: Header=BB6_6741 Depth=3
	v_bfe_u32 v2, v16, 20, 1
	s_delay_alu instid0(VALU_DEP_1) | instskip(NEXT) | instid1(VALU_DEP_1)
	v_add_nc_u64_e32 v[18:19], v[16:17], v[2:3]
	v_add_nc_u64_e32 v[18:19], -1, v[18:19]
; %bb.7554:                             ;   in Loop: Header=BB6_6741 Depth=3
	s_or_b32 exec_lo, exec_lo, s76
	v_add_nc_u32_e32 v2, 0xffffff81, v67
	v_lshrrev_b32_e32 v17, 23, v16
	s_mov_b32 s13, exec_lo
	s_delay_alu instid0(VALU_DEP_2) | instskip(NEXT) | instid1(VALU_DEP_1)
	v_cndmask_b32_e64 v2, v2, 0xffffff82, vcc_lo
	v_add3_u32 v19, v0, v2, v17
	v_and_b32_e32 v0, 0xfffff, v18
	s_delay_alu instid0(VALU_DEP_1) | instskip(NEXT) | instid1(VALU_DEP_1)
	v_dual_add_nc_u32 v18, 6, v19 :: v_dual_add_nc_u32 v2, v0, v16
                                        ; implicit-def: $vgpr16_vgpr17
                                        ; implicit-def: $vgpr0
	v_cmpx_ne_u32_e32 0, v18
	s_xor_b32 s13, exec_lo, s13
; %bb.7555:                             ;   in Loop: Header=BB6_6741 Depth=3
	s_delay_alu instid0(VALU_DEP_2) | instskip(SKIP_2) | instid1(VALU_DEP_2)
	v_cmp_lt_u64_e32 vcc_lo, 0xffffff, v[2:3]
	v_add_nc_u32_e32 v0, 7, v19
	v_cndmask_b32_e64 v16, 0, 1, vcc_lo
	v_cndmask_b32_e32 v0, v18, v0, vcc_lo
	s_delay_alu instid0(VALU_DEP_2)
	v_lshrrev_b64 v[16:17], v16, v[2:3]
; %bb.7556:                             ;   in Loop: Header=BB6_6741 Depth=3
	s_and_not1_saveexec_b32 s13, s13
; %bb.7557:                             ;   in Loop: Header=BB6_6741 Depth=3
	v_mov_b64_e32 v[16:17], v[2:3]
	v_bfe_u32 v0, v2, 23, 1
; %bb.7558:                             ;   in Loop: Header=BB6_6741 Depth=3
	s_or_b32 exec_lo, exec_lo, s13
	s_delay_alu instid0(VALU_DEP_2) | instskip(NEXT) | instid1(VALU_DEP_2)
	v_lshrrev_b64 v[16:17], 20, v[16:17]
	v_cmp_gt_i32_e32 vcc_lo, 16, v0
	v_cmp_ne_u32_e64 s13, 0, v0
                                        ; implicit-def: $vgpr100
	s_delay_alu instid0(VALU_DEP_3) | instskip(NEXT) | instid1(VALU_DEP_1)
	v_dual_cndmask_b32 v17, 0, v17 :: v_dual_cndmask_b32 v16, 7, v16
	v_cmp_ne_u64_e32 vcc_lo, 0, v[16:17]
	s_or_b32 s13, s13, vcc_lo
	s_delay_alu instid0(SALU_CYCLE_1) | instskip(NEXT) | instid1(SALU_CYCLE_1)
	s_and_saveexec_b32 s76, s13
	s_xor_b32 s13, exec_lo, s76
; %bb.7559:                             ;   in Loop: Header=BB6_6741 Depth=3
	v_min_i32_e32 v0, 15, v0
	s_delay_alu instid0(VALU_DEP_1) | instskip(NEXT) | instid1(VALU_DEP_1)
	v_lshl_or_b32 v0, v0, 3, v66
                                        ; implicit-def: $vgpr66
	v_and_or_b32 v100, v16, 7, v0
; %bb.7560:                             ;   in Loop: Header=BB6_6741 Depth=3
	s_and_not1_saveexec_b32 s13, s13
; %bb.7561:                             ;   in Loop: Header=BB6_6741 Depth=3
	v_mov_b32_e32 v100, v66
; %bb.7562:                             ;   in Loop: Header=BB6_6741 Depth=3
	s_or_b32 exec_lo, exec_lo, s13
.LBB6_7563:                             ;   in Loop: Header=BB6_6741 Depth=3
	s_delay_alu instid0(SALU_CYCLE_1)
	s_or_b32 exec_lo, exec_lo, s75
                                        ; implicit-def: $vgpr66
.LBB6_7564:                             ;   in Loop: Header=BB6_6741 Depth=3
	s_and_not1_saveexec_b32 s13, s74
; %bb.7565:                             ;   in Loop: Header=BB6_6741 Depth=3
	v_or_b32_e32 v100, 0x7e, v66
; %bb.7566:                             ;   in Loop: Header=BB6_6741 Depth=3
	s_or_b32 exec_lo, exec_lo, s13
                                        ; implicit-def: $vgpr16
.LBB6_7567:                             ;   in Loop: Header=BB6_6741 Depth=3
	s_and_not1_saveexec_b32 s13, s45
; %bb.7568:                             ;   in Loop: Header=BB6_6741 Depth=3
	v_or_b32_e32 v100, 0x7f, v16
; %bb.7569:                             ;   in Loop: Header=BB6_6741 Depth=3
	s_or_b32 exec_lo, exec_lo, s13
	v_and_b32_e32 v0, 0xff, v99
	v_dual_mov_b32 v18, 0 :: v_dual_mov_b32 v19, 0
	s_mov_b32 s13, exec_lo
	s_delay_alu instid0(VALU_DEP_2)
	v_cmpx_ne_u16_e32 0, v0
	s_cbranch_execz .LBB6_7577
; %bb.7570:                             ;   in Loop: Header=BB6_6741 Depth=3
	v_bfrev_b32_e32 v19, 1
	s_mov_b32 s45, exec_lo
	v_cmpx_ne_u16_e32 0x80, v0
	s_cbranch_execz .LBB6_7576
; %bb.7571:                             ;   in Loop: Header=BB6_6741 Depth=3
	v_and_b32_e32 v16, 0x7f, v99
	v_mov_b32_e32 v19, 0x7f800001
	s_mov_b32 s74, exec_lo
	s_delay_alu instid0(VALU_DEP_2)
	v_cmpx_ne_u32_e32 0x7f, v16
	s_cbranch_execz .LBB6_7575
; %bb.7572:                             ;   in Loop: Header=BB6_6741 Depth=3
	v_and_b32_e32 v2, 7, v0
	v_lshrrev_b32_e32 v0, 3, v16
	v_cmp_gt_u32_e32 vcc_lo, 8, v16
	s_delay_alu instid0(VALU_DEP_3)
	v_mov_b64_e32 v[16:17], v[2:3]
	s_and_saveexec_b32 s75, vcc_lo
; %bb.7573:                             ;   in Loop: Header=BB6_6741 Depth=3
	v_clz_i32_u32_e32 v0, v2
	s_delay_alu instid0(VALU_DEP_1) | instskip(NEXT) | instid1(VALU_DEP_1)
	v_min_u32_e32 v0, 32, v0
	v_subrev_nc_u32_e32 v16, 28, v0
	v_sub_nc_u32_e32 v0, 29, v0
	s_delay_alu instid0(VALU_DEP_2) | instskip(NEXT) | instid1(VALU_DEP_1)
	v_lshlrev_b64_e32 v[16:17], v16, v[2:3]
	v_and_b32_e32 v16, 7, v16
; %bb.7574:                             ;   in Loop: Header=BB6_6741 Depth=3
	s_or_b32 exec_lo, exec_lo, s75
	s_delay_alu instid0(VALU_DEP_1) | instskip(SKIP_1) | instid1(VALU_DEP_2)
	v_dual_lshlrev_b32 v2, 24, v99 :: v_dual_lshlrev_b32 v16, 20, v16
	v_lshl_add_u32 v0, v0, 23, 0x3c000000
	v_and_b32_e32 v2, 0x80000000, v2
	s_delay_alu instid0(VALU_DEP_1)
	v_or3_b32 v19, v16, v2, v0
.LBB6_7575:                             ;   in Loop: Header=BB6_6741 Depth=3
	s_or_b32 exec_lo, exec_lo, s74
.LBB6_7576:                             ;   in Loop: Header=BB6_6741 Depth=3
	s_delay_alu instid0(SALU_CYCLE_1)
	s_or_b32 exec_lo, exec_lo, s45
.LBB6_7577:                             ;   in Loop: Header=BB6_6741 Depth=3
	s_delay_alu instid0(SALU_CYCLE_1) | instskip(SKIP_3) | instid1(VALU_DEP_1)
	s_or_b32 exec_lo, exec_lo, s13
	s_wait_loadcnt_dscnt 0x808
	v_and_b32_e32 v0, 0xff, v97
	s_mov_b32 s13, exec_lo
	v_cmpx_ne_u16_e32 0, v0
	s_cbranch_execz .LBB6_7585
; %bb.7578:                             ;   in Loop: Header=BB6_6741 Depth=3
	v_bfrev_b32_e32 v18, 1
	s_mov_b32 s45, exec_lo
	v_cmpx_ne_u16_e32 0x80, v0
	s_cbranch_execz .LBB6_7584
; %bb.7579:                             ;   in Loop: Header=BB6_6741 Depth=3
	v_and_b32_e32 v16, 0x7f, v97
	v_mov_b32_e32 v18, 0x7f800001
	s_mov_b32 s74, exec_lo
	s_delay_alu instid0(VALU_DEP_2)
	v_cmpx_ne_u32_e32 0x7f, v16
	s_cbranch_execz .LBB6_7583
; %bb.7580:                             ;   in Loop: Header=BB6_6741 Depth=3
	v_and_b32_e32 v2, 7, v0
	v_lshrrev_b32_e32 v0, 3, v16
	v_cmp_gt_u32_e32 vcc_lo, 8, v16
	s_delay_alu instid0(VALU_DEP_3)
	v_mov_b64_e32 v[16:17], v[2:3]
	s_and_saveexec_b32 s75, vcc_lo
; %bb.7581:                             ;   in Loop: Header=BB6_6741 Depth=3
	v_clz_i32_u32_e32 v0, v2
	s_delay_alu instid0(VALU_DEP_1) | instskip(NEXT) | instid1(VALU_DEP_1)
	v_min_u32_e32 v0, 32, v0
	v_subrev_nc_u32_e32 v16, 28, v0
	v_sub_nc_u32_e32 v0, 29, v0
	s_delay_alu instid0(VALU_DEP_2) | instskip(NEXT) | instid1(VALU_DEP_1)
	v_lshlrev_b64_e32 v[16:17], v16, v[2:3]
	v_and_b32_e32 v16, 7, v16
; %bb.7582:                             ;   in Loop: Header=BB6_6741 Depth=3
	s_or_b32 exec_lo, exec_lo, s75
	s_delay_alu instid0(VALU_DEP_1) | instskip(SKIP_1) | instid1(VALU_DEP_2)
	v_dual_lshlrev_b32 v2, 24, v97 :: v_dual_lshlrev_b32 v16, 20, v16
	v_lshl_add_u32 v0, v0, 23, 0x3c000000
	v_and_b32_e32 v2, 0x80000000, v2
	s_delay_alu instid0(VALU_DEP_1)
	v_or3_b32 v18, v16, v2, v0
.LBB6_7583:                             ;   in Loop: Header=BB6_6741 Depth=3
	s_or_b32 exec_lo, exec_lo, s74
.LBB6_7584:                             ;   in Loop: Header=BB6_6741 Depth=3
	s_delay_alu instid0(SALU_CYCLE_1)
	s_or_b32 exec_lo, exec_lo, s45
.LBB6_7585:                             ;   in Loop: Header=BB6_6741 Depth=3
	s_delay_alu instid0(SALU_CYCLE_1) | instskip(NEXT) | instid1(VALU_DEP_1)
	s_or_b32 exec_lo, exec_lo, s13
	v_add_f32_e32 v0, v19, v18
                                        ; implicit-def: $vgpr97
	s_mov_b32 s13, exec_lo
	s_delay_alu instid0(VALU_DEP_1) | instskip(SKIP_1) | instid1(VALU_DEP_2)
	v_and_b32_e32 v2, 0x7f800000, v0
	v_lshrrev_b32_e32 v16, 24, v0
	v_cmpx_ne_u64_e32 0x7f800000, v[2:3]
	s_xor_b32 s45, exec_lo, s13
	s_cbranch_execz .LBB6_7603
; %bb.7586:                             ;   in Loop: Header=BB6_6741 Depth=3
	v_and_b32_e32 v2, 0x7fffffff, v0
	v_and_b32_e32 v66, 0x80, v16
                                        ; implicit-def: $vgpr97
	s_mov_b32 s13, exec_lo
	s_delay_alu instid0(VALU_DEP_2)
	v_cmpx_gt_u64_e32 0x43e00001, v[2:3]
	s_xor_b32 s74, exec_lo, s13
	s_cbranch_execz .LBB6_7600
; %bb.7587:                             ;   in Loop: Header=BB6_6741 Depth=3
	v_mov_b32_e32 v97, 0
	s_mov_b32 s75, exec_lo
	v_cmpx_ne_u32_e32 0, v0
	s_cbranch_execz .LBB6_7599
; %bb.7588:                             ;   in Loop: Header=BB6_6741 Depth=3
	v_bfe_u32 v67, v0, 23, 8
	v_and_b32_e32 v2, 0x7fffff, v0
	s_delay_alu instid0(VALU_DEP_2) | instskip(SKIP_2) | instid1(VALU_DEP_4)
	v_cmp_gt_u32_e64 s13, 0x7a, v67
	v_sub_nc_u32_e32 v0, 0x79, v67
	v_cmp_eq_u32_e32 vcc_lo, 0, v67
	v_or_b32_e32 v16, 0x800000, v2
	s_delay_alu instid0(VALU_DEP_1) | instskip(NEXT) | instid1(VALU_DEP_1)
	v_dual_cndmask_b32 v0, 0, v0, s13 :: v_dual_cndmask_b32 v2, v16, v2, vcc_lo
	v_cndmask_b32_e64 v0, v0, 0x78, vcc_lo
	s_delay_alu instid0(VALU_DEP_1) | instskip(NEXT) | instid1(VALU_DEP_1)
	v_dual_add_nc_u32 v16, 20, v0 :: v_dual_add_nc_u32 v18, 19, v0
	v_lshlrev_b64_e64 v[16:17], v16, -1
	s_delay_alu instid0(VALU_DEP_2) | instskip(NEXT) | instid1(VALU_DEP_2)
	v_lshlrev_b64_e64 v[18:19], v18, 1
	v_bfi_b32 v17, v17, 0, 0
	s_delay_alu instid0(VALU_DEP_3) | instskip(NEXT) | instid1(VALU_DEP_1)
	v_bfi_b32 v16, v16, 0, v2
	v_cmp_eq_u64_e64 s13, v[16:17], v[18:19]
	v_lshrrev_b64 v[16:17], v0, v[2:3]
	s_delay_alu instid0(VALU_DEP_1)
	v_mov_b64_e32 v[18:19], v[16:17]
	s_and_saveexec_b32 s76, s13
; %bb.7589:                             ;   in Loop: Header=BB6_6741 Depth=3
	v_bfe_u32 v2, v16, 20, 1
	s_delay_alu instid0(VALU_DEP_1) | instskip(NEXT) | instid1(VALU_DEP_1)
	v_add_nc_u64_e32 v[18:19], v[16:17], v[2:3]
	v_add_nc_u64_e32 v[18:19], -1, v[18:19]
; %bb.7590:                             ;   in Loop: Header=BB6_6741 Depth=3
	s_or_b32 exec_lo, exec_lo, s76
	v_add_nc_u32_e32 v2, 0xffffff81, v67
	v_lshrrev_b32_e32 v17, 23, v16
	s_mov_b32 s13, exec_lo
	s_delay_alu instid0(VALU_DEP_2) | instskip(NEXT) | instid1(VALU_DEP_1)
	v_cndmask_b32_e64 v2, v2, 0xffffff82, vcc_lo
	v_add3_u32 v19, v0, v2, v17
	v_and_b32_e32 v0, 0xfffff, v18
	s_delay_alu instid0(VALU_DEP_1) | instskip(NEXT) | instid1(VALU_DEP_1)
	v_dual_add_nc_u32 v18, 6, v19 :: v_dual_add_nc_u32 v2, v0, v16
                                        ; implicit-def: $vgpr16_vgpr17
                                        ; implicit-def: $vgpr0
	v_cmpx_ne_u32_e32 0, v18
	s_xor_b32 s13, exec_lo, s13
; %bb.7591:                             ;   in Loop: Header=BB6_6741 Depth=3
	s_delay_alu instid0(VALU_DEP_2) | instskip(SKIP_2) | instid1(VALU_DEP_2)
	v_cmp_lt_u64_e32 vcc_lo, 0xffffff, v[2:3]
	v_add_nc_u32_e32 v0, 7, v19
	v_cndmask_b32_e64 v16, 0, 1, vcc_lo
	v_cndmask_b32_e32 v0, v18, v0, vcc_lo
	s_delay_alu instid0(VALU_DEP_2)
	v_lshrrev_b64 v[16:17], v16, v[2:3]
; %bb.7592:                             ;   in Loop: Header=BB6_6741 Depth=3
	s_and_not1_saveexec_b32 s13, s13
; %bb.7593:                             ;   in Loop: Header=BB6_6741 Depth=3
	v_mov_b64_e32 v[16:17], v[2:3]
	v_bfe_u32 v0, v2, 23, 1
; %bb.7594:                             ;   in Loop: Header=BB6_6741 Depth=3
	s_or_b32 exec_lo, exec_lo, s13
	s_delay_alu instid0(VALU_DEP_2) | instskip(NEXT) | instid1(VALU_DEP_2)
	v_lshrrev_b64 v[16:17], 20, v[16:17]
	v_cmp_gt_i32_e32 vcc_lo, 16, v0
	v_cmp_ne_u32_e64 s13, 0, v0
                                        ; implicit-def: $vgpr97
	s_delay_alu instid0(VALU_DEP_3) | instskip(NEXT) | instid1(VALU_DEP_1)
	v_dual_cndmask_b32 v17, 0, v17 :: v_dual_cndmask_b32 v16, 7, v16
	v_cmp_ne_u64_e32 vcc_lo, 0, v[16:17]
	s_or_b32 s13, s13, vcc_lo
	s_delay_alu instid0(SALU_CYCLE_1) | instskip(NEXT) | instid1(SALU_CYCLE_1)
	s_and_saveexec_b32 s76, s13
	s_xor_b32 s13, exec_lo, s76
; %bb.7595:                             ;   in Loop: Header=BB6_6741 Depth=3
	v_min_i32_e32 v0, 15, v0
	s_delay_alu instid0(VALU_DEP_1) | instskip(NEXT) | instid1(VALU_DEP_1)
	v_lshl_or_b32 v0, v0, 3, v66
                                        ; implicit-def: $vgpr66
	v_and_or_b32 v97, v16, 7, v0
; %bb.7596:                             ;   in Loop: Header=BB6_6741 Depth=3
	s_and_not1_saveexec_b32 s13, s13
; %bb.7597:                             ;   in Loop: Header=BB6_6741 Depth=3
	v_mov_b32_e32 v97, v66
; %bb.7598:                             ;   in Loop: Header=BB6_6741 Depth=3
	s_or_b32 exec_lo, exec_lo, s13
.LBB6_7599:                             ;   in Loop: Header=BB6_6741 Depth=3
	s_delay_alu instid0(SALU_CYCLE_1)
	s_or_b32 exec_lo, exec_lo, s75
                                        ; implicit-def: $vgpr66
.LBB6_7600:                             ;   in Loop: Header=BB6_6741 Depth=3
	s_and_not1_saveexec_b32 s13, s74
; %bb.7601:                             ;   in Loop: Header=BB6_6741 Depth=3
	v_or_b32_e32 v97, 0x7e, v66
; %bb.7602:                             ;   in Loop: Header=BB6_6741 Depth=3
	s_or_b32 exec_lo, exec_lo, s13
                                        ; implicit-def: $vgpr16
.LBB6_7603:                             ;   in Loop: Header=BB6_6741 Depth=3
	s_and_not1_saveexec_b32 s13, s45
; %bb.7604:                             ;   in Loop: Header=BB6_6741 Depth=3
	v_or_b32_e32 v97, 0x7f, v16
; %bb.7605:                             ;   in Loop: Header=BB6_6741 Depth=3
	s_or_b32 exec_lo, exec_lo, s13
	v_and_b32_e32 v0, 0xff, v96
	v_dual_mov_b32 v18, 0 :: v_dual_mov_b32 v19, 0
	s_mov_b32 s13, exec_lo
	s_delay_alu instid0(VALU_DEP_2)
	v_cmpx_ne_u16_e32 0, v0
	s_cbranch_execz .LBB6_7613
; %bb.7606:                             ;   in Loop: Header=BB6_6741 Depth=3
	v_bfrev_b32_e32 v19, 1
	s_mov_b32 s45, exec_lo
	v_cmpx_ne_u16_e32 0x80, v0
	s_cbranch_execz .LBB6_7612
; %bb.7607:                             ;   in Loop: Header=BB6_6741 Depth=3
	v_and_b32_e32 v16, 0x7f, v96
	v_mov_b32_e32 v19, 0x7f800001
	s_mov_b32 s74, exec_lo
	s_delay_alu instid0(VALU_DEP_2)
	v_cmpx_ne_u32_e32 0x7f, v16
	s_cbranch_execz .LBB6_7611
; %bb.7608:                             ;   in Loop: Header=BB6_6741 Depth=3
	v_and_b32_e32 v2, 7, v0
	v_lshrrev_b32_e32 v0, 3, v16
	v_cmp_gt_u32_e32 vcc_lo, 8, v16
	s_delay_alu instid0(VALU_DEP_3)
	v_mov_b64_e32 v[16:17], v[2:3]
	s_and_saveexec_b32 s75, vcc_lo
; %bb.7609:                             ;   in Loop: Header=BB6_6741 Depth=3
	v_clz_i32_u32_e32 v0, v2
	s_delay_alu instid0(VALU_DEP_1) | instskip(NEXT) | instid1(VALU_DEP_1)
	v_min_u32_e32 v0, 32, v0
	v_subrev_nc_u32_e32 v16, 28, v0
	v_sub_nc_u32_e32 v0, 29, v0
	s_delay_alu instid0(VALU_DEP_2) | instskip(NEXT) | instid1(VALU_DEP_1)
	v_lshlrev_b64_e32 v[16:17], v16, v[2:3]
	v_and_b32_e32 v16, 7, v16
; %bb.7610:                             ;   in Loop: Header=BB6_6741 Depth=3
	s_or_b32 exec_lo, exec_lo, s75
	v_lshlrev_b32_e32 v2, 24, v96
	s_delay_alu instid0(VALU_DEP_2) | instskip(SKIP_1) | instid1(VALU_DEP_3)
	v_lshlrev_b32_e32 v16, 20, v16
	v_lshl_add_u32 v0, v0, 23, 0x3c000000
	v_and_b32_e32 v2, 0x80000000, v2
	s_delay_alu instid0(VALU_DEP_1)
	v_or3_b32 v19, v16, v2, v0
.LBB6_7611:                             ;   in Loop: Header=BB6_6741 Depth=3
	s_or_b32 exec_lo, exec_lo, s74
.LBB6_7612:                             ;   in Loop: Header=BB6_6741 Depth=3
	s_delay_alu instid0(SALU_CYCLE_1)
	s_or_b32 exec_lo, exec_lo, s45
.LBB6_7613:                             ;   in Loop: Header=BB6_6741 Depth=3
	s_delay_alu instid0(SALU_CYCLE_1) | instskip(SKIP_3) | instid1(VALU_DEP_1)
	s_or_b32 exec_lo, exec_lo, s13
	s_wait_loadcnt_dscnt 0x707
	v_and_b32_e32 v0, 0xff, v54
	s_mov_b32 s13, exec_lo
	v_cmpx_ne_u16_e32 0, v0
	s_cbranch_execz .LBB6_7621
; %bb.7614:                             ;   in Loop: Header=BB6_6741 Depth=3
	v_bfrev_b32_e32 v18, 1
	s_mov_b32 s45, exec_lo
	v_cmpx_ne_u16_e32 0x80, v0
	s_cbranch_execz .LBB6_7620
; %bb.7615:                             ;   in Loop: Header=BB6_6741 Depth=3
	v_and_b32_e32 v16, 0x7f, v54
	v_mov_b32_e32 v18, 0x7f800001
	s_mov_b32 s74, exec_lo
	s_delay_alu instid0(VALU_DEP_2)
	v_cmpx_ne_u32_e32 0x7f, v16
	s_cbranch_execz .LBB6_7619
; %bb.7616:                             ;   in Loop: Header=BB6_6741 Depth=3
	v_and_b32_e32 v2, 7, v0
	v_lshrrev_b32_e32 v0, 3, v16
	v_cmp_gt_u32_e32 vcc_lo, 8, v16
	s_delay_alu instid0(VALU_DEP_3)
	v_mov_b64_e32 v[16:17], v[2:3]
	s_and_saveexec_b32 s75, vcc_lo
; %bb.7617:                             ;   in Loop: Header=BB6_6741 Depth=3
	v_clz_i32_u32_e32 v0, v2
	s_delay_alu instid0(VALU_DEP_1) | instskip(NEXT) | instid1(VALU_DEP_1)
	v_min_u32_e32 v0, 32, v0
	v_subrev_nc_u32_e32 v16, 28, v0
	v_sub_nc_u32_e32 v0, 29, v0
	s_delay_alu instid0(VALU_DEP_2) | instskip(NEXT) | instid1(VALU_DEP_1)
	v_lshlrev_b64_e32 v[16:17], v16, v[2:3]
	v_and_b32_e32 v16, 7, v16
; %bb.7618:                             ;   in Loop: Header=BB6_6741 Depth=3
	s_or_b32 exec_lo, exec_lo, s75
	s_delay_alu instid0(VALU_DEP_1) | instskip(SKIP_1) | instid1(VALU_DEP_2)
	v_dual_lshlrev_b32 v2, 24, v54 :: v_dual_lshlrev_b32 v16, 20, v16
	v_lshl_add_u32 v0, v0, 23, 0x3c000000
	v_and_b32_e32 v2, 0x80000000, v2
	s_delay_alu instid0(VALU_DEP_1)
	v_or3_b32 v18, v16, v2, v0
.LBB6_7619:                             ;   in Loop: Header=BB6_6741 Depth=3
	s_or_b32 exec_lo, exec_lo, s74
.LBB6_7620:                             ;   in Loop: Header=BB6_6741 Depth=3
	s_delay_alu instid0(SALU_CYCLE_1)
	s_or_b32 exec_lo, exec_lo, s45
.LBB6_7621:                             ;   in Loop: Header=BB6_6741 Depth=3
	s_delay_alu instid0(SALU_CYCLE_1) | instskip(NEXT) | instid1(VALU_DEP_1)
	s_or_b32 exec_lo, exec_lo, s13
	v_add_f32_e32 v0, v19, v18
                                        ; implicit-def: $vgpr54
	s_mov_b32 s13, exec_lo
	s_delay_alu instid0(VALU_DEP_1) | instskip(SKIP_1) | instid1(VALU_DEP_2)
	v_and_b32_e32 v2, 0x7f800000, v0
	v_lshrrev_b32_e32 v16, 24, v0
	v_cmpx_ne_u64_e32 0x7f800000, v[2:3]
	s_xor_b32 s45, exec_lo, s13
	s_cbranch_execz .LBB6_7639
; %bb.7622:                             ;   in Loop: Header=BB6_6741 Depth=3
	v_and_b32_e32 v2, 0x7fffffff, v0
	v_and_b32_e32 v66, 0x80, v16
                                        ; implicit-def: $vgpr54
	s_mov_b32 s13, exec_lo
	s_delay_alu instid0(VALU_DEP_2)
	v_cmpx_gt_u64_e32 0x43e00001, v[2:3]
	s_xor_b32 s74, exec_lo, s13
	s_cbranch_execz .LBB6_7636
; %bb.7623:                             ;   in Loop: Header=BB6_6741 Depth=3
	v_mov_b32_e32 v54, 0
	s_mov_b32 s75, exec_lo
	v_cmpx_ne_u32_e32 0, v0
	s_cbranch_execz .LBB6_7635
; %bb.7624:                             ;   in Loop: Header=BB6_6741 Depth=3
	v_bfe_u32 v54, v0, 23, 8
	v_and_b32_e32 v2, 0x7fffff, v0
	s_delay_alu instid0(VALU_DEP_2) | instskip(SKIP_2) | instid1(VALU_DEP_4)
	v_cmp_gt_u32_e64 s13, 0x7a, v54
	v_sub_nc_u32_e32 v0, 0x79, v54
	v_cmp_eq_u32_e32 vcc_lo, 0, v54
	v_or_b32_e32 v16, 0x800000, v2
	s_delay_alu instid0(VALU_DEP_1) | instskip(NEXT) | instid1(VALU_DEP_1)
	v_dual_cndmask_b32 v0, 0, v0, s13 :: v_dual_cndmask_b32 v2, v16, v2, vcc_lo
	v_cndmask_b32_e64 v0, v0, 0x78, vcc_lo
	s_delay_alu instid0(VALU_DEP_1) | instskip(NEXT) | instid1(VALU_DEP_1)
	v_dual_add_nc_u32 v16, 20, v0 :: v_dual_add_nc_u32 v18, 19, v0
	v_lshlrev_b64_e64 v[16:17], v16, -1
	s_delay_alu instid0(VALU_DEP_2) | instskip(NEXT) | instid1(VALU_DEP_2)
	v_lshlrev_b64_e64 v[18:19], v18, 1
	v_bfi_b32 v17, v17, 0, 0
	s_delay_alu instid0(VALU_DEP_3) | instskip(NEXT) | instid1(VALU_DEP_1)
	v_bfi_b32 v16, v16, 0, v2
	v_cmp_eq_u64_e64 s13, v[16:17], v[18:19]
	v_lshrrev_b64 v[16:17], v0, v[2:3]
	s_delay_alu instid0(VALU_DEP_1)
	v_mov_b64_e32 v[18:19], v[16:17]
	s_and_saveexec_b32 s76, s13
; %bb.7625:                             ;   in Loop: Header=BB6_6741 Depth=3
	v_bfe_u32 v2, v16, 20, 1
	s_delay_alu instid0(VALU_DEP_1) | instskip(NEXT) | instid1(VALU_DEP_1)
	v_add_nc_u64_e32 v[18:19], v[16:17], v[2:3]
	v_add_nc_u64_e32 v[18:19], -1, v[18:19]
; %bb.7626:                             ;   in Loop: Header=BB6_6741 Depth=3
	s_or_b32 exec_lo, exec_lo, s76
	v_add_nc_u32_e32 v2, 0xffffff81, v54
	v_lshrrev_b32_e32 v17, 23, v16
	s_mov_b32 s13, exec_lo
	s_delay_alu instid0(VALU_DEP_2) | instskip(NEXT) | instid1(VALU_DEP_1)
	v_cndmask_b32_e64 v2, v2, 0xffffff82, vcc_lo
	v_add3_u32 v19, v0, v2, v17
	v_and_b32_e32 v0, 0xfffff, v18
	s_delay_alu instid0(VALU_DEP_1) | instskip(NEXT) | instid1(VALU_DEP_1)
	v_dual_add_nc_u32 v18, 6, v19 :: v_dual_add_nc_u32 v2, v0, v16
                                        ; implicit-def: $vgpr16_vgpr17
                                        ; implicit-def: $vgpr0
	v_cmpx_ne_u32_e32 0, v18
	s_xor_b32 s13, exec_lo, s13
; %bb.7627:                             ;   in Loop: Header=BB6_6741 Depth=3
	s_delay_alu instid0(VALU_DEP_2) | instskip(SKIP_2) | instid1(VALU_DEP_2)
	v_cmp_lt_u64_e32 vcc_lo, 0xffffff, v[2:3]
	v_add_nc_u32_e32 v0, 7, v19
	v_cndmask_b32_e64 v16, 0, 1, vcc_lo
	v_cndmask_b32_e32 v0, v18, v0, vcc_lo
	s_delay_alu instid0(VALU_DEP_2)
	v_lshrrev_b64 v[16:17], v16, v[2:3]
; %bb.7628:                             ;   in Loop: Header=BB6_6741 Depth=3
	s_and_not1_saveexec_b32 s13, s13
; %bb.7629:                             ;   in Loop: Header=BB6_6741 Depth=3
	v_mov_b64_e32 v[16:17], v[2:3]
	v_bfe_u32 v0, v2, 23, 1
; %bb.7630:                             ;   in Loop: Header=BB6_6741 Depth=3
	s_or_b32 exec_lo, exec_lo, s13
	s_delay_alu instid0(VALU_DEP_2) | instskip(NEXT) | instid1(VALU_DEP_2)
	v_lshrrev_b64 v[16:17], 20, v[16:17]
	v_cmp_gt_i32_e32 vcc_lo, 16, v0
	v_cmp_ne_u32_e64 s13, 0, v0
                                        ; implicit-def: $vgpr54
	s_delay_alu instid0(VALU_DEP_3) | instskip(NEXT) | instid1(VALU_DEP_1)
	v_dual_cndmask_b32 v17, 0, v17 :: v_dual_cndmask_b32 v16, 7, v16
	v_cmp_ne_u64_e32 vcc_lo, 0, v[16:17]
	s_or_b32 s13, s13, vcc_lo
	s_delay_alu instid0(SALU_CYCLE_1) | instskip(NEXT) | instid1(SALU_CYCLE_1)
	s_and_saveexec_b32 s76, s13
	s_xor_b32 s13, exec_lo, s76
; %bb.7631:                             ;   in Loop: Header=BB6_6741 Depth=3
	v_min_i32_e32 v0, 15, v0
	s_delay_alu instid0(VALU_DEP_1) | instskip(NEXT) | instid1(VALU_DEP_1)
	v_lshl_or_b32 v0, v0, 3, v66
                                        ; implicit-def: $vgpr66
	v_and_or_b32 v54, v16, 7, v0
; %bb.7632:                             ;   in Loop: Header=BB6_6741 Depth=3
	s_and_not1_saveexec_b32 s13, s13
; %bb.7633:                             ;   in Loop: Header=BB6_6741 Depth=3
	v_mov_b32_e32 v54, v66
; %bb.7634:                             ;   in Loop: Header=BB6_6741 Depth=3
	s_or_b32 exec_lo, exec_lo, s13
.LBB6_7635:                             ;   in Loop: Header=BB6_6741 Depth=3
	s_delay_alu instid0(SALU_CYCLE_1)
	s_or_b32 exec_lo, exec_lo, s75
                                        ; implicit-def: $vgpr66
.LBB6_7636:                             ;   in Loop: Header=BB6_6741 Depth=3
	s_and_not1_saveexec_b32 s13, s74
; %bb.7637:                             ;   in Loop: Header=BB6_6741 Depth=3
	v_or_b32_e32 v54, 0x7e, v66
; %bb.7638:                             ;   in Loop: Header=BB6_6741 Depth=3
	s_or_b32 exec_lo, exec_lo, s13
                                        ; implicit-def: $vgpr16
.LBB6_7639:                             ;   in Loop: Header=BB6_6741 Depth=3
	s_and_not1_saveexec_b32 s13, s45
; %bb.7640:                             ;   in Loop: Header=BB6_6741 Depth=3
	v_or_b32_e32 v54, 0x7f, v16
; %bb.7641:                             ;   in Loop: Header=BB6_6741 Depth=3
	s_or_b32 exec_lo, exec_lo, s13
	v_and_b32_e32 v0, 0xff, v53
	v_dual_mov_b32 v18, 0 :: v_dual_mov_b32 v19, 0
	s_mov_b32 s13, exec_lo
	s_delay_alu instid0(VALU_DEP_2)
	v_cmpx_ne_u16_e32 0, v0
	s_cbranch_execz .LBB6_7649
; %bb.7642:                             ;   in Loop: Header=BB6_6741 Depth=3
	v_bfrev_b32_e32 v19, 1
	s_mov_b32 s45, exec_lo
	v_cmpx_ne_u16_e32 0x80, v0
	s_cbranch_execz .LBB6_7648
; %bb.7643:                             ;   in Loop: Header=BB6_6741 Depth=3
	v_and_b32_e32 v16, 0x7f, v53
	v_mov_b32_e32 v19, 0x7f800001
	s_mov_b32 s74, exec_lo
	s_delay_alu instid0(VALU_DEP_2)
	v_cmpx_ne_u32_e32 0x7f, v16
	s_cbranch_execz .LBB6_7647
; %bb.7644:                             ;   in Loop: Header=BB6_6741 Depth=3
	v_and_b32_e32 v2, 7, v0
	v_lshrrev_b32_e32 v0, 3, v16
	v_cmp_gt_u32_e32 vcc_lo, 8, v16
	s_delay_alu instid0(VALU_DEP_3)
	v_mov_b64_e32 v[16:17], v[2:3]
	s_and_saveexec_b32 s75, vcc_lo
; %bb.7645:                             ;   in Loop: Header=BB6_6741 Depth=3
	v_clz_i32_u32_e32 v0, v2
	s_delay_alu instid0(VALU_DEP_1) | instskip(NEXT) | instid1(VALU_DEP_1)
	v_min_u32_e32 v0, 32, v0
	v_subrev_nc_u32_e32 v16, 28, v0
	v_sub_nc_u32_e32 v0, 29, v0
	s_delay_alu instid0(VALU_DEP_2) | instskip(NEXT) | instid1(VALU_DEP_1)
	v_lshlrev_b64_e32 v[16:17], v16, v[2:3]
	v_and_b32_e32 v16, 7, v16
; %bb.7646:                             ;   in Loop: Header=BB6_6741 Depth=3
	s_or_b32 exec_lo, exec_lo, s75
	s_delay_alu instid0(VALU_DEP_1) | instskip(SKIP_1) | instid1(VALU_DEP_2)
	v_dual_lshlrev_b32 v2, 24, v53 :: v_dual_lshlrev_b32 v16, 20, v16
	v_lshl_add_u32 v0, v0, 23, 0x3c000000
	v_and_b32_e32 v2, 0x80000000, v2
	s_delay_alu instid0(VALU_DEP_1)
	v_or3_b32 v19, v16, v2, v0
.LBB6_7647:                             ;   in Loop: Header=BB6_6741 Depth=3
	s_or_b32 exec_lo, exec_lo, s74
.LBB6_7648:                             ;   in Loop: Header=BB6_6741 Depth=3
	s_delay_alu instid0(SALU_CYCLE_1)
	s_or_b32 exec_lo, exec_lo, s45
.LBB6_7649:                             ;   in Loop: Header=BB6_6741 Depth=3
	s_delay_alu instid0(SALU_CYCLE_1) | instskip(SKIP_3) | instid1(VALU_DEP_1)
	s_or_b32 exec_lo, exec_lo, s13
	s_wait_loadcnt_dscnt 0x606
	v_and_b32_e32 v0, 0xff, v50
	s_mov_b32 s13, exec_lo
	v_cmpx_ne_u16_e32 0, v0
	s_cbranch_execz .LBB6_7657
; %bb.7650:                             ;   in Loop: Header=BB6_6741 Depth=3
	v_bfrev_b32_e32 v18, 1
	s_mov_b32 s45, exec_lo
	v_cmpx_ne_u16_e32 0x80, v0
	s_cbranch_execz .LBB6_7656
; %bb.7651:                             ;   in Loop: Header=BB6_6741 Depth=3
	v_and_b32_e32 v16, 0x7f, v50
	v_mov_b32_e32 v18, 0x7f800001
	s_mov_b32 s74, exec_lo
	s_delay_alu instid0(VALU_DEP_2)
	v_cmpx_ne_u32_e32 0x7f, v16
	s_cbranch_execz .LBB6_7655
; %bb.7652:                             ;   in Loop: Header=BB6_6741 Depth=3
	v_and_b32_e32 v2, 7, v0
	v_lshrrev_b32_e32 v0, 3, v16
	v_cmp_gt_u32_e32 vcc_lo, 8, v16
	s_delay_alu instid0(VALU_DEP_3)
	v_mov_b64_e32 v[16:17], v[2:3]
	s_and_saveexec_b32 s75, vcc_lo
; %bb.7653:                             ;   in Loop: Header=BB6_6741 Depth=3
	v_clz_i32_u32_e32 v0, v2
	s_delay_alu instid0(VALU_DEP_1) | instskip(NEXT) | instid1(VALU_DEP_1)
	v_min_u32_e32 v0, 32, v0
	v_subrev_nc_u32_e32 v16, 28, v0
	v_sub_nc_u32_e32 v0, 29, v0
	s_delay_alu instid0(VALU_DEP_2) | instskip(NEXT) | instid1(VALU_DEP_1)
	v_lshlrev_b64_e32 v[16:17], v16, v[2:3]
	v_and_b32_e32 v16, 7, v16
; %bb.7654:                             ;   in Loop: Header=BB6_6741 Depth=3
	s_or_b32 exec_lo, exec_lo, s75
	s_delay_alu instid0(VALU_DEP_1) | instskip(SKIP_1) | instid1(VALU_DEP_2)
	v_dual_lshlrev_b32 v2, 24, v50 :: v_dual_lshlrev_b32 v16, 20, v16
	v_lshl_add_u32 v0, v0, 23, 0x3c000000
	v_and_b32_e32 v2, 0x80000000, v2
	s_delay_alu instid0(VALU_DEP_1)
	v_or3_b32 v18, v16, v2, v0
.LBB6_7655:                             ;   in Loop: Header=BB6_6741 Depth=3
	s_or_b32 exec_lo, exec_lo, s74
.LBB6_7656:                             ;   in Loop: Header=BB6_6741 Depth=3
	s_delay_alu instid0(SALU_CYCLE_1)
	s_or_b32 exec_lo, exec_lo, s45
.LBB6_7657:                             ;   in Loop: Header=BB6_6741 Depth=3
	s_delay_alu instid0(SALU_CYCLE_1) | instskip(NEXT) | instid1(VALU_DEP_1)
	s_or_b32 exec_lo, exec_lo, s13
	v_add_f32_e32 v0, v19, v18
                                        ; implicit-def: $vgpr50
	s_mov_b32 s13, exec_lo
	s_delay_alu instid0(VALU_DEP_1) | instskip(SKIP_1) | instid1(VALU_DEP_2)
	v_and_b32_e32 v2, 0x7f800000, v0
	v_lshrrev_b32_e32 v16, 24, v0
	v_cmpx_ne_u64_e32 0x7f800000, v[2:3]
	s_xor_b32 s45, exec_lo, s13
	s_cbranch_execz .LBB6_7675
; %bb.7658:                             ;   in Loop: Header=BB6_6741 Depth=3
	v_and_b32_e32 v2, 0x7fffffff, v0
	v_and_b32_e32 v53, 0x80, v16
                                        ; implicit-def: $vgpr50
	s_mov_b32 s13, exec_lo
	s_delay_alu instid0(VALU_DEP_2)
	v_cmpx_gt_u64_e32 0x43e00001, v[2:3]
	s_xor_b32 s74, exec_lo, s13
	s_cbranch_execz .LBB6_7672
; %bb.7659:                             ;   in Loop: Header=BB6_6741 Depth=3
	v_mov_b32_e32 v50, 0
	s_mov_b32 s75, exec_lo
	v_cmpx_ne_u32_e32 0, v0
	s_cbranch_execz .LBB6_7671
; %bb.7660:                             ;   in Loop: Header=BB6_6741 Depth=3
	v_bfe_u32 v50, v0, 23, 8
	v_and_b32_e32 v2, 0x7fffff, v0
	s_delay_alu instid0(VALU_DEP_2) | instskip(SKIP_2) | instid1(VALU_DEP_4)
	v_cmp_gt_u32_e64 s13, 0x7a, v50
	v_sub_nc_u32_e32 v0, 0x79, v50
	v_cmp_eq_u32_e32 vcc_lo, 0, v50
	v_or_b32_e32 v16, 0x800000, v2
	s_delay_alu instid0(VALU_DEP_1) | instskip(NEXT) | instid1(VALU_DEP_1)
	v_dual_cndmask_b32 v0, 0, v0, s13 :: v_dual_cndmask_b32 v2, v16, v2, vcc_lo
	v_cndmask_b32_e64 v0, v0, 0x78, vcc_lo
	s_delay_alu instid0(VALU_DEP_1) | instskip(NEXT) | instid1(VALU_DEP_1)
	v_dual_add_nc_u32 v16, 20, v0 :: v_dual_add_nc_u32 v18, 19, v0
	v_lshlrev_b64_e64 v[16:17], v16, -1
	s_delay_alu instid0(VALU_DEP_2) | instskip(NEXT) | instid1(VALU_DEP_2)
	v_lshlrev_b64_e64 v[18:19], v18, 1
	v_bfi_b32 v17, v17, 0, 0
	s_delay_alu instid0(VALU_DEP_3) | instskip(NEXT) | instid1(VALU_DEP_1)
	v_bfi_b32 v16, v16, 0, v2
	v_cmp_eq_u64_e64 s13, v[16:17], v[18:19]
	v_lshrrev_b64 v[16:17], v0, v[2:3]
	s_delay_alu instid0(VALU_DEP_1)
	v_mov_b64_e32 v[18:19], v[16:17]
	s_and_saveexec_b32 s76, s13
; %bb.7661:                             ;   in Loop: Header=BB6_6741 Depth=3
	v_bfe_u32 v2, v16, 20, 1
	s_delay_alu instid0(VALU_DEP_1) | instskip(NEXT) | instid1(VALU_DEP_1)
	v_add_nc_u64_e32 v[18:19], v[16:17], v[2:3]
	v_add_nc_u64_e32 v[18:19], -1, v[18:19]
; %bb.7662:                             ;   in Loop: Header=BB6_6741 Depth=3
	s_or_b32 exec_lo, exec_lo, s76
	v_add_nc_u32_e32 v2, 0xffffff81, v50
	v_lshrrev_b32_e32 v17, 23, v16
	s_mov_b32 s13, exec_lo
	s_delay_alu instid0(VALU_DEP_2) | instskip(NEXT) | instid1(VALU_DEP_1)
	v_cndmask_b32_e64 v2, v2, 0xffffff82, vcc_lo
	v_add3_u32 v19, v0, v2, v17
	v_and_b32_e32 v0, 0xfffff, v18
	s_delay_alu instid0(VALU_DEP_1) | instskip(NEXT) | instid1(VALU_DEP_1)
	v_dual_add_nc_u32 v18, 6, v19 :: v_dual_add_nc_u32 v2, v0, v16
                                        ; implicit-def: $vgpr16_vgpr17
                                        ; implicit-def: $vgpr0
	v_cmpx_ne_u32_e32 0, v18
	s_xor_b32 s13, exec_lo, s13
; %bb.7663:                             ;   in Loop: Header=BB6_6741 Depth=3
	s_delay_alu instid0(VALU_DEP_2) | instskip(SKIP_2) | instid1(VALU_DEP_2)
	v_cmp_lt_u64_e32 vcc_lo, 0xffffff, v[2:3]
	v_add_nc_u32_e32 v0, 7, v19
	v_cndmask_b32_e64 v16, 0, 1, vcc_lo
	v_cndmask_b32_e32 v0, v18, v0, vcc_lo
	s_delay_alu instid0(VALU_DEP_2)
	v_lshrrev_b64 v[16:17], v16, v[2:3]
; %bb.7664:                             ;   in Loop: Header=BB6_6741 Depth=3
	s_and_not1_saveexec_b32 s13, s13
; %bb.7665:                             ;   in Loop: Header=BB6_6741 Depth=3
	v_mov_b64_e32 v[16:17], v[2:3]
	v_bfe_u32 v0, v2, 23, 1
; %bb.7666:                             ;   in Loop: Header=BB6_6741 Depth=3
	s_or_b32 exec_lo, exec_lo, s13
	s_delay_alu instid0(VALU_DEP_2) | instskip(NEXT) | instid1(VALU_DEP_2)
	v_lshrrev_b64 v[16:17], 20, v[16:17]
	v_cmp_gt_i32_e32 vcc_lo, 16, v0
	v_cmp_ne_u32_e64 s13, 0, v0
                                        ; implicit-def: $vgpr50
	s_delay_alu instid0(VALU_DEP_3) | instskip(NEXT) | instid1(VALU_DEP_1)
	v_dual_cndmask_b32 v17, 0, v17 :: v_dual_cndmask_b32 v16, 7, v16
	v_cmp_ne_u64_e32 vcc_lo, 0, v[16:17]
	s_or_b32 s13, s13, vcc_lo
	s_delay_alu instid0(SALU_CYCLE_1) | instskip(NEXT) | instid1(SALU_CYCLE_1)
	s_and_saveexec_b32 s76, s13
	s_xor_b32 s13, exec_lo, s76
; %bb.7667:                             ;   in Loop: Header=BB6_6741 Depth=3
	v_min_i32_e32 v0, 15, v0
	s_delay_alu instid0(VALU_DEP_1) | instskip(NEXT) | instid1(VALU_DEP_1)
	v_lshl_or_b32 v0, v0, 3, v53
                                        ; implicit-def: $vgpr53
	v_and_or_b32 v50, v16, 7, v0
; %bb.7668:                             ;   in Loop: Header=BB6_6741 Depth=3
	s_and_not1_saveexec_b32 s13, s13
; %bb.7669:                             ;   in Loop: Header=BB6_6741 Depth=3
	v_mov_b32_e32 v50, v53
; %bb.7670:                             ;   in Loop: Header=BB6_6741 Depth=3
	s_or_b32 exec_lo, exec_lo, s13
.LBB6_7671:                             ;   in Loop: Header=BB6_6741 Depth=3
	s_delay_alu instid0(SALU_CYCLE_1)
	s_or_b32 exec_lo, exec_lo, s75
                                        ; implicit-def: $vgpr53
.LBB6_7672:                             ;   in Loop: Header=BB6_6741 Depth=3
	s_and_not1_saveexec_b32 s13, s74
; %bb.7673:                             ;   in Loop: Header=BB6_6741 Depth=3
	v_or_b32_e32 v50, 0x7e, v53
; %bb.7674:                             ;   in Loop: Header=BB6_6741 Depth=3
	s_or_b32 exec_lo, exec_lo, s13
                                        ; implicit-def: $vgpr16
.LBB6_7675:                             ;   in Loop: Header=BB6_6741 Depth=3
	s_and_not1_saveexec_b32 s13, s45
; %bb.7676:                             ;   in Loop: Header=BB6_6741 Depth=3
	v_or_b32_e32 v50, 0x7f, v16
; %bb.7677:                             ;   in Loop: Header=BB6_6741 Depth=3
	s_or_b32 exec_lo, exec_lo, s13
	v_and_b32_e32 v0, 0xff, v49
	v_dual_mov_b32 v18, 0 :: v_dual_mov_b32 v19, 0
	s_mov_b32 s13, exec_lo
	s_delay_alu instid0(VALU_DEP_2)
	v_cmpx_ne_u16_e32 0, v0
	s_cbranch_execz .LBB6_7685
; %bb.7678:                             ;   in Loop: Header=BB6_6741 Depth=3
	v_bfrev_b32_e32 v19, 1
	s_mov_b32 s45, exec_lo
	v_cmpx_ne_u16_e32 0x80, v0
	s_cbranch_execz .LBB6_7684
; %bb.7679:                             ;   in Loop: Header=BB6_6741 Depth=3
	v_and_b32_e32 v16, 0x7f, v49
	v_mov_b32_e32 v19, 0x7f800001
	s_mov_b32 s74, exec_lo
	s_delay_alu instid0(VALU_DEP_2)
	v_cmpx_ne_u32_e32 0x7f, v16
	s_cbranch_execz .LBB6_7683
; %bb.7680:                             ;   in Loop: Header=BB6_6741 Depth=3
	v_and_b32_e32 v2, 7, v0
	v_lshrrev_b32_e32 v0, 3, v16
	v_cmp_gt_u32_e32 vcc_lo, 8, v16
	s_delay_alu instid0(VALU_DEP_3)
	v_mov_b64_e32 v[16:17], v[2:3]
	s_and_saveexec_b32 s75, vcc_lo
; %bb.7681:                             ;   in Loop: Header=BB6_6741 Depth=3
	v_clz_i32_u32_e32 v0, v2
	s_delay_alu instid0(VALU_DEP_1) | instskip(NEXT) | instid1(VALU_DEP_1)
	v_min_u32_e32 v0, 32, v0
	v_subrev_nc_u32_e32 v16, 28, v0
	v_sub_nc_u32_e32 v0, 29, v0
	s_delay_alu instid0(VALU_DEP_2) | instskip(NEXT) | instid1(VALU_DEP_1)
	v_lshlrev_b64_e32 v[16:17], v16, v[2:3]
	v_and_b32_e32 v16, 7, v16
; %bb.7682:                             ;   in Loop: Header=BB6_6741 Depth=3
	s_or_b32 exec_lo, exec_lo, s75
	s_delay_alu instid0(VALU_DEP_1) | instskip(SKIP_1) | instid1(VALU_DEP_2)
	v_dual_lshlrev_b32 v2, 24, v49 :: v_dual_lshlrev_b32 v16, 20, v16
	v_lshl_add_u32 v0, v0, 23, 0x3c000000
	v_and_b32_e32 v2, 0x80000000, v2
	s_delay_alu instid0(VALU_DEP_1)
	v_or3_b32 v19, v16, v2, v0
.LBB6_7683:                             ;   in Loop: Header=BB6_6741 Depth=3
	s_or_b32 exec_lo, exec_lo, s74
.LBB6_7684:                             ;   in Loop: Header=BB6_6741 Depth=3
	s_delay_alu instid0(SALU_CYCLE_1)
	s_or_b32 exec_lo, exec_lo, s45
.LBB6_7685:                             ;   in Loop: Header=BB6_6741 Depth=3
	s_delay_alu instid0(SALU_CYCLE_1) | instskip(SKIP_3) | instid1(VALU_DEP_1)
	s_or_b32 exec_lo, exec_lo, s13
	s_wait_loadcnt_dscnt 0x505
	v_and_b32_e32 v0, 0xff, v39
	s_mov_b32 s13, exec_lo
	v_cmpx_ne_u16_e32 0, v0
	s_cbranch_execz .LBB6_7693
; %bb.7686:                             ;   in Loop: Header=BB6_6741 Depth=3
	v_bfrev_b32_e32 v18, 1
	s_mov_b32 s45, exec_lo
	v_cmpx_ne_u16_e32 0x80, v0
	s_cbranch_execz .LBB6_7692
; %bb.7687:                             ;   in Loop: Header=BB6_6741 Depth=3
	v_and_b32_e32 v16, 0x7f, v39
	v_mov_b32_e32 v18, 0x7f800001
	s_mov_b32 s74, exec_lo
	s_delay_alu instid0(VALU_DEP_2)
	v_cmpx_ne_u32_e32 0x7f, v16
	s_cbranch_execz .LBB6_7691
; %bb.7688:                             ;   in Loop: Header=BB6_6741 Depth=3
	v_and_b32_e32 v2, 7, v0
	v_lshrrev_b32_e32 v0, 3, v16
	v_cmp_gt_u32_e32 vcc_lo, 8, v16
	s_delay_alu instid0(VALU_DEP_3)
	v_mov_b64_e32 v[16:17], v[2:3]
	s_and_saveexec_b32 s75, vcc_lo
; %bb.7689:                             ;   in Loop: Header=BB6_6741 Depth=3
	v_clz_i32_u32_e32 v0, v2
	s_delay_alu instid0(VALU_DEP_1) | instskip(NEXT) | instid1(VALU_DEP_1)
	v_min_u32_e32 v0, 32, v0
	v_subrev_nc_u32_e32 v16, 28, v0
	v_sub_nc_u32_e32 v0, 29, v0
	s_delay_alu instid0(VALU_DEP_2) | instskip(NEXT) | instid1(VALU_DEP_1)
	v_lshlrev_b64_e32 v[16:17], v16, v[2:3]
	v_and_b32_e32 v16, 7, v16
; %bb.7690:                             ;   in Loop: Header=BB6_6741 Depth=3
	s_or_b32 exec_lo, exec_lo, s75
	s_delay_alu instid0(VALU_DEP_1) | instskip(SKIP_1) | instid1(VALU_DEP_2)
	v_dual_lshlrev_b32 v2, 24, v39 :: v_dual_lshlrev_b32 v16, 20, v16
	v_lshl_add_u32 v0, v0, 23, 0x3c000000
	v_and_b32_e32 v2, 0x80000000, v2
	s_delay_alu instid0(VALU_DEP_1)
	v_or3_b32 v18, v16, v2, v0
.LBB6_7691:                             ;   in Loop: Header=BB6_6741 Depth=3
	s_or_b32 exec_lo, exec_lo, s74
.LBB6_7692:                             ;   in Loop: Header=BB6_6741 Depth=3
	s_delay_alu instid0(SALU_CYCLE_1)
	s_or_b32 exec_lo, exec_lo, s45
.LBB6_7693:                             ;   in Loop: Header=BB6_6741 Depth=3
	s_delay_alu instid0(SALU_CYCLE_1) | instskip(NEXT) | instid1(VALU_DEP_1)
	s_or_b32 exec_lo, exec_lo, s13
	v_add_f32_e32 v0, v19, v18
                                        ; implicit-def: $vgpr39
	s_mov_b32 s13, exec_lo
	s_delay_alu instid0(VALU_DEP_1) | instskip(SKIP_1) | instid1(VALU_DEP_2)
	v_and_b32_e32 v2, 0x7f800000, v0
	v_lshrrev_b32_e32 v16, 24, v0
	v_cmpx_ne_u64_e32 0x7f800000, v[2:3]
	s_xor_b32 s45, exec_lo, s13
	s_cbranch_execz .LBB6_7711
; %bb.7694:                             ;   in Loop: Header=BB6_6741 Depth=3
	v_and_b32_e32 v2, 0x7fffffff, v0
	v_and_b32_e32 v49, 0x80, v16
                                        ; implicit-def: $vgpr39
	s_mov_b32 s13, exec_lo
	s_delay_alu instid0(VALU_DEP_2)
	v_cmpx_gt_u64_e32 0x43e00001, v[2:3]
	s_xor_b32 s74, exec_lo, s13
	s_cbranch_execz .LBB6_7708
; %bb.7695:                             ;   in Loop: Header=BB6_6741 Depth=3
	v_mov_b32_e32 v39, 0
	s_mov_b32 s75, exec_lo
	v_cmpx_ne_u32_e32 0, v0
	s_cbranch_execz .LBB6_7707
; %bb.7696:                             ;   in Loop: Header=BB6_6741 Depth=3
	v_bfe_u32 v39, v0, 23, 8
	v_and_b32_e32 v2, 0x7fffff, v0
	s_delay_alu instid0(VALU_DEP_2) | instskip(SKIP_2) | instid1(VALU_DEP_4)
	v_cmp_gt_u32_e64 s13, 0x7a, v39
	v_sub_nc_u32_e32 v0, 0x79, v39
	v_cmp_eq_u32_e32 vcc_lo, 0, v39
	v_or_b32_e32 v16, 0x800000, v2
	s_delay_alu instid0(VALU_DEP_1) | instskip(NEXT) | instid1(VALU_DEP_1)
	v_dual_cndmask_b32 v0, 0, v0, s13 :: v_dual_cndmask_b32 v2, v16, v2, vcc_lo
	v_cndmask_b32_e64 v0, v0, 0x78, vcc_lo
	s_delay_alu instid0(VALU_DEP_1) | instskip(NEXT) | instid1(VALU_DEP_1)
	v_dual_add_nc_u32 v16, 20, v0 :: v_dual_add_nc_u32 v18, 19, v0
	v_lshlrev_b64_e64 v[16:17], v16, -1
	s_delay_alu instid0(VALU_DEP_2) | instskip(NEXT) | instid1(VALU_DEP_2)
	v_lshlrev_b64_e64 v[18:19], v18, 1
	v_bfi_b32 v17, v17, 0, 0
	s_delay_alu instid0(VALU_DEP_3) | instskip(NEXT) | instid1(VALU_DEP_1)
	v_bfi_b32 v16, v16, 0, v2
	v_cmp_eq_u64_e64 s13, v[16:17], v[18:19]
	v_lshrrev_b64 v[16:17], v0, v[2:3]
	s_delay_alu instid0(VALU_DEP_1)
	v_mov_b64_e32 v[18:19], v[16:17]
	s_and_saveexec_b32 s76, s13
; %bb.7697:                             ;   in Loop: Header=BB6_6741 Depth=3
	v_bfe_u32 v2, v16, 20, 1
	s_delay_alu instid0(VALU_DEP_1) | instskip(NEXT) | instid1(VALU_DEP_1)
	v_add_nc_u64_e32 v[18:19], v[16:17], v[2:3]
	v_add_nc_u64_e32 v[18:19], -1, v[18:19]
; %bb.7698:                             ;   in Loop: Header=BB6_6741 Depth=3
	s_or_b32 exec_lo, exec_lo, s76
	v_add_nc_u32_e32 v2, 0xffffff81, v39
	v_lshrrev_b32_e32 v17, 23, v16
	s_mov_b32 s13, exec_lo
	s_delay_alu instid0(VALU_DEP_2) | instskip(NEXT) | instid1(VALU_DEP_1)
	v_cndmask_b32_e64 v2, v2, 0xffffff82, vcc_lo
	v_add3_u32 v19, v0, v2, v17
	v_and_b32_e32 v0, 0xfffff, v18
	s_delay_alu instid0(VALU_DEP_1) | instskip(NEXT) | instid1(VALU_DEP_1)
	v_dual_add_nc_u32 v18, 6, v19 :: v_dual_add_nc_u32 v2, v0, v16
                                        ; implicit-def: $vgpr16_vgpr17
                                        ; implicit-def: $vgpr0
	v_cmpx_ne_u32_e32 0, v18
	s_xor_b32 s13, exec_lo, s13
; %bb.7699:                             ;   in Loop: Header=BB6_6741 Depth=3
	s_delay_alu instid0(VALU_DEP_2) | instskip(SKIP_2) | instid1(VALU_DEP_2)
	v_cmp_lt_u64_e32 vcc_lo, 0xffffff, v[2:3]
	v_add_nc_u32_e32 v0, 7, v19
	v_cndmask_b32_e64 v16, 0, 1, vcc_lo
	v_cndmask_b32_e32 v0, v18, v0, vcc_lo
	s_delay_alu instid0(VALU_DEP_2)
	v_lshrrev_b64 v[16:17], v16, v[2:3]
; %bb.7700:                             ;   in Loop: Header=BB6_6741 Depth=3
	s_and_not1_saveexec_b32 s13, s13
; %bb.7701:                             ;   in Loop: Header=BB6_6741 Depth=3
	v_mov_b64_e32 v[16:17], v[2:3]
	v_bfe_u32 v0, v2, 23, 1
; %bb.7702:                             ;   in Loop: Header=BB6_6741 Depth=3
	s_or_b32 exec_lo, exec_lo, s13
	s_delay_alu instid0(VALU_DEP_2) | instskip(NEXT) | instid1(VALU_DEP_2)
	v_lshrrev_b64 v[16:17], 20, v[16:17]
	v_cmp_gt_i32_e32 vcc_lo, 16, v0
	v_cmp_ne_u32_e64 s13, 0, v0
                                        ; implicit-def: $vgpr39
	s_delay_alu instid0(VALU_DEP_3) | instskip(NEXT) | instid1(VALU_DEP_1)
	v_dual_cndmask_b32 v17, 0, v17 :: v_dual_cndmask_b32 v16, 7, v16
	v_cmp_ne_u64_e32 vcc_lo, 0, v[16:17]
	s_or_b32 s13, s13, vcc_lo
	s_delay_alu instid0(SALU_CYCLE_1) | instskip(NEXT) | instid1(SALU_CYCLE_1)
	s_and_saveexec_b32 s76, s13
	s_xor_b32 s13, exec_lo, s76
; %bb.7703:                             ;   in Loop: Header=BB6_6741 Depth=3
	v_min_i32_e32 v0, 15, v0
	s_delay_alu instid0(VALU_DEP_1) | instskip(NEXT) | instid1(VALU_DEP_1)
	v_lshl_or_b32 v0, v0, 3, v49
                                        ; implicit-def: $vgpr49
	v_and_or_b32 v39, v16, 7, v0
; %bb.7704:                             ;   in Loop: Header=BB6_6741 Depth=3
	s_and_not1_saveexec_b32 s13, s13
; %bb.7705:                             ;   in Loop: Header=BB6_6741 Depth=3
	v_mov_b32_e32 v39, v49
; %bb.7706:                             ;   in Loop: Header=BB6_6741 Depth=3
	s_or_b32 exec_lo, exec_lo, s13
.LBB6_7707:                             ;   in Loop: Header=BB6_6741 Depth=3
	s_delay_alu instid0(SALU_CYCLE_1)
	s_or_b32 exec_lo, exec_lo, s75
                                        ; implicit-def: $vgpr49
.LBB6_7708:                             ;   in Loop: Header=BB6_6741 Depth=3
	s_and_not1_saveexec_b32 s13, s74
; %bb.7709:                             ;   in Loop: Header=BB6_6741 Depth=3
	v_or_b32_e32 v39, 0x7e, v49
; %bb.7710:                             ;   in Loop: Header=BB6_6741 Depth=3
	s_or_b32 exec_lo, exec_lo, s13
                                        ; implicit-def: $vgpr16
.LBB6_7711:                             ;   in Loop: Header=BB6_6741 Depth=3
	s_and_not1_saveexec_b32 s13, s45
; %bb.7712:                             ;   in Loop: Header=BB6_6741 Depth=3
	v_or_b32_e32 v39, 0x7f, v16
; %bb.7713:                             ;   in Loop: Header=BB6_6741 Depth=3
	s_or_b32 exec_lo, exec_lo, s13
	v_and_b32_e32 v0, 0xff, v38
	v_dual_mov_b32 v18, 0 :: v_dual_mov_b32 v19, 0
	s_mov_b32 s13, exec_lo
	s_delay_alu instid0(VALU_DEP_2)
	v_cmpx_ne_u16_e32 0, v0
	s_cbranch_execz .LBB6_7721
; %bb.7714:                             ;   in Loop: Header=BB6_6741 Depth=3
	v_bfrev_b32_e32 v19, 1
	s_mov_b32 s45, exec_lo
	v_cmpx_ne_u16_e32 0x80, v0
	s_cbranch_execz .LBB6_7720
; %bb.7715:                             ;   in Loop: Header=BB6_6741 Depth=3
	v_and_b32_e32 v16, 0x7f, v38
	v_mov_b32_e32 v19, 0x7f800001
	s_mov_b32 s74, exec_lo
	s_delay_alu instid0(VALU_DEP_2)
	v_cmpx_ne_u32_e32 0x7f, v16
	s_cbranch_execz .LBB6_7719
; %bb.7716:                             ;   in Loop: Header=BB6_6741 Depth=3
	v_and_b32_e32 v2, 7, v0
	v_lshrrev_b32_e32 v0, 3, v16
	v_cmp_gt_u32_e32 vcc_lo, 8, v16
	s_delay_alu instid0(VALU_DEP_3)
	v_mov_b64_e32 v[16:17], v[2:3]
	s_and_saveexec_b32 s75, vcc_lo
; %bb.7717:                             ;   in Loop: Header=BB6_6741 Depth=3
	v_clz_i32_u32_e32 v0, v2
	s_delay_alu instid0(VALU_DEP_1) | instskip(NEXT) | instid1(VALU_DEP_1)
	v_min_u32_e32 v0, 32, v0
	v_subrev_nc_u32_e32 v16, 28, v0
	v_sub_nc_u32_e32 v0, 29, v0
	s_delay_alu instid0(VALU_DEP_2) | instskip(NEXT) | instid1(VALU_DEP_1)
	v_lshlrev_b64_e32 v[16:17], v16, v[2:3]
	v_and_b32_e32 v16, 7, v16
; %bb.7718:                             ;   in Loop: Header=BB6_6741 Depth=3
	s_or_b32 exec_lo, exec_lo, s75
	s_delay_alu instid0(VALU_DEP_1) | instskip(SKIP_1) | instid1(VALU_DEP_2)
	v_dual_lshlrev_b32 v2, 24, v38 :: v_dual_lshlrev_b32 v16, 20, v16
	v_lshl_add_u32 v0, v0, 23, 0x3c000000
	v_and_b32_e32 v2, 0x80000000, v2
	s_delay_alu instid0(VALU_DEP_1)
	v_or3_b32 v19, v16, v2, v0
.LBB6_7719:                             ;   in Loop: Header=BB6_6741 Depth=3
	s_or_b32 exec_lo, exec_lo, s74
.LBB6_7720:                             ;   in Loop: Header=BB6_6741 Depth=3
	s_delay_alu instid0(SALU_CYCLE_1)
	s_or_b32 exec_lo, exec_lo, s45
.LBB6_7721:                             ;   in Loop: Header=BB6_6741 Depth=3
	s_delay_alu instid0(SALU_CYCLE_1) | instskip(SKIP_3) | instid1(VALU_DEP_1)
	s_or_b32 exec_lo, exec_lo, s13
	s_wait_loadcnt_dscnt 0x404
	v_and_b32_e32 v0, 0xff, v36
	s_mov_b32 s13, exec_lo
	v_cmpx_ne_u16_e32 0, v0
	s_cbranch_execz .LBB6_7729
; %bb.7722:                             ;   in Loop: Header=BB6_6741 Depth=3
	v_bfrev_b32_e32 v18, 1
	s_mov_b32 s45, exec_lo
	v_cmpx_ne_u16_e32 0x80, v0
	s_cbranch_execz .LBB6_7728
; %bb.7723:                             ;   in Loop: Header=BB6_6741 Depth=3
	v_and_b32_e32 v16, 0x7f, v36
	v_mov_b32_e32 v18, 0x7f800001
	s_mov_b32 s74, exec_lo
	s_delay_alu instid0(VALU_DEP_2)
	v_cmpx_ne_u32_e32 0x7f, v16
	s_cbranch_execz .LBB6_7727
; %bb.7724:                             ;   in Loop: Header=BB6_6741 Depth=3
	v_and_b32_e32 v2, 7, v0
	v_lshrrev_b32_e32 v0, 3, v16
	v_cmp_gt_u32_e32 vcc_lo, 8, v16
	s_delay_alu instid0(VALU_DEP_3)
	v_mov_b64_e32 v[16:17], v[2:3]
	s_and_saveexec_b32 s75, vcc_lo
; %bb.7725:                             ;   in Loop: Header=BB6_6741 Depth=3
	v_clz_i32_u32_e32 v0, v2
	s_delay_alu instid0(VALU_DEP_1) | instskip(NEXT) | instid1(VALU_DEP_1)
	v_min_u32_e32 v0, 32, v0
	v_subrev_nc_u32_e32 v16, 28, v0
	v_sub_nc_u32_e32 v0, 29, v0
	s_delay_alu instid0(VALU_DEP_2) | instskip(NEXT) | instid1(VALU_DEP_1)
	v_lshlrev_b64_e32 v[16:17], v16, v[2:3]
	v_and_b32_e32 v16, 7, v16
; %bb.7726:                             ;   in Loop: Header=BB6_6741 Depth=3
	s_or_b32 exec_lo, exec_lo, s75
	v_lshlrev_b32_e32 v2, 24, v36
	s_delay_alu instid0(VALU_DEP_2) | instskip(SKIP_1) | instid1(VALU_DEP_3)
	v_lshlrev_b32_e32 v16, 20, v16
	v_lshl_add_u32 v0, v0, 23, 0x3c000000
	v_and_b32_e32 v2, 0x80000000, v2
	s_delay_alu instid0(VALU_DEP_1)
	v_or3_b32 v18, v16, v2, v0
.LBB6_7727:                             ;   in Loop: Header=BB6_6741 Depth=3
	s_or_b32 exec_lo, exec_lo, s74
.LBB6_7728:                             ;   in Loop: Header=BB6_6741 Depth=3
	s_delay_alu instid0(SALU_CYCLE_1)
	s_or_b32 exec_lo, exec_lo, s45
.LBB6_7729:                             ;   in Loop: Header=BB6_6741 Depth=3
	s_delay_alu instid0(SALU_CYCLE_1) | instskip(NEXT) | instid1(VALU_DEP_1)
	s_or_b32 exec_lo, exec_lo, s13
	v_add_f32_e32 v0, v19, v18
                                        ; implicit-def: $vgpr36
	s_mov_b32 s13, exec_lo
	s_delay_alu instid0(VALU_DEP_1) | instskip(SKIP_1) | instid1(VALU_DEP_2)
	v_and_b32_e32 v2, 0x7f800000, v0
	v_lshrrev_b32_e32 v16, 24, v0
	v_cmpx_ne_u64_e32 0x7f800000, v[2:3]
	s_xor_b32 s45, exec_lo, s13
	s_cbranch_execz .LBB6_7747
; %bb.7730:                             ;   in Loop: Header=BB6_6741 Depth=3
	v_and_b32_e32 v2, 0x7fffffff, v0
	v_and_b32_e32 v38, 0x80, v16
                                        ; implicit-def: $vgpr36
	s_mov_b32 s13, exec_lo
	s_delay_alu instid0(VALU_DEP_2)
	v_cmpx_gt_u64_e32 0x43e00001, v[2:3]
	s_xor_b32 s74, exec_lo, s13
	s_cbranch_execz .LBB6_7744
; %bb.7731:                             ;   in Loop: Header=BB6_6741 Depth=3
	v_mov_b32_e32 v36, 0
	s_mov_b32 s75, exec_lo
	v_cmpx_ne_u32_e32 0, v0
	s_cbranch_execz .LBB6_7743
; %bb.7732:                             ;   in Loop: Header=BB6_6741 Depth=3
	v_bfe_u32 v36, v0, 23, 8
	v_and_b32_e32 v2, 0x7fffff, v0
	s_delay_alu instid0(VALU_DEP_2) | instskip(SKIP_2) | instid1(VALU_DEP_4)
	v_cmp_gt_u32_e64 s13, 0x7a, v36
	v_sub_nc_u32_e32 v0, 0x79, v36
	v_cmp_eq_u32_e32 vcc_lo, 0, v36
	v_or_b32_e32 v16, 0x800000, v2
	s_delay_alu instid0(VALU_DEP_1) | instskip(NEXT) | instid1(VALU_DEP_1)
	v_dual_cndmask_b32 v0, 0, v0, s13 :: v_dual_cndmask_b32 v2, v16, v2, vcc_lo
	v_cndmask_b32_e64 v0, v0, 0x78, vcc_lo
	s_delay_alu instid0(VALU_DEP_1) | instskip(NEXT) | instid1(VALU_DEP_1)
	v_dual_add_nc_u32 v16, 20, v0 :: v_dual_add_nc_u32 v18, 19, v0
	v_lshlrev_b64_e64 v[16:17], v16, -1
	s_delay_alu instid0(VALU_DEP_2) | instskip(NEXT) | instid1(VALU_DEP_2)
	v_lshlrev_b64_e64 v[18:19], v18, 1
	v_bfi_b32 v17, v17, 0, 0
	s_delay_alu instid0(VALU_DEP_3) | instskip(NEXT) | instid1(VALU_DEP_1)
	v_bfi_b32 v16, v16, 0, v2
	v_cmp_eq_u64_e64 s13, v[16:17], v[18:19]
	v_lshrrev_b64 v[16:17], v0, v[2:3]
	s_delay_alu instid0(VALU_DEP_1)
	v_mov_b64_e32 v[18:19], v[16:17]
	s_and_saveexec_b32 s76, s13
; %bb.7733:                             ;   in Loop: Header=BB6_6741 Depth=3
	v_bfe_u32 v2, v16, 20, 1
	s_delay_alu instid0(VALU_DEP_1) | instskip(NEXT) | instid1(VALU_DEP_1)
	v_add_nc_u64_e32 v[18:19], v[16:17], v[2:3]
	v_add_nc_u64_e32 v[18:19], -1, v[18:19]
; %bb.7734:                             ;   in Loop: Header=BB6_6741 Depth=3
	s_or_b32 exec_lo, exec_lo, s76
	v_add_nc_u32_e32 v2, 0xffffff81, v36
	v_lshrrev_b32_e32 v17, 23, v16
	s_mov_b32 s13, exec_lo
	s_delay_alu instid0(VALU_DEP_2) | instskip(NEXT) | instid1(VALU_DEP_1)
	v_cndmask_b32_e64 v2, v2, 0xffffff82, vcc_lo
	v_add3_u32 v19, v0, v2, v17
	v_and_b32_e32 v0, 0xfffff, v18
	s_delay_alu instid0(VALU_DEP_1) | instskip(NEXT) | instid1(VALU_DEP_1)
	v_dual_add_nc_u32 v18, 6, v19 :: v_dual_add_nc_u32 v2, v0, v16
                                        ; implicit-def: $vgpr16_vgpr17
                                        ; implicit-def: $vgpr0
	v_cmpx_ne_u32_e32 0, v18
	s_xor_b32 s13, exec_lo, s13
; %bb.7735:                             ;   in Loop: Header=BB6_6741 Depth=3
	s_delay_alu instid0(VALU_DEP_2) | instskip(SKIP_2) | instid1(VALU_DEP_2)
	v_cmp_lt_u64_e32 vcc_lo, 0xffffff, v[2:3]
	v_add_nc_u32_e32 v0, 7, v19
	v_cndmask_b32_e64 v16, 0, 1, vcc_lo
	v_cndmask_b32_e32 v0, v18, v0, vcc_lo
	s_delay_alu instid0(VALU_DEP_2)
	v_lshrrev_b64 v[16:17], v16, v[2:3]
; %bb.7736:                             ;   in Loop: Header=BB6_6741 Depth=3
	s_and_not1_saveexec_b32 s13, s13
; %bb.7737:                             ;   in Loop: Header=BB6_6741 Depth=3
	v_mov_b64_e32 v[16:17], v[2:3]
	v_bfe_u32 v0, v2, 23, 1
; %bb.7738:                             ;   in Loop: Header=BB6_6741 Depth=3
	s_or_b32 exec_lo, exec_lo, s13
	s_delay_alu instid0(VALU_DEP_2) | instskip(NEXT) | instid1(VALU_DEP_2)
	v_lshrrev_b64 v[16:17], 20, v[16:17]
	v_cmp_gt_i32_e32 vcc_lo, 16, v0
	v_cmp_ne_u32_e64 s13, 0, v0
                                        ; implicit-def: $vgpr36
	s_delay_alu instid0(VALU_DEP_3) | instskip(NEXT) | instid1(VALU_DEP_1)
	v_dual_cndmask_b32 v17, 0, v17 :: v_dual_cndmask_b32 v16, 7, v16
	v_cmp_ne_u64_e32 vcc_lo, 0, v[16:17]
	s_or_b32 s13, s13, vcc_lo
	s_delay_alu instid0(SALU_CYCLE_1) | instskip(NEXT) | instid1(SALU_CYCLE_1)
	s_and_saveexec_b32 s76, s13
	s_xor_b32 s13, exec_lo, s76
; %bb.7739:                             ;   in Loop: Header=BB6_6741 Depth=3
	v_min_i32_e32 v0, 15, v0
	s_delay_alu instid0(VALU_DEP_1) | instskip(NEXT) | instid1(VALU_DEP_1)
	v_lshl_or_b32 v0, v0, 3, v38
                                        ; implicit-def: $vgpr38
	v_and_or_b32 v36, v16, 7, v0
; %bb.7740:                             ;   in Loop: Header=BB6_6741 Depth=3
	s_and_not1_saveexec_b32 s13, s13
; %bb.7741:                             ;   in Loop: Header=BB6_6741 Depth=3
	v_mov_b32_e32 v36, v38
; %bb.7742:                             ;   in Loop: Header=BB6_6741 Depth=3
	s_or_b32 exec_lo, exec_lo, s13
.LBB6_7743:                             ;   in Loop: Header=BB6_6741 Depth=3
	s_delay_alu instid0(SALU_CYCLE_1)
	s_or_b32 exec_lo, exec_lo, s75
                                        ; implicit-def: $vgpr38
.LBB6_7744:                             ;   in Loop: Header=BB6_6741 Depth=3
	s_and_not1_saveexec_b32 s13, s74
; %bb.7745:                             ;   in Loop: Header=BB6_6741 Depth=3
	v_or_b32_e32 v36, 0x7e, v38
; %bb.7746:                             ;   in Loop: Header=BB6_6741 Depth=3
	s_or_b32 exec_lo, exec_lo, s13
                                        ; implicit-def: $vgpr16
.LBB6_7747:                             ;   in Loop: Header=BB6_6741 Depth=3
	s_and_not1_saveexec_b32 s13, s45
; %bb.7748:                             ;   in Loop: Header=BB6_6741 Depth=3
	v_or_b32_e32 v36, 0x7f, v16
; %bb.7749:                             ;   in Loop: Header=BB6_6741 Depth=3
	s_or_b32 exec_lo, exec_lo, s13
	v_and_b32_e32 v0, 0xff, v35
	v_dual_mov_b32 v18, 0 :: v_dual_mov_b32 v19, 0
	s_mov_b32 s13, exec_lo
	s_delay_alu instid0(VALU_DEP_2)
	v_cmpx_ne_u16_e32 0, v0
	s_cbranch_execz .LBB6_7757
; %bb.7750:                             ;   in Loop: Header=BB6_6741 Depth=3
	v_bfrev_b32_e32 v19, 1
	s_mov_b32 s45, exec_lo
	v_cmpx_ne_u16_e32 0x80, v0
	s_cbranch_execz .LBB6_7756
; %bb.7751:                             ;   in Loop: Header=BB6_6741 Depth=3
	v_and_b32_e32 v16, 0x7f, v35
	v_mov_b32_e32 v19, 0x7f800001
	s_mov_b32 s74, exec_lo
	s_delay_alu instid0(VALU_DEP_2)
	v_cmpx_ne_u32_e32 0x7f, v16
	s_cbranch_execz .LBB6_7755
; %bb.7752:                             ;   in Loop: Header=BB6_6741 Depth=3
	v_and_b32_e32 v2, 7, v0
	v_lshrrev_b32_e32 v0, 3, v16
	v_cmp_gt_u32_e32 vcc_lo, 8, v16
	s_delay_alu instid0(VALU_DEP_3)
	v_mov_b64_e32 v[16:17], v[2:3]
	s_and_saveexec_b32 s75, vcc_lo
; %bb.7753:                             ;   in Loop: Header=BB6_6741 Depth=3
	v_clz_i32_u32_e32 v0, v2
	s_delay_alu instid0(VALU_DEP_1) | instskip(NEXT) | instid1(VALU_DEP_1)
	v_min_u32_e32 v0, 32, v0
	v_subrev_nc_u32_e32 v16, 28, v0
	v_sub_nc_u32_e32 v0, 29, v0
	s_delay_alu instid0(VALU_DEP_2) | instskip(NEXT) | instid1(VALU_DEP_1)
	v_lshlrev_b64_e32 v[16:17], v16, v[2:3]
	v_and_b32_e32 v16, 7, v16
; %bb.7754:                             ;   in Loop: Header=BB6_6741 Depth=3
	s_or_b32 exec_lo, exec_lo, s75
	s_delay_alu instid0(VALU_DEP_1) | instskip(SKIP_1) | instid1(VALU_DEP_2)
	v_dual_lshlrev_b32 v2, 24, v35 :: v_dual_lshlrev_b32 v16, 20, v16
	v_lshl_add_u32 v0, v0, 23, 0x3c000000
	v_and_b32_e32 v2, 0x80000000, v2
	s_delay_alu instid0(VALU_DEP_1)
	v_or3_b32 v19, v16, v2, v0
.LBB6_7755:                             ;   in Loop: Header=BB6_6741 Depth=3
	s_or_b32 exec_lo, exec_lo, s74
.LBB6_7756:                             ;   in Loop: Header=BB6_6741 Depth=3
	s_delay_alu instid0(SALU_CYCLE_1)
	s_or_b32 exec_lo, exec_lo, s45
.LBB6_7757:                             ;   in Loop: Header=BB6_6741 Depth=3
	s_delay_alu instid0(SALU_CYCLE_1) | instskip(SKIP_3) | instid1(VALU_DEP_1)
	s_or_b32 exec_lo, exec_lo, s13
	s_wait_loadcnt_dscnt 0x303
	v_and_b32_e32 v0, 0xff, v33
	s_mov_b32 s13, exec_lo
	v_cmpx_ne_u16_e32 0, v0
	s_cbranch_execz .LBB6_7765
; %bb.7758:                             ;   in Loop: Header=BB6_6741 Depth=3
	v_bfrev_b32_e32 v18, 1
	s_mov_b32 s45, exec_lo
	v_cmpx_ne_u16_e32 0x80, v0
	s_cbranch_execz .LBB6_7764
; %bb.7759:                             ;   in Loop: Header=BB6_6741 Depth=3
	v_and_b32_e32 v16, 0x7f, v33
	v_mov_b32_e32 v18, 0x7f800001
	s_mov_b32 s74, exec_lo
	s_delay_alu instid0(VALU_DEP_2)
	v_cmpx_ne_u32_e32 0x7f, v16
	s_cbranch_execz .LBB6_7763
; %bb.7760:                             ;   in Loop: Header=BB6_6741 Depth=3
	v_and_b32_e32 v2, 7, v0
	v_lshrrev_b32_e32 v0, 3, v16
	v_cmp_gt_u32_e32 vcc_lo, 8, v16
	s_delay_alu instid0(VALU_DEP_3)
	v_mov_b64_e32 v[16:17], v[2:3]
	s_and_saveexec_b32 s75, vcc_lo
; %bb.7761:                             ;   in Loop: Header=BB6_6741 Depth=3
	v_clz_i32_u32_e32 v0, v2
	s_delay_alu instid0(VALU_DEP_1) | instskip(NEXT) | instid1(VALU_DEP_1)
	v_min_u32_e32 v0, 32, v0
	v_subrev_nc_u32_e32 v16, 28, v0
	v_sub_nc_u32_e32 v0, 29, v0
	s_delay_alu instid0(VALU_DEP_2) | instskip(NEXT) | instid1(VALU_DEP_1)
	v_lshlrev_b64_e32 v[16:17], v16, v[2:3]
	v_and_b32_e32 v16, 7, v16
; %bb.7762:                             ;   in Loop: Header=BB6_6741 Depth=3
	s_or_b32 exec_lo, exec_lo, s75
	s_delay_alu instid0(VALU_DEP_1) | instskip(SKIP_1) | instid1(VALU_DEP_2)
	v_dual_lshlrev_b32 v2, 24, v33 :: v_dual_lshlrev_b32 v16, 20, v16
	v_lshl_add_u32 v0, v0, 23, 0x3c000000
	v_and_b32_e32 v2, 0x80000000, v2
	s_delay_alu instid0(VALU_DEP_1)
	v_or3_b32 v18, v16, v2, v0
.LBB6_7763:                             ;   in Loop: Header=BB6_6741 Depth=3
	s_or_b32 exec_lo, exec_lo, s74
.LBB6_7764:                             ;   in Loop: Header=BB6_6741 Depth=3
	s_delay_alu instid0(SALU_CYCLE_1)
	s_or_b32 exec_lo, exec_lo, s45
.LBB6_7765:                             ;   in Loop: Header=BB6_6741 Depth=3
	s_delay_alu instid0(SALU_CYCLE_1) | instskip(NEXT) | instid1(VALU_DEP_1)
	s_or_b32 exec_lo, exec_lo, s13
	v_add_f32_e32 v0, v19, v18
                                        ; implicit-def: $vgpr33
	s_mov_b32 s13, exec_lo
	s_delay_alu instid0(VALU_DEP_1) | instskip(SKIP_1) | instid1(VALU_DEP_2)
	v_and_b32_e32 v2, 0x7f800000, v0
	v_lshrrev_b32_e32 v16, 24, v0
	v_cmpx_ne_u64_e32 0x7f800000, v[2:3]
	s_xor_b32 s45, exec_lo, s13
	s_cbranch_execz .LBB6_7783
; %bb.7766:                             ;   in Loop: Header=BB6_6741 Depth=3
	v_and_b32_e32 v2, 0x7fffffff, v0
	v_and_b32_e32 v35, 0x80, v16
                                        ; implicit-def: $vgpr33
	s_mov_b32 s13, exec_lo
	s_delay_alu instid0(VALU_DEP_2)
	v_cmpx_gt_u64_e32 0x43e00001, v[2:3]
	s_xor_b32 s74, exec_lo, s13
	s_cbranch_execz .LBB6_7780
; %bb.7767:                             ;   in Loop: Header=BB6_6741 Depth=3
	v_mov_b32_e32 v33, 0
	s_mov_b32 s75, exec_lo
	v_cmpx_ne_u32_e32 0, v0
	s_cbranch_execz .LBB6_7779
; %bb.7768:                             ;   in Loop: Header=BB6_6741 Depth=3
	v_bfe_u32 v33, v0, 23, 8
	v_and_b32_e32 v2, 0x7fffff, v0
	s_delay_alu instid0(VALU_DEP_2) | instskip(SKIP_2) | instid1(VALU_DEP_4)
	v_cmp_gt_u32_e64 s13, 0x7a, v33
	v_sub_nc_u32_e32 v0, 0x79, v33
	v_cmp_eq_u32_e32 vcc_lo, 0, v33
	v_or_b32_e32 v16, 0x800000, v2
	s_delay_alu instid0(VALU_DEP_1) | instskip(NEXT) | instid1(VALU_DEP_1)
	v_dual_cndmask_b32 v0, 0, v0, s13 :: v_dual_cndmask_b32 v2, v16, v2, vcc_lo
	v_cndmask_b32_e64 v0, v0, 0x78, vcc_lo
	s_delay_alu instid0(VALU_DEP_1) | instskip(NEXT) | instid1(VALU_DEP_1)
	v_dual_add_nc_u32 v16, 20, v0 :: v_dual_add_nc_u32 v18, 19, v0
	v_lshlrev_b64_e64 v[16:17], v16, -1
	s_delay_alu instid0(VALU_DEP_2) | instskip(NEXT) | instid1(VALU_DEP_2)
	v_lshlrev_b64_e64 v[18:19], v18, 1
	v_bfi_b32 v17, v17, 0, 0
	s_delay_alu instid0(VALU_DEP_3) | instskip(NEXT) | instid1(VALU_DEP_1)
	v_bfi_b32 v16, v16, 0, v2
	v_cmp_eq_u64_e64 s13, v[16:17], v[18:19]
	v_lshrrev_b64 v[16:17], v0, v[2:3]
	s_delay_alu instid0(VALU_DEP_1)
	v_mov_b64_e32 v[18:19], v[16:17]
	s_and_saveexec_b32 s76, s13
; %bb.7769:                             ;   in Loop: Header=BB6_6741 Depth=3
	v_bfe_u32 v2, v16, 20, 1
	s_delay_alu instid0(VALU_DEP_1) | instskip(NEXT) | instid1(VALU_DEP_1)
	v_add_nc_u64_e32 v[18:19], v[16:17], v[2:3]
	v_add_nc_u64_e32 v[18:19], -1, v[18:19]
; %bb.7770:                             ;   in Loop: Header=BB6_6741 Depth=3
	s_or_b32 exec_lo, exec_lo, s76
	v_add_nc_u32_e32 v2, 0xffffff81, v33
	v_lshrrev_b32_e32 v17, 23, v16
	s_mov_b32 s13, exec_lo
	s_delay_alu instid0(VALU_DEP_2) | instskip(NEXT) | instid1(VALU_DEP_1)
	v_cndmask_b32_e64 v2, v2, 0xffffff82, vcc_lo
	v_add3_u32 v19, v0, v2, v17
	v_and_b32_e32 v0, 0xfffff, v18
	s_delay_alu instid0(VALU_DEP_1) | instskip(NEXT) | instid1(VALU_DEP_1)
	v_dual_add_nc_u32 v18, 6, v19 :: v_dual_add_nc_u32 v2, v0, v16
                                        ; implicit-def: $vgpr16_vgpr17
                                        ; implicit-def: $vgpr0
	v_cmpx_ne_u32_e32 0, v18
	s_xor_b32 s13, exec_lo, s13
; %bb.7771:                             ;   in Loop: Header=BB6_6741 Depth=3
	s_delay_alu instid0(VALU_DEP_2) | instskip(SKIP_2) | instid1(VALU_DEP_2)
	v_cmp_lt_u64_e32 vcc_lo, 0xffffff, v[2:3]
	v_add_nc_u32_e32 v0, 7, v19
	v_cndmask_b32_e64 v16, 0, 1, vcc_lo
	v_cndmask_b32_e32 v0, v18, v0, vcc_lo
	s_delay_alu instid0(VALU_DEP_2)
	v_lshrrev_b64 v[16:17], v16, v[2:3]
; %bb.7772:                             ;   in Loop: Header=BB6_6741 Depth=3
	s_and_not1_saveexec_b32 s13, s13
; %bb.7773:                             ;   in Loop: Header=BB6_6741 Depth=3
	v_mov_b64_e32 v[16:17], v[2:3]
	v_bfe_u32 v0, v2, 23, 1
; %bb.7774:                             ;   in Loop: Header=BB6_6741 Depth=3
	s_or_b32 exec_lo, exec_lo, s13
	s_delay_alu instid0(VALU_DEP_2) | instskip(NEXT) | instid1(VALU_DEP_2)
	v_lshrrev_b64 v[16:17], 20, v[16:17]
	v_cmp_gt_i32_e32 vcc_lo, 16, v0
	v_cmp_ne_u32_e64 s13, 0, v0
                                        ; implicit-def: $vgpr33
	s_delay_alu instid0(VALU_DEP_3) | instskip(NEXT) | instid1(VALU_DEP_1)
	v_dual_cndmask_b32 v17, 0, v17 :: v_dual_cndmask_b32 v16, 7, v16
	v_cmp_ne_u64_e32 vcc_lo, 0, v[16:17]
	s_or_b32 s13, s13, vcc_lo
	s_delay_alu instid0(SALU_CYCLE_1) | instskip(NEXT) | instid1(SALU_CYCLE_1)
	s_and_saveexec_b32 s76, s13
	s_xor_b32 s13, exec_lo, s76
; %bb.7775:                             ;   in Loop: Header=BB6_6741 Depth=3
	v_min_i32_e32 v0, 15, v0
	s_delay_alu instid0(VALU_DEP_1) | instskip(NEXT) | instid1(VALU_DEP_1)
	v_lshl_or_b32 v0, v0, 3, v35
                                        ; implicit-def: $vgpr35
	v_and_or_b32 v33, v16, 7, v0
; %bb.7776:                             ;   in Loop: Header=BB6_6741 Depth=3
	s_and_not1_saveexec_b32 s13, s13
; %bb.7777:                             ;   in Loop: Header=BB6_6741 Depth=3
	v_mov_b32_e32 v33, v35
; %bb.7778:                             ;   in Loop: Header=BB6_6741 Depth=3
	s_or_b32 exec_lo, exec_lo, s13
.LBB6_7779:                             ;   in Loop: Header=BB6_6741 Depth=3
	s_delay_alu instid0(SALU_CYCLE_1)
	s_or_b32 exec_lo, exec_lo, s75
                                        ; implicit-def: $vgpr35
.LBB6_7780:                             ;   in Loop: Header=BB6_6741 Depth=3
	s_and_not1_saveexec_b32 s13, s74
; %bb.7781:                             ;   in Loop: Header=BB6_6741 Depth=3
	v_or_b32_e32 v33, 0x7e, v35
; %bb.7782:                             ;   in Loop: Header=BB6_6741 Depth=3
	s_or_b32 exec_lo, exec_lo, s13
                                        ; implicit-def: $vgpr16
.LBB6_7783:                             ;   in Loop: Header=BB6_6741 Depth=3
	s_and_not1_saveexec_b32 s13, s45
; %bb.7784:                             ;   in Loop: Header=BB6_6741 Depth=3
	v_or_b32_e32 v33, 0x7f, v16
; %bb.7785:                             ;   in Loop: Header=BB6_6741 Depth=3
	s_or_b32 exec_lo, exec_lo, s13
	v_and_b32_e32 v0, 0xff, v32
	v_dual_mov_b32 v18, 0 :: v_dual_mov_b32 v19, 0
	s_mov_b32 s13, exec_lo
	s_delay_alu instid0(VALU_DEP_2)
	v_cmpx_ne_u16_e32 0, v0
	s_cbranch_execz .LBB6_7793
; %bb.7786:                             ;   in Loop: Header=BB6_6741 Depth=3
	v_bfrev_b32_e32 v19, 1
	s_mov_b32 s45, exec_lo
	v_cmpx_ne_u16_e32 0x80, v0
	s_cbranch_execz .LBB6_7792
; %bb.7787:                             ;   in Loop: Header=BB6_6741 Depth=3
	v_and_b32_e32 v16, 0x7f, v32
	v_mov_b32_e32 v19, 0x7f800001
	s_mov_b32 s74, exec_lo
	s_delay_alu instid0(VALU_DEP_2)
	v_cmpx_ne_u32_e32 0x7f, v16
	s_cbranch_execz .LBB6_7791
; %bb.7788:                             ;   in Loop: Header=BB6_6741 Depth=3
	v_and_b32_e32 v2, 7, v0
	v_lshrrev_b32_e32 v0, 3, v16
	v_cmp_gt_u32_e32 vcc_lo, 8, v16
	s_delay_alu instid0(VALU_DEP_3)
	v_mov_b64_e32 v[16:17], v[2:3]
	s_and_saveexec_b32 s75, vcc_lo
; %bb.7789:                             ;   in Loop: Header=BB6_6741 Depth=3
	v_clz_i32_u32_e32 v0, v2
	s_delay_alu instid0(VALU_DEP_1) | instskip(NEXT) | instid1(VALU_DEP_1)
	v_min_u32_e32 v0, 32, v0
	v_subrev_nc_u32_e32 v16, 28, v0
	v_sub_nc_u32_e32 v0, 29, v0
	s_delay_alu instid0(VALU_DEP_2) | instskip(NEXT) | instid1(VALU_DEP_1)
	v_lshlrev_b64_e32 v[16:17], v16, v[2:3]
	v_and_b32_e32 v16, 7, v16
; %bb.7790:                             ;   in Loop: Header=BB6_6741 Depth=3
	s_or_b32 exec_lo, exec_lo, s75
	v_lshlrev_b32_e32 v2, 24, v32
	s_delay_alu instid0(VALU_DEP_2) | instskip(SKIP_1) | instid1(VALU_DEP_3)
	v_lshlrev_b32_e32 v16, 20, v16
	v_lshl_add_u32 v0, v0, 23, 0x3c000000
	v_and_b32_e32 v2, 0x80000000, v2
	s_delay_alu instid0(VALU_DEP_1)
	v_or3_b32 v19, v16, v2, v0
.LBB6_7791:                             ;   in Loop: Header=BB6_6741 Depth=3
	s_or_b32 exec_lo, exec_lo, s74
.LBB6_7792:                             ;   in Loop: Header=BB6_6741 Depth=3
	s_delay_alu instid0(SALU_CYCLE_1)
	s_or_b32 exec_lo, exec_lo, s45
.LBB6_7793:                             ;   in Loop: Header=BB6_6741 Depth=3
	s_delay_alu instid0(SALU_CYCLE_1) | instskip(SKIP_3) | instid1(VALU_DEP_1)
	s_or_b32 exec_lo, exec_lo, s13
	s_wait_loadcnt_dscnt 0x202
	v_and_b32_e32 v0, 0xff, v29
	s_mov_b32 s13, exec_lo
	v_cmpx_ne_u16_e32 0, v0
	s_cbranch_execz .LBB6_7801
; %bb.7794:                             ;   in Loop: Header=BB6_6741 Depth=3
	v_bfrev_b32_e32 v18, 1
	s_mov_b32 s45, exec_lo
	v_cmpx_ne_u16_e32 0x80, v0
	s_cbranch_execz .LBB6_7800
; %bb.7795:                             ;   in Loop: Header=BB6_6741 Depth=3
	v_and_b32_e32 v16, 0x7f, v29
	v_mov_b32_e32 v18, 0x7f800001
	s_mov_b32 s74, exec_lo
	s_delay_alu instid0(VALU_DEP_2)
	v_cmpx_ne_u32_e32 0x7f, v16
	s_cbranch_execz .LBB6_7799
; %bb.7796:                             ;   in Loop: Header=BB6_6741 Depth=3
	v_and_b32_e32 v2, 7, v0
	v_lshrrev_b32_e32 v0, 3, v16
	v_cmp_gt_u32_e32 vcc_lo, 8, v16
	s_delay_alu instid0(VALU_DEP_3)
	v_mov_b64_e32 v[16:17], v[2:3]
	s_and_saveexec_b32 s75, vcc_lo
; %bb.7797:                             ;   in Loop: Header=BB6_6741 Depth=3
	v_clz_i32_u32_e32 v0, v2
	s_delay_alu instid0(VALU_DEP_1) | instskip(NEXT) | instid1(VALU_DEP_1)
	v_min_u32_e32 v0, 32, v0
	v_subrev_nc_u32_e32 v16, 28, v0
	v_sub_nc_u32_e32 v0, 29, v0
	s_delay_alu instid0(VALU_DEP_2) | instskip(NEXT) | instid1(VALU_DEP_1)
	v_lshlrev_b64_e32 v[16:17], v16, v[2:3]
	v_and_b32_e32 v16, 7, v16
; %bb.7798:                             ;   in Loop: Header=BB6_6741 Depth=3
	s_or_b32 exec_lo, exec_lo, s75
	s_delay_alu instid0(VALU_DEP_1) | instskip(SKIP_1) | instid1(VALU_DEP_2)
	v_dual_lshlrev_b32 v2, 24, v29 :: v_dual_lshlrev_b32 v16, 20, v16
	v_lshl_add_u32 v0, v0, 23, 0x3c000000
	v_and_b32_e32 v2, 0x80000000, v2
	s_delay_alu instid0(VALU_DEP_1)
	v_or3_b32 v18, v16, v2, v0
.LBB6_7799:                             ;   in Loop: Header=BB6_6741 Depth=3
	s_or_b32 exec_lo, exec_lo, s74
.LBB6_7800:                             ;   in Loop: Header=BB6_6741 Depth=3
	s_delay_alu instid0(SALU_CYCLE_1)
	s_or_b32 exec_lo, exec_lo, s45
.LBB6_7801:                             ;   in Loop: Header=BB6_6741 Depth=3
	s_delay_alu instid0(SALU_CYCLE_1) | instskip(NEXT) | instid1(VALU_DEP_1)
	s_or_b32 exec_lo, exec_lo, s13
	v_add_f32_e32 v0, v19, v18
                                        ; implicit-def: $vgpr29
	s_mov_b32 s13, exec_lo
	s_delay_alu instid0(VALU_DEP_1) | instskip(SKIP_1) | instid1(VALU_DEP_2)
	v_and_b32_e32 v2, 0x7f800000, v0
	v_lshrrev_b32_e32 v16, 24, v0
	v_cmpx_ne_u64_e32 0x7f800000, v[2:3]
	s_xor_b32 s45, exec_lo, s13
	s_cbranch_execz .LBB6_7819
; %bb.7802:                             ;   in Loop: Header=BB6_6741 Depth=3
	v_and_b32_e32 v2, 0x7fffffff, v0
	v_and_b32_e32 v32, 0x80, v16
                                        ; implicit-def: $vgpr29
	s_mov_b32 s13, exec_lo
	s_delay_alu instid0(VALU_DEP_2)
	v_cmpx_gt_u64_e32 0x43e00001, v[2:3]
	s_xor_b32 s74, exec_lo, s13
	s_cbranch_execz .LBB6_7816
; %bb.7803:                             ;   in Loop: Header=BB6_6741 Depth=3
	v_mov_b32_e32 v29, 0
	s_mov_b32 s75, exec_lo
	v_cmpx_ne_u32_e32 0, v0
	s_cbranch_execz .LBB6_7815
; %bb.7804:                             ;   in Loop: Header=BB6_6741 Depth=3
	v_bfe_u32 v29, v0, 23, 8
	v_and_b32_e32 v2, 0x7fffff, v0
	s_delay_alu instid0(VALU_DEP_2) | instskip(SKIP_2) | instid1(VALU_DEP_4)
	v_cmp_gt_u32_e64 s13, 0x7a, v29
	v_sub_nc_u32_e32 v0, 0x79, v29
	v_cmp_eq_u32_e32 vcc_lo, 0, v29
	v_or_b32_e32 v16, 0x800000, v2
	s_delay_alu instid0(VALU_DEP_1) | instskip(NEXT) | instid1(VALU_DEP_1)
	v_dual_cndmask_b32 v0, 0, v0, s13 :: v_dual_cndmask_b32 v2, v16, v2, vcc_lo
	v_cndmask_b32_e64 v0, v0, 0x78, vcc_lo
	s_delay_alu instid0(VALU_DEP_1) | instskip(NEXT) | instid1(VALU_DEP_1)
	v_dual_add_nc_u32 v16, 20, v0 :: v_dual_add_nc_u32 v18, 19, v0
	v_lshlrev_b64_e64 v[16:17], v16, -1
	s_delay_alu instid0(VALU_DEP_2) | instskip(NEXT) | instid1(VALU_DEP_2)
	v_lshlrev_b64_e64 v[18:19], v18, 1
	v_bfi_b32 v17, v17, 0, 0
	s_delay_alu instid0(VALU_DEP_3) | instskip(NEXT) | instid1(VALU_DEP_1)
	v_bfi_b32 v16, v16, 0, v2
	v_cmp_eq_u64_e64 s13, v[16:17], v[18:19]
	v_lshrrev_b64 v[16:17], v0, v[2:3]
	s_delay_alu instid0(VALU_DEP_1)
	v_mov_b64_e32 v[18:19], v[16:17]
	s_and_saveexec_b32 s76, s13
; %bb.7805:                             ;   in Loop: Header=BB6_6741 Depth=3
	v_bfe_u32 v2, v16, 20, 1
	s_delay_alu instid0(VALU_DEP_1) | instskip(NEXT) | instid1(VALU_DEP_1)
	v_add_nc_u64_e32 v[18:19], v[16:17], v[2:3]
	v_add_nc_u64_e32 v[18:19], -1, v[18:19]
; %bb.7806:                             ;   in Loop: Header=BB6_6741 Depth=3
	s_or_b32 exec_lo, exec_lo, s76
	v_add_nc_u32_e32 v2, 0xffffff81, v29
	v_lshrrev_b32_e32 v17, 23, v16
	s_mov_b32 s13, exec_lo
	s_delay_alu instid0(VALU_DEP_2) | instskip(NEXT) | instid1(VALU_DEP_1)
	v_cndmask_b32_e64 v2, v2, 0xffffff82, vcc_lo
	v_add3_u32 v19, v0, v2, v17
	v_and_b32_e32 v0, 0xfffff, v18
	s_delay_alu instid0(VALU_DEP_1) | instskip(NEXT) | instid1(VALU_DEP_1)
	v_dual_add_nc_u32 v18, 6, v19 :: v_dual_add_nc_u32 v2, v0, v16
                                        ; implicit-def: $vgpr16_vgpr17
                                        ; implicit-def: $vgpr0
	v_cmpx_ne_u32_e32 0, v18
	s_xor_b32 s13, exec_lo, s13
; %bb.7807:                             ;   in Loop: Header=BB6_6741 Depth=3
	s_delay_alu instid0(VALU_DEP_2) | instskip(SKIP_2) | instid1(VALU_DEP_2)
	v_cmp_lt_u64_e32 vcc_lo, 0xffffff, v[2:3]
	v_add_nc_u32_e32 v0, 7, v19
	v_cndmask_b32_e64 v16, 0, 1, vcc_lo
	v_cndmask_b32_e32 v0, v18, v0, vcc_lo
	s_delay_alu instid0(VALU_DEP_2)
	v_lshrrev_b64 v[16:17], v16, v[2:3]
; %bb.7808:                             ;   in Loop: Header=BB6_6741 Depth=3
	s_and_not1_saveexec_b32 s13, s13
; %bb.7809:                             ;   in Loop: Header=BB6_6741 Depth=3
	v_mov_b64_e32 v[16:17], v[2:3]
	v_bfe_u32 v0, v2, 23, 1
; %bb.7810:                             ;   in Loop: Header=BB6_6741 Depth=3
	s_or_b32 exec_lo, exec_lo, s13
	s_delay_alu instid0(VALU_DEP_2) | instskip(NEXT) | instid1(VALU_DEP_2)
	v_lshrrev_b64 v[16:17], 20, v[16:17]
	v_cmp_gt_i32_e32 vcc_lo, 16, v0
	v_cmp_ne_u32_e64 s13, 0, v0
                                        ; implicit-def: $vgpr29
	s_delay_alu instid0(VALU_DEP_3) | instskip(NEXT) | instid1(VALU_DEP_1)
	v_dual_cndmask_b32 v17, 0, v17 :: v_dual_cndmask_b32 v16, 7, v16
	v_cmp_ne_u64_e32 vcc_lo, 0, v[16:17]
	s_or_b32 s13, s13, vcc_lo
	s_delay_alu instid0(SALU_CYCLE_1) | instskip(NEXT) | instid1(SALU_CYCLE_1)
	s_and_saveexec_b32 s76, s13
	s_xor_b32 s13, exec_lo, s76
; %bb.7811:                             ;   in Loop: Header=BB6_6741 Depth=3
	v_min_i32_e32 v0, 15, v0
	s_delay_alu instid0(VALU_DEP_1) | instskip(NEXT) | instid1(VALU_DEP_1)
	v_lshl_or_b32 v0, v0, 3, v32
                                        ; implicit-def: $vgpr32
	v_and_or_b32 v29, v16, 7, v0
; %bb.7812:                             ;   in Loop: Header=BB6_6741 Depth=3
	s_and_not1_saveexec_b32 s13, s13
; %bb.7813:                             ;   in Loop: Header=BB6_6741 Depth=3
	v_mov_b32_e32 v29, v32
; %bb.7814:                             ;   in Loop: Header=BB6_6741 Depth=3
	s_or_b32 exec_lo, exec_lo, s13
.LBB6_7815:                             ;   in Loop: Header=BB6_6741 Depth=3
	s_delay_alu instid0(SALU_CYCLE_1)
	s_or_b32 exec_lo, exec_lo, s75
                                        ; implicit-def: $vgpr32
.LBB6_7816:                             ;   in Loop: Header=BB6_6741 Depth=3
	s_and_not1_saveexec_b32 s13, s74
; %bb.7817:                             ;   in Loop: Header=BB6_6741 Depth=3
	v_or_b32_e32 v29, 0x7e, v32
; %bb.7818:                             ;   in Loop: Header=BB6_6741 Depth=3
	s_or_b32 exec_lo, exec_lo, s13
                                        ; implicit-def: $vgpr16
.LBB6_7819:                             ;   in Loop: Header=BB6_6741 Depth=3
	s_and_not1_saveexec_b32 s13, s45
; %bb.7820:                             ;   in Loop: Header=BB6_6741 Depth=3
	v_or_b32_e32 v29, 0x7f, v16
; %bb.7821:                             ;   in Loop: Header=BB6_6741 Depth=3
	s_or_b32 exec_lo, exec_lo, s13
	v_and_b32_e32 v0, 0xff, v28
	v_dual_mov_b32 v18, 0 :: v_dual_mov_b32 v19, 0
	s_mov_b32 s13, exec_lo
	s_delay_alu instid0(VALU_DEP_2)
	v_cmpx_ne_u16_e32 0, v0
	s_cbranch_execz .LBB6_7829
; %bb.7822:                             ;   in Loop: Header=BB6_6741 Depth=3
	v_bfrev_b32_e32 v19, 1
	s_mov_b32 s45, exec_lo
	v_cmpx_ne_u16_e32 0x80, v0
	s_cbranch_execz .LBB6_7828
; %bb.7823:                             ;   in Loop: Header=BB6_6741 Depth=3
	v_and_b32_e32 v16, 0x7f, v28
	v_mov_b32_e32 v19, 0x7f800001
	s_mov_b32 s74, exec_lo
	s_delay_alu instid0(VALU_DEP_2)
	v_cmpx_ne_u32_e32 0x7f, v16
	s_cbranch_execz .LBB6_7827
; %bb.7824:                             ;   in Loop: Header=BB6_6741 Depth=3
	v_and_b32_e32 v2, 7, v0
	v_lshrrev_b32_e32 v0, 3, v16
	v_cmp_gt_u32_e32 vcc_lo, 8, v16
	s_delay_alu instid0(VALU_DEP_3)
	v_mov_b64_e32 v[16:17], v[2:3]
	s_and_saveexec_b32 s75, vcc_lo
; %bb.7825:                             ;   in Loop: Header=BB6_6741 Depth=3
	v_clz_i32_u32_e32 v0, v2
	s_delay_alu instid0(VALU_DEP_1) | instskip(NEXT) | instid1(VALU_DEP_1)
	v_min_u32_e32 v0, 32, v0
	v_subrev_nc_u32_e32 v16, 28, v0
	v_sub_nc_u32_e32 v0, 29, v0
	s_delay_alu instid0(VALU_DEP_2) | instskip(NEXT) | instid1(VALU_DEP_1)
	v_lshlrev_b64_e32 v[16:17], v16, v[2:3]
	v_and_b32_e32 v16, 7, v16
; %bb.7826:                             ;   in Loop: Header=BB6_6741 Depth=3
	s_or_b32 exec_lo, exec_lo, s75
	v_lshlrev_b32_e32 v2, 24, v28
	s_delay_alu instid0(VALU_DEP_2) | instskip(SKIP_1) | instid1(VALU_DEP_3)
	v_lshlrev_b32_e32 v16, 20, v16
	v_lshl_add_u32 v0, v0, 23, 0x3c000000
	v_and_b32_e32 v2, 0x80000000, v2
	s_delay_alu instid0(VALU_DEP_1)
	v_or3_b32 v19, v16, v2, v0
.LBB6_7827:                             ;   in Loop: Header=BB6_6741 Depth=3
	s_or_b32 exec_lo, exec_lo, s74
.LBB6_7828:                             ;   in Loop: Header=BB6_6741 Depth=3
	s_delay_alu instid0(SALU_CYCLE_1)
	s_or_b32 exec_lo, exec_lo, s45
.LBB6_7829:                             ;   in Loop: Header=BB6_6741 Depth=3
	s_delay_alu instid0(SALU_CYCLE_1) | instskip(SKIP_3) | instid1(VALU_DEP_1)
	s_or_b32 exec_lo, exec_lo, s13
	s_wait_loadcnt_dscnt 0x101
	v_and_b32_e32 v0, 0xff, v26
	s_mov_b32 s13, exec_lo
	v_cmpx_ne_u16_e32 0, v0
	s_cbranch_execz .LBB6_7837
; %bb.7830:                             ;   in Loop: Header=BB6_6741 Depth=3
	v_bfrev_b32_e32 v18, 1
	s_mov_b32 s45, exec_lo
	v_cmpx_ne_u16_e32 0x80, v0
	s_cbranch_execz .LBB6_7836
; %bb.7831:                             ;   in Loop: Header=BB6_6741 Depth=3
	v_and_b32_e32 v16, 0x7f, v26
	v_mov_b32_e32 v18, 0x7f800001
	s_mov_b32 s74, exec_lo
	s_delay_alu instid0(VALU_DEP_2)
	v_cmpx_ne_u32_e32 0x7f, v16
	s_cbranch_execz .LBB6_7835
; %bb.7832:                             ;   in Loop: Header=BB6_6741 Depth=3
	v_and_b32_e32 v2, 7, v0
	v_lshrrev_b32_e32 v0, 3, v16
	v_cmp_gt_u32_e32 vcc_lo, 8, v16
	s_delay_alu instid0(VALU_DEP_3)
	v_mov_b64_e32 v[16:17], v[2:3]
	s_and_saveexec_b32 s75, vcc_lo
; %bb.7833:                             ;   in Loop: Header=BB6_6741 Depth=3
	v_clz_i32_u32_e32 v0, v2
	s_delay_alu instid0(VALU_DEP_1) | instskip(NEXT) | instid1(VALU_DEP_1)
	v_min_u32_e32 v0, 32, v0
	v_subrev_nc_u32_e32 v16, 28, v0
	v_sub_nc_u32_e32 v0, 29, v0
	s_delay_alu instid0(VALU_DEP_2) | instskip(NEXT) | instid1(VALU_DEP_1)
	v_lshlrev_b64_e32 v[16:17], v16, v[2:3]
	v_and_b32_e32 v16, 7, v16
; %bb.7834:                             ;   in Loop: Header=BB6_6741 Depth=3
	s_or_b32 exec_lo, exec_lo, s75
	s_delay_alu instid0(VALU_DEP_1) | instskip(SKIP_1) | instid1(VALU_DEP_2)
	v_dual_lshlrev_b32 v2, 24, v26 :: v_dual_lshlrev_b32 v16, 20, v16
	v_lshl_add_u32 v0, v0, 23, 0x3c000000
	v_and_b32_e32 v2, 0x80000000, v2
	s_delay_alu instid0(VALU_DEP_1)
	v_or3_b32 v18, v16, v2, v0
.LBB6_7835:                             ;   in Loop: Header=BB6_6741 Depth=3
	s_or_b32 exec_lo, exec_lo, s74
.LBB6_7836:                             ;   in Loop: Header=BB6_6741 Depth=3
	s_delay_alu instid0(SALU_CYCLE_1)
	s_or_b32 exec_lo, exec_lo, s45
.LBB6_7837:                             ;   in Loop: Header=BB6_6741 Depth=3
	s_delay_alu instid0(SALU_CYCLE_1) | instskip(NEXT) | instid1(VALU_DEP_1)
	s_or_b32 exec_lo, exec_lo, s13
	v_add_f32_e32 v0, v19, v18
                                        ; implicit-def: $vgpr26
	s_mov_b32 s13, exec_lo
	s_delay_alu instid0(VALU_DEP_1) | instskip(SKIP_1) | instid1(VALU_DEP_2)
	v_and_b32_e32 v2, 0x7f800000, v0
	v_lshrrev_b32_e32 v16, 24, v0
	v_cmpx_ne_u64_e32 0x7f800000, v[2:3]
	s_xor_b32 s45, exec_lo, s13
	s_cbranch_execz .LBB6_7855
; %bb.7838:                             ;   in Loop: Header=BB6_6741 Depth=3
	v_and_b32_e32 v2, 0x7fffffff, v0
	v_and_b32_e32 v28, 0x80, v16
                                        ; implicit-def: $vgpr26
	s_mov_b32 s13, exec_lo
	s_delay_alu instid0(VALU_DEP_2)
	v_cmpx_gt_u64_e32 0x43e00001, v[2:3]
	s_xor_b32 s74, exec_lo, s13
	s_cbranch_execz .LBB6_7852
; %bb.7839:                             ;   in Loop: Header=BB6_6741 Depth=3
	v_mov_b32_e32 v26, 0
	s_mov_b32 s75, exec_lo
	v_cmpx_ne_u32_e32 0, v0
	s_cbranch_execz .LBB6_7851
; %bb.7840:                             ;   in Loop: Header=BB6_6741 Depth=3
	v_bfe_u32 v26, v0, 23, 8
	v_and_b32_e32 v2, 0x7fffff, v0
	s_delay_alu instid0(VALU_DEP_2) | instskip(SKIP_2) | instid1(VALU_DEP_4)
	v_cmp_gt_u32_e64 s13, 0x7a, v26
	v_sub_nc_u32_e32 v0, 0x79, v26
	v_cmp_eq_u32_e32 vcc_lo, 0, v26
	v_or_b32_e32 v16, 0x800000, v2
	s_delay_alu instid0(VALU_DEP_1) | instskip(NEXT) | instid1(VALU_DEP_1)
	v_dual_cndmask_b32 v0, 0, v0, s13 :: v_dual_cndmask_b32 v2, v16, v2, vcc_lo
	v_cndmask_b32_e64 v0, v0, 0x78, vcc_lo
	s_delay_alu instid0(VALU_DEP_1) | instskip(NEXT) | instid1(VALU_DEP_1)
	v_dual_add_nc_u32 v16, 20, v0 :: v_dual_add_nc_u32 v18, 19, v0
	v_lshlrev_b64_e64 v[16:17], v16, -1
	s_delay_alu instid0(VALU_DEP_2) | instskip(NEXT) | instid1(VALU_DEP_2)
	v_lshlrev_b64_e64 v[18:19], v18, 1
	v_bfi_b32 v17, v17, 0, 0
	s_delay_alu instid0(VALU_DEP_3) | instskip(NEXT) | instid1(VALU_DEP_1)
	v_bfi_b32 v16, v16, 0, v2
	v_cmp_eq_u64_e64 s13, v[16:17], v[18:19]
	v_lshrrev_b64 v[16:17], v0, v[2:3]
	s_delay_alu instid0(VALU_DEP_1)
	v_mov_b64_e32 v[18:19], v[16:17]
	s_and_saveexec_b32 s76, s13
; %bb.7841:                             ;   in Loop: Header=BB6_6741 Depth=3
	v_bfe_u32 v2, v16, 20, 1
	s_delay_alu instid0(VALU_DEP_1) | instskip(NEXT) | instid1(VALU_DEP_1)
	v_add_nc_u64_e32 v[18:19], v[16:17], v[2:3]
	v_add_nc_u64_e32 v[18:19], -1, v[18:19]
; %bb.7842:                             ;   in Loop: Header=BB6_6741 Depth=3
	s_or_b32 exec_lo, exec_lo, s76
	v_add_nc_u32_e32 v2, 0xffffff81, v26
	v_lshrrev_b32_e32 v17, 23, v16
	s_mov_b32 s13, exec_lo
	s_delay_alu instid0(VALU_DEP_2) | instskip(NEXT) | instid1(VALU_DEP_1)
	v_cndmask_b32_e64 v2, v2, 0xffffff82, vcc_lo
	v_add3_u32 v19, v0, v2, v17
	v_and_b32_e32 v0, 0xfffff, v18
	s_delay_alu instid0(VALU_DEP_1) | instskip(NEXT) | instid1(VALU_DEP_1)
	v_dual_add_nc_u32 v18, 6, v19 :: v_dual_add_nc_u32 v2, v0, v16
                                        ; implicit-def: $vgpr16_vgpr17
                                        ; implicit-def: $vgpr0
	v_cmpx_ne_u32_e32 0, v18
	s_xor_b32 s13, exec_lo, s13
; %bb.7843:                             ;   in Loop: Header=BB6_6741 Depth=3
	s_delay_alu instid0(VALU_DEP_2) | instskip(SKIP_2) | instid1(VALU_DEP_2)
	v_cmp_lt_u64_e32 vcc_lo, 0xffffff, v[2:3]
	v_add_nc_u32_e32 v0, 7, v19
	v_cndmask_b32_e64 v16, 0, 1, vcc_lo
	v_cndmask_b32_e32 v0, v18, v0, vcc_lo
	s_delay_alu instid0(VALU_DEP_2)
	v_lshrrev_b64 v[16:17], v16, v[2:3]
; %bb.7844:                             ;   in Loop: Header=BB6_6741 Depth=3
	s_and_not1_saveexec_b32 s13, s13
; %bb.7845:                             ;   in Loop: Header=BB6_6741 Depth=3
	v_mov_b64_e32 v[16:17], v[2:3]
	v_bfe_u32 v0, v2, 23, 1
; %bb.7846:                             ;   in Loop: Header=BB6_6741 Depth=3
	s_or_b32 exec_lo, exec_lo, s13
	s_delay_alu instid0(VALU_DEP_2) | instskip(NEXT) | instid1(VALU_DEP_2)
	v_lshrrev_b64 v[16:17], 20, v[16:17]
	v_cmp_gt_i32_e32 vcc_lo, 16, v0
	v_cmp_ne_u32_e64 s13, 0, v0
                                        ; implicit-def: $vgpr26
	s_delay_alu instid0(VALU_DEP_3) | instskip(NEXT) | instid1(VALU_DEP_1)
	v_dual_cndmask_b32 v17, 0, v17 :: v_dual_cndmask_b32 v16, 7, v16
	v_cmp_ne_u64_e32 vcc_lo, 0, v[16:17]
	s_or_b32 s13, s13, vcc_lo
	s_delay_alu instid0(SALU_CYCLE_1) | instskip(NEXT) | instid1(SALU_CYCLE_1)
	s_and_saveexec_b32 s76, s13
	s_xor_b32 s13, exec_lo, s76
; %bb.7847:                             ;   in Loop: Header=BB6_6741 Depth=3
	v_min_i32_e32 v0, 15, v0
	s_delay_alu instid0(VALU_DEP_1) | instskip(NEXT) | instid1(VALU_DEP_1)
	v_lshl_or_b32 v0, v0, 3, v28
                                        ; implicit-def: $vgpr28
	v_and_or_b32 v26, v16, 7, v0
; %bb.7848:                             ;   in Loop: Header=BB6_6741 Depth=3
	s_and_not1_saveexec_b32 s13, s13
; %bb.7849:                             ;   in Loop: Header=BB6_6741 Depth=3
	v_mov_b32_e32 v26, v28
; %bb.7850:                             ;   in Loop: Header=BB6_6741 Depth=3
	s_or_b32 exec_lo, exec_lo, s13
.LBB6_7851:                             ;   in Loop: Header=BB6_6741 Depth=3
	s_delay_alu instid0(SALU_CYCLE_1)
	s_or_b32 exec_lo, exec_lo, s75
                                        ; implicit-def: $vgpr28
.LBB6_7852:                             ;   in Loop: Header=BB6_6741 Depth=3
	s_and_not1_saveexec_b32 s13, s74
; %bb.7853:                             ;   in Loop: Header=BB6_6741 Depth=3
	v_or_b32_e32 v26, 0x7e, v28
; %bb.7854:                             ;   in Loop: Header=BB6_6741 Depth=3
	s_or_b32 exec_lo, exec_lo, s13
                                        ; implicit-def: $vgpr16
.LBB6_7855:                             ;   in Loop: Header=BB6_6741 Depth=3
	s_and_not1_saveexec_b32 s13, s45
; %bb.7856:                             ;   in Loop: Header=BB6_6741 Depth=3
	v_or_b32_e32 v26, 0x7f, v16
; %bb.7857:                             ;   in Loop: Header=BB6_6741 Depth=3
	s_or_b32 exec_lo, exec_lo, s13
	v_and_b32_e32 v0, 0xff, v25
	v_dual_mov_b32 v18, 0 :: v_dual_mov_b32 v19, 0
	s_mov_b32 s13, exec_lo
	s_delay_alu instid0(VALU_DEP_2)
	v_cmpx_ne_u16_e32 0, v0
	s_cbranch_execz .LBB6_7865
; %bb.7858:                             ;   in Loop: Header=BB6_6741 Depth=3
	v_bfrev_b32_e32 v19, 1
	s_mov_b32 s45, exec_lo
	v_cmpx_ne_u16_e32 0x80, v0
	s_cbranch_execz .LBB6_7864
; %bb.7859:                             ;   in Loop: Header=BB6_6741 Depth=3
	v_and_b32_e32 v16, 0x7f, v25
	v_mov_b32_e32 v19, 0x7f800001
	s_mov_b32 s74, exec_lo
	s_delay_alu instid0(VALU_DEP_2)
	v_cmpx_ne_u32_e32 0x7f, v16
	s_cbranch_execz .LBB6_7863
; %bb.7860:                             ;   in Loop: Header=BB6_6741 Depth=3
	v_and_b32_e32 v2, 7, v0
	v_lshrrev_b32_e32 v0, 3, v16
	v_cmp_gt_u32_e32 vcc_lo, 8, v16
	s_delay_alu instid0(VALU_DEP_3)
	v_mov_b64_e32 v[16:17], v[2:3]
	s_and_saveexec_b32 s75, vcc_lo
; %bb.7861:                             ;   in Loop: Header=BB6_6741 Depth=3
	v_clz_i32_u32_e32 v0, v2
	s_delay_alu instid0(VALU_DEP_1) | instskip(NEXT) | instid1(VALU_DEP_1)
	v_min_u32_e32 v0, 32, v0
	v_subrev_nc_u32_e32 v16, 28, v0
	v_sub_nc_u32_e32 v0, 29, v0
	s_delay_alu instid0(VALU_DEP_2) | instskip(NEXT) | instid1(VALU_DEP_1)
	v_lshlrev_b64_e32 v[16:17], v16, v[2:3]
	v_and_b32_e32 v16, 7, v16
; %bb.7862:                             ;   in Loop: Header=BB6_6741 Depth=3
	s_or_b32 exec_lo, exec_lo, s75
	s_delay_alu instid0(VALU_DEP_1) | instskip(SKIP_1) | instid1(VALU_DEP_2)
	v_dual_lshlrev_b32 v2, 24, v25 :: v_dual_lshlrev_b32 v16, 20, v16
	v_lshl_add_u32 v0, v0, 23, 0x3c000000
	v_and_b32_e32 v2, 0x80000000, v2
	s_delay_alu instid0(VALU_DEP_1)
	v_or3_b32 v19, v16, v2, v0
.LBB6_7863:                             ;   in Loop: Header=BB6_6741 Depth=3
	s_or_b32 exec_lo, exec_lo, s74
.LBB6_7864:                             ;   in Loop: Header=BB6_6741 Depth=3
	s_delay_alu instid0(SALU_CYCLE_1)
	s_or_b32 exec_lo, exec_lo, s45
.LBB6_7865:                             ;   in Loop: Header=BB6_6741 Depth=3
	s_delay_alu instid0(SALU_CYCLE_1) | instskip(SKIP_3) | instid1(VALU_DEP_1)
	s_or_b32 exec_lo, exec_lo, s13
	s_wait_loadcnt_dscnt 0x0
	v_and_b32_e32 v0, 0xff, v23
	s_mov_b32 s13, exec_lo
	v_cmpx_ne_u16_e32 0, v0
	s_cbranch_execz .LBB6_7873
; %bb.7866:                             ;   in Loop: Header=BB6_6741 Depth=3
	v_bfrev_b32_e32 v18, 1
	s_mov_b32 s45, exec_lo
	v_cmpx_ne_u16_e32 0x80, v0
	s_cbranch_execz .LBB6_7872
; %bb.7867:                             ;   in Loop: Header=BB6_6741 Depth=3
	v_and_b32_e32 v16, 0x7f, v23
	v_mov_b32_e32 v18, 0x7f800001
	s_mov_b32 s74, exec_lo
	s_delay_alu instid0(VALU_DEP_2)
	v_cmpx_ne_u32_e32 0x7f, v16
	s_cbranch_execz .LBB6_7871
; %bb.7868:                             ;   in Loop: Header=BB6_6741 Depth=3
	v_and_b32_e32 v2, 7, v0
	v_lshrrev_b32_e32 v0, 3, v16
	v_cmp_gt_u32_e32 vcc_lo, 8, v16
	s_delay_alu instid0(VALU_DEP_3)
	v_mov_b64_e32 v[16:17], v[2:3]
	s_and_saveexec_b32 s75, vcc_lo
; %bb.7869:                             ;   in Loop: Header=BB6_6741 Depth=3
	v_clz_i32_u32_e32 v0, v2
	s_delay_alu instid0(VALU_DEP_1) | instskip(NEXT) | instid1(VALU_DEP_1)
	v_min_u32_e32 v0, 32, v0
	v_subrev_nc_u32_e32 v16, 28, v0
	v_sub_nc_u32_e32 v0, 29, v0
	s_delay_alu instid0(VALU_DEP_2) | instskip(NEXT) | instid1(VALU_DEP_1)
	v_lshlrev_b64_e32 v[16:17], v16, v[2:3]
	v_and_b32_e32 v16, 7, v16
; %bb.7870:                             ;   in Loop: Header=BB6_6741 Depth=3
	s_or_b32 exec_lo, exec_lo, s75
	s_delay_alu instid0(VALU_DEP_1) | instskip(SKIP_1) | instid1(VALU_DEP_2)
	v_dual_lshlrev_b32 v2, 24, v23 :: v_dual_lshlrev_b32 v16, 20, v16
	v_lshl_add_u32 v0, v0, 23, 0x3c000000
	v_and_b32_e32 v2, 0x80000000, v2
	s_delay_alu instid0(VALU_DEP_1)
	v_or3_b32 v18, v16, v2, v0
.LBB6_7871:                             ;   in Loop: Header=BB6_6741 Depth=3
	s_or_b32 exec_lo, exec_lo, s74
.LBB6_7872:                             ;   in Loop: Header=BB6_6741 Depth=3
	s_delay_alu instid0(SALU_CYCLE_1)
	s_or_b32 exec_lo, exec_lo, s45
.LBB6_7873:                             ;   in Loop: Header=BB6_6741 Depth=3
	s_delay_alu instid0(SALU_CYCLE_1) | instskip(NEXT) | instid1(VALU_DEP_1)
	s_or_b32 exec_lo, exec_lo, s13
	v_add_f32_e32 v0, v19, v18
	s_delay_alu instid0(VALU_DEP_1) | instskip(SKIP_1) | instid1(VALU_DEP_2)
	v_and_b32_e32 v2, 0x7f800000, v0
	v_lshrrev_b32_e32 v16, 24, v0
	v_cmp_ne_u64_e32 vcc_lo, 0x7f800000, v[2:3]
                                        ; implicit-def: $vgpr2
	s_and_saveexec_b32 s13, vcc_lo
	s_delay_alu instid0(SALU_CYCLE_1)
	s_xor_b32 s45, exec_lo, s13
	s_cbranch_execz .LBB6_7891
; %bb.7874:                             ;   in Loop: Header=BB6_6741 Depth=3
	v_and_b32_e32 v2, 0x7fffffff, v0
	v_and_b32_e32 v23, 0x80, v16
	s_delay_alu instid0(VALU_DEP_2) | instskip(SKIP_1) | instid1(SALU_CYCLE_1)
	v_cmp_gt_u64_e32 vcc_lo, 0x43e00001, v[2:3]
                                        ; implicit-def: $vgpr2
	s_and_saveexec_b32 s13, vcc_lo
	s_xor_b32 s74, exec_lo, s13
	s_cbranch_execz .LBB6_7888
; %bb.7875:                             ;   in Loop: Header=BB6_6741 Depth=3
	v_mov_b32_e32 v2, 0
	s_mov_b32 s75, exec_lo
	v_cmpx_ne_u32_e32 0, v0
	s_cbranch_execz .LBB6_7887
; %bb.7876:                             ;   in Loop: Header=BB6_6741 Depth=3
	v_bfe_u32 v25, v0, 23, 8
	v_and_b32_e32 v2, 0x7fffff, v0
	s_delay_alu instid0(VALU_DEP_2) | instskip(SKIP_2) | instid1(VALU_DEP_4)
	v_cmp_gt_u32_e64 s13, 0x7a, v25
	v_sub_nc_u32_e32 v0, 0x79, v25
	v_cmp_eq_u32_e32 vcc_lo, 0, v25
	v_or_b32_e32 v16, 0x800000, v2
	s_delay_alu instid0(VALU_DEP_1) | instskip(NEXT) | instid1(VALU_DEP_1)
	v_dual_cndmask_b32 v0, 0, v0, s13 :: v_dual_cndmask_b32 v2, v16, v2, vcc_lo
	v_cndmask_b32_e64 v0, v0, 0x78, vcc_lo
	s_delay_alu instid0(VALU_DEP_1) | instskip(NEXT) | instid1(VALU_DEP_1)
	v_dual_add_nc_u32 v16, 20, v0 :: v_dual_add_nc_u32 v18, 19, v0
	v_lshlrev_b64_e64 v[16:17], v16, -1
	s_delay_alu instid0(VALU_DEP_2) | instskip(NEXT) | instid1(VALU_DEP_2)
	v_lshlrev_b64_e64 v[18:19], v18, 1
	v_bfi_b32 v17, v17, 0, 0
	s_delay_alu instid0(VALU_DEP_3) | instskip(NEXT) | instid1(VALU_DEP_1)
	v_bfi_b32 v16, v16, 0, v2
	v_cmp_eq_u64_e64 s13, v[16:17], v[18:19]
	v_lshrrev_b64 v[16:17], v0, v[2:3]
	s_delay_alu instid0(VALU_DEP_1)
	v_mov_b64_e32 v[18:19], v[16:17]
	s_and_saveexec_b32 s76, s13
; %bb.7877:                             ;   in Loop: Header=BB6_6741 Depth=3
	v_bfe_u32 v2, v16, 20, 1
	s_delay_alu instid0(VALU_DEP_1) | instskip(NEXT) | instid1(VALU_DEP_1)
	v_add_nc_u64_e32 v[18:19], v[16:17], v[2:3]
	v_add_nc_u64_e32 v[18:19], -1, v[18:19]
; %bb.7878:                             ;   in Loop: Header=BB6_6741 Depth=3
	s_or_b32 exec_lo, exec_lo, s76
	v_add_nc_u32_e32 v2, 0xffffff81, v25
	v_lshrrev_b32_e32 v17, 23, v16
	s_mov_b32 s13, exec_lo
	s_delay_alu instid0(VALU_DEP_2) | instskip(NEXT) | instid1(VALU_DEP_1)
	v_cndmask_b32_e64 v2, v2, 0xffffff82, vcc_lo
	v_add3_u32 v19, v0, v2, v17
	v_and_b32_e32 v0, 0xfffff, v18
	s_delay_alu instid0(VALU_DEP_1) | instskip(NEXT) | instid1(VALU_DEP_1)
	v_dual_add_nc_u32 v18, 6, v19 :: v_dual_add_nc_u32 v2, v0, v16
                                        ; implicit-def: $vgpr16_vgpr17
                                        ; implicit-def: $vgpr0
	v_cmpx_ne_u32_e32 0, v18
	s_xor_b32 s13, exec_lo, s13
; %bb.7879:                             ;   in Loop: Header=BB6_6741 Depth=3
	s_delay_alu instid0(VALU_DEP_2) | instskip(SKIP_2) | instid1(VALU_DEP_2)
	v_cmp_lt_u64_e32 vcc_lo, 0xffffff, v[2:3]
	v_add_nc_u32_e32 v0, 7, v19
	v_cndmask_b32_e64 v16, 0, 1, vcc_lo
	v_cndmask_b32_e32 v0, v18, v0, vcc_lo
	s_delay_alu instid0(VALU_DEP_2)
	v_lshrrev_b64 v[16:17], v16, v[2:3]
; %bb.7880:                             ;   in Loop: Header=BB6_6741 Depth=3
	s_and_not1_saveexec_b32 s13, s13
; %bb.7881:                             ;   in Loop: Header=BB6_6741 Depth=3
	v_mov_b64_e32 v[16:17], v[2:3]
	v_bfe_u32 v0, v2, 23, 1
; %bb.7882:                             ;   in Loop: Header=BB6_6741 Depth=3
	s_or_b32 exec_lo, exec_lo, s13
	s_delay_alu instid0(VALU_DEP_2) | instskip(NEXT) | instid1(VALU_DEP_2)
	v_lshrrev_b64 v[16:17], 20, v[16:17]
	v_cmp_gt_i32_e32 vcc_lo, 16, v0
	v_cmp_ne_u32_e64 s13, 0, v0
                                        ; implicit-def: $vgpr2
	s_delay_alu instid0(VALU_DEP_3) | instskip(NEXT) | instid1(VALU_DEP_1)
	v_dual_cndmask_b32 v17, 0, v17 :: v_dual_cndmask_b32 v16, 7, v16
	v_cmp_ne_u64_e32 vcc_lo, 0, v[16:17]
	s_or_b32 s13, s13, vcc_lo
	s_delay_alu instid0(SALU_CYCLE_1) | instskip(NEXT) | instid1(SALU_CYCLE_1)
	s_and_saveexec_b32 s76, s13
	s_xor_b32 s13, exec_lo, s76
; %bb.7883:                             ;   in Loop: Header=BB6_6741 Depth=3
	v_min_i32_e32 v0, 15, v0
	s_delay_alu instid0(VALU_DEP_1) | instskip(NEXT) | instid1(VALU_DEP_1)
	v_lshl_or_b32 v0, v0, 3, v23
                                        ; implicit-def: $vgpr23
	v_and_or_b32 v2, v16, 7, v0
; %bb.7884:                             ;   in Loop: Header=BB6_6741 Depth=3
	s_and_not1_saveexec_b32 s13, s13
; %bb.7885:                             ;   in Loop: Header=BB6_6741 Depth=3
	v_mov_b32_e32 v2, v23
; %bb.7886:                             ;   in Loop: Header=BB6_6741 Depth=3
	s_or_b32 exec_lo, exec_lo, s13
.LBB6_7887:                             ;   in Loop: Header=BB6_6741 Depth=3
	s_delay_alu instid0(SALU_CYCLE_1)
	s_or_b32 exec_lo, exec_lo, s75
                                        ; implicit-def: $vgpr23
.LBB6_7888:                             ;   in Loop: Header=BB6_6741 Depth=3
	s_and_not1_saveexec_b32 s13, s74
; %bb.7889:                             ;   in Loop: Header=BB6_6741 Depth=3
	v_or_b32_e32 v2, 0x7e, v23
; %bb.7890:                             ;   in Loop: Header=BB6_6741 Depth=3
	s_or_b32 exec_lo, exec_lo, s13
                                        ; implicit-def: $vgpr16
.LBB6_7891:                             ;   in Loop: Header=BB6_6741 Depth=3
	s_and_not1_saveexec_b32 s13, s45
	s_cbranch_execz .LBB6_6740
; %bb.7892:                             ;   in Loop: Header=BB6_6741 Depth=3
	v_or_b32_e32 v2, 0x7f, v16
	s_branch .LBB6_6740
.LBB6_7893:                             ;   in Loop: Header=BB6_4163 Depth=2
	s_or_b32 exec_lo, exec_lo, s44
	s_clause 0x1
	scratch_load_b32 v42, off, s33 offset:212
	scratch_load_b32 v95, off, s33 offset:216
	v_dual_mov_b32 v43, 1 :: v_dual_mov_b32 v94, 0x90
.LBB6_7894:                             ;   in Loop: Header=BB6_4163 Depth=2
	s_wait_xcnt 0x0
	s_or_b32 exec_lo, exec_lo, s14
	v_lshlrev_b32_e32 v0, 10, v22
	s_delay_alu instid0(VALU_DEP_1)
	v_cmp_ne_u32_e32 vcc_lo, v4, v0
	s_and_b32 exec_lo, exec_lo, vcc_lo
	s_cbranch_execz .LBB6_7936
; %bb.7895:                             ;   in Loop: Header=BB6_4163 Depth=2
	v_add_nc_u32_e32 v2, v5, v21
	s_delay_alu instid0(VALU_DEP_1) | instskip(NEXT) | instid1(VALU_DEP_1)
	v_and_b32_e32 v2, 0xffffffe0, v2
	v_dual_sub_nc_u32 v2, v5, v2 :: v_dual_lshlrev_b32 v5, 5, v20
	s_delay_alu instid0(VALU_DEP_1) | instskip(NEXT) | instid1(VALU_DEP_1)
	v_sub_nc_u32_e32 v2, v2, v5
	v_add_nc_u32_e32 v0, v0, v2
	s_delay_alu instid0(VALU_DEP_1) | instskip(NEXT) | instid1(VALU_DEP_1)
	v_sub_nc_u32_e32 v4, v4, v0
	v_cmp_lt_i32_e32 vcc_lo, 0, v4
	s_and_b32 exec_lo, exec_lo, vcc_lo
	s_cbranch_execz .LBB6_7936
; %bb.7896:                             ;   in Loop: Header=BB6_4163 Depth=2
	s_trap 2
	ds_load_b128 v[8:11], v0
	v_add_nc_u32_e32 v0, v0, v1
	s_mov_b32 s74, 0
	s_delay_alu instid0(VALU_DEP_1) | instskip(SKIP_1) | instid1(VALU_DEP_1)
	v_ashrrev_i32_e32 v1, 31, v0
	s_wait_dscnt 0x0
	v_add_nc_u64_e32 v[8:9], v[8:9], v[0:1]
	v_add_nc_u64_e32 v[10:11], v[10:11], v[0:1]
	s_delay_alu instid0(VALU_DEP_2) | instskip(NEXT) | instid1(VALU_DEP_2)
	v_mov_b64_e32 v[12:13], v[8:9]
	v_mov_b64_e32 v[14:15], v[10:11]
.LBB6_7897:                             ;   Parent Loop BB6_47 Depth=1
                                        ;     Parent Loop BB6_4163 Depth=2
                                        ; =>    This Loop Header: Depth=3
                                        ;         Child Loop BB6_7934 Depth 4
	flat_load_u8 v0, v[12:13] th:TH_LOAD_NT
	flat_load_u8 v1, v[14:15] th:TH_LOAD_NT
	v_dual_mov_b32 v5, 0 :: v_dual_mov_b32 v18, 0
	s_mov_b32 s13, exec_lo
	s_wait_loadcnt_dscnt 0x101
	s_wait_xcnt 0x0
	v_cmpx_ne_u16_e32 0, v0
	s_cbranch_execz .LBB6_7905
; %bb.7898:                             ;   in Loop: Header=BB6_7897 Depth=3
	v_bfrev_b32_e32 v18, 1
	s_mov_b32 s14, exec_lo
	v_cmpx_ne_u16_e32 0x80, v0
	s_cbranch_execz .LBB6_7904
; %bb.7899:                             ;   in Loop: Header=BB6_7897 Depth=3
	v_and_b32_e32 v2, 0xffff, v0
	v_mov_b32_e32 v18, 0x7f800001
	s_mov_b32 s44, exec_lo
	s_delay_alu instid0(VALU_DEP_2) | instskip(NEXT) | instid1(VALU_DEP_1)
	v_and_b32_e32 v16, 0x7f, v2
	v_cmpx_ne_u32_e32 0x7f, v16
	s_cbranch_execz .LBB6_7903
; %bb.7900:                             ;   in Loop: Header=BB6_7897 Depth=3
	v_dual_lshrrev_b32 v18, 3, v16 :: v_dual_bitop2_b32 v2, 7, v2 bitop3:0x40
	v_cmp_gt_u32_e32 vcc_lo, 8, v16
	s_delay_alu instid0(VALU_DEP_2)
	v_mov_b64_e32 v[16:17], v[2:3]
	s_and_saveexec_b32 s45, vcc_lo
; %bb.7901:                             ;   in Loop: Header=BB6_7897 Depth=3
	v_clz_i32_u32_e32 v16, v2
	s_delay_alu instid0(VALU_DEP_1) | instskip(NEXT) | instid1(VALU_DEP_1)
	v_min_u32_e32 v18, 32, v16
	v_subrev_nc_u32_e32 v16, 28, v18
	s_delay_alu instid0(VALU_DEP_1) | instskip(NEXT) | instid1(VALU_DEP_1)
	v_lshlrev_b64_e32 v[16:17], v16, v[2:3]
	v_dual_sub_nc_u32 v18, 29, v18 :: v_dual_bitop2_b32 v16, 7, v16 bitop3:0x40
; %bb.7902:                             ;   in Loop: Header=BB6_7897 Depth=3
	s_or_b32 exec_lo, exec_lo, s45
	v_lshlrev_b32_e32 v0, 24, v0
	s_delay_alu instid0(VALU_DEP_2) | instskip(NEXT) | instid1(VALU_DEP_3)
	v_lshlrev_b32_e32 v2, 20, v16
	v_lshl_add_u32 v16, v18, 23, 0x3c000000
	s_delay_alu instid0(VALU_DEP_3) | instskip(NEXT) | instid1(VALU_DEP_1)
	v_and_b32_e32 v0, 0x80000000, v0
	v_or3_b32 v18, v2, v0, v16
.LBB6_7903:                             ;   in Loop: Header=BB6_7897 Depth=3
	s_or_b32 exec_lo, exec_lo, s44
.LBB6_7904:                             ;   in Loop: Header=BB6_7897 Depth=3
	s_delay_alu instid0(SALU_CYCLE_1)
	s_or_b32 exec_lo, exec_lo, s14
.LBB6_7905:                             ;   in Loop: Header=BB6_7897 Depth=3
	s_delay_alu instid0(SALU_CYCLE_1) | instskip(SKIP_3) | instid1(VALU_DEP_1)
	s_or_b32 exec_lo, exec_lo, s13
	s_wait_loadcnt_dscnt 0x0
	v_and_b32_e32 v0, 0xff, v1
	s_mov_b32 s13, exec_lo
	v_cmpx_ne_u16_e32 0, v0
	s_cbranch_execz .LBB6_7913
; %bb.7906:                             ;   in Loop: Header=BB6_7897 Depth=3
	v_bfrev_b32_e32 v5, 1
	s_mov_b32 s14, exec_lo
	v_cmpx_ne_u16_e32 0x80, v0
	s_cbranch_execz .LBB6_7912
; %bb.7907:                             ;   in Loop: Header=BB6_7897 Depth=3
	v_and_b32_e32 v16, 0x7f, v1
	v_mov_b32_e32 v5, 0x7f800001
	s_mov_b32 s44, exec_lo
	s_delay_alu instid0(VALU_DEP_2)
	v_cmpx_ne_u32_e32 0x7f, v16
	s_cbranch_execz .LBB6_7911
; %bb.7908:                             ;   in Loop: Header=BB6_7897 Depth=3
	v_and_b32_e32 v2, 7, v0
	v_lshrrev_b32_e32 v0, 3, v16
	v_cmp_gt_u32_e32 vcc_lo, 8, v16
	s_delay_alu instid0(VALU_DEP_3)
	v_mov_b64_e32 v[16:17], v[2:3]
	s_and_saveexec_b32 s45, vcc_lo
; %bb.7909:                             ;   in Loop: Header=BB6_7897 Depth=3
	v_clz_i32_u32_e32 v0, v2
	s_delay_alu instid0(VALU_DEP_1) | instskip(NEXT) | instid1(VALU_DEP_1)
	v_min_u32_e32 v0, 32, v0
	v_subrev_nc_u32_e32 v5, 28, v0
	v_sub_nc_u32_e32 v0, 29, v0
	s_delay_alu instid0(VALU_DEP_2) | instskip(NEXT) | instid1(VALU_DEP_1)
	v_lshlrev_b64_e32 v[16:17], v5, v[2:3]
	v_and_b32_e32 v16, 7, v16
; %bb.7910:                             ;   in Loop: Header=BB6_7897 Depth=3
	s_or_b32 exec_lo, exec_lo, s45
	s_delay_alu instid0(VALU_DEP_1) | instskip(SKIP_1) | instid1(VALU_DEP_2)
	v_dual_lshlrev_b32 v1, 24, v1 :: v_dual_lshlrev_b32 v2, 20, v16
	v_lshl_add_u32 v0, v0, 23, 0x3c000000
	v_and_b32_e32 v1, 0x80000000, v1
	s_delay_alu instid0(VALU_DEP_1)
	v_or3_b32 v5, v2, v1, v0
.LBB6_7911:                             ;   in Loop: Header=BB6_7897 Depth=3
	s_or_b32 exec_lo, exec_lo, s44
.LBB6_7912:                             ;   in Loop: Header=BB6_7897 Depth=3
	s_delay_alu instid0(SALU_CYCLE_1)
	s_or_b32 exec_lo, exec_lo, s14
.LBB6_7913:                             ;   in Loop: Header=BB6_7897 Depth=3
	s_delay_alu instid0(SALU_CYCLE_1) | instskip(NEXT) | instid1(VALU_DEP_1)
	s_or_b32 exec_lo, exec_lo, s13
	v_add_f32_e32 v0, v18, v5
	s_delay_alu instid0(VALU_DEP_1) | instskip(SKIP_1) | instid1(VALU_DEP_2)
	v_and_b32_e32 v2, 0x7f800000, v0
	v_lshrrev_b32_e32 v1, 24, v0
	v_cmp_ne_u64_e32 vcc_lo, 0x7f800000, v[2:3]
                                        ; implicit-def: $vgpr2
	s_and_saveexec_b32 s13, vcc_lo
	s_delay_alu instid0(SALU_CYCLE_1)
	s_xor_b32 s14, exec_lo, s13
	s_cbranch_execz .LBB6_7931
; %bb.7914:                             ;   in Loop: Header=BB6_7897 Depth=3
	v_and_b32_e32 v2, 0x7fffffff, v0
	v_and_b32_e32 v1, 0x80, v1
	s_delay_alu instid0(VALU_DEP_2) | instskip(SKIP_1) | instid1(SALU_CYCLE_1)
	v_cmp_gt_u64_e32 vcc_lo, 0x43e00001, v[2:3]
                                        ; implicit-def: $vgpr2
	s_and_saveexec_b32 s13, vcc_lo
	s_xor_b32 s44, exec_lo, s13
	s_cbranch_execz .LBB6_7928
; %bb.7915:                             ;   in Loop: Header=BB6_7897 Depth=3
	v_mov_b32_e32 v2, 0
	s_mov_b32 s45, exec_lo
	v_cmpx_ne_u32_e32 0, v0
	s_cbranch_execz .LBB6_7927
; %bb.7916:                             ;   in Loop: Header=BB6_7897 Depth=3
	v_bfe_u32 v5, v0, 23, 8
	v_and_b32_e32 v0, 0x7fffff, v0
	s_delay_alu instid0(VALU_DEP_2) | instskip(SKIP_1) | instid1(VALU_DEP_3)
	v_sub_nc_u32_e32 v2, 0x79, v5
	v_cmp_gt_u32_e32 vcc_lo, 0x7a, v5
	v_or_b32_e32 v18, 0x800000, v0
	s_delay_alu instid0(VALU_DEP_3) | instskip(SKIP_1) | instid1(VALU_DEP_2)
	v_cndmask_b32_e32 v2, 0, v2, vcc_lo
	v_cmp_eq_u32_e32 vcc_lo, 0, v5
	v_cndmask_b32_e64 v20, v2, 0x78, vcc_lo
	s_delay_alu instid0(VALU_DEP_1) | instskip(NEXT) | instid1(VALU_DEP_1)
	v_dual_add_nc_u32 v2, 20, v20 :: v_dual_add_nc_u32 v19, 19, v20
	v_lshlrev_b64_e64 v[16:17], v2, -1
	v_cndmask_b32_e32 v2, v18, v0, vcc_lo
	s_delay_alu instid0(VALU_DEP_3) | instskip(NEXT) | instid1(VALU_DEP_3)
	v_lshlrev_b64_e64 v[18:19], v19, 1
	v_bfi_b32 v23, v17, 0, 0
	s_delay_alu instid0(VALU_DEP_3) | instskip(SKIP_1) | instid1(VALU_DEP_2)
	v_bfi_b32 v22, v16, 0, v2
	v_lshrrev_b64 v[16:17], v20, v[2:3]
	v_cmp_eq_u64_e64 s13, v[22:23], v[18:19]
	s_delay_alu instid0(VALU_DEP_2)
	v_mov_b64_e32 v[18:19], v[16:17]
	s_and_saveexec_b32 s75, s13
; %bb.7917:                             ;   in Loop: Header=BB6_7897 Depth=3
	v_bfe_u32 v2, v16, 20, 1
	s_delay_alu instid0(VALU_DEP_1) | instskip(NEXT) | instid1(VALU_DEP_1)
	v_add_nc_u64_e32 v[18:19], v[16:17], v[2:3]
	v_add_nc_u64_e32 v[18:19], -1, v[18:19]
; %bb.7918:                             ;   in Loop: Header=BB6_7897 Depth=3
	s_or_b32 exec_lo, exec_lo, s75
	v_add_nc_u32_e32 v0, 0xffffff81, v5
	v_lshrrev_b32_e32 v2, 23, v16
	s_mov_b32 s13, exec_lo
	s_delay_alu instid0(VALU_DEP_2) | instskip(NEXT) | instid1(VALU_DEP_1)
	v_cndmask_b32_e64 v0, v0, 0xffffff82, vcc_lo
	v_add3_u32 v5, v20, v0, v2
	v_and_b32_e32 v0, 0xfffff, v18
	s_delay_alu instid0(VALU_DEP_1) | instskip(NEXT) | instid1(VALU_DEP_1)
	v_dual_add_nc_u32 v18, 6, v5 :: v_dual_add_nc_u32 v2, v0, v16
                                        ; implicit-def: $vgpr16_vgpr17
                                        ; implicit-def: $vgpr0
	v_cmpx_ne_u32_e32 0, v18
	s_xor_b32 s13, exec_lo, s13
; %bb.7919:                             ;   in Loop: Header=BB6_7897 Depth=3
	s_delay_alu instid0(VALU_DEP_2) | instskip(SKIP_2) | instid1(VALU_DEP_2)
	v_cmp_lt_u64_e32 vcc_lo, 0xffffff, v[2:3]
	v_add_nc_u32_e32 v0, 7, v5
	v_cndmask_b32_e64 v5, 0, 1, vcc_lo
	v_cndmask_b32_e32 v0, v18, v0, vcc_lo
	s_delay_alu instid0(VALU_DEP_2)
	v_lshrrev_b64 v[16:17], v5, v[2:3]
; %bb.7920:                             ;   in Loop: Header=BB6_7897 Depth=3
	s_and_not1_saveexec_b32 s13, s13
; %bb.7921:                             ;   in Loop: Header=BB6_7897 Depth=3
	v_mov_b64_e32 v[16:17], v[2:3]
	v_bfe_u32 v0, v2, 23, 1
; %bb.7922:                             ;   in Loop: Header=BB6_7897 Depth=3
	s_or_b32 exec_lo, exec_lo, s13
	s_delay_alu instid0(VALU_DEP_2) | instskip(NEXT) | instid1(VALU_DEP_2)
	v_lshrrev_b64 v[16:17], 20, v[16:17]
	v_cmp_gt_i32_e32 vcc_lo, 16, v0
	v_cmp_ne_u32_e64 s13, 0, v0
                                        ; implicit-def: $vgpr2
	s_delay_alu instid0(VALU_DEP_3) | instskip(NEXT) | instid1(VALU_DEP_1)
	v_dual_cndmask_b32 v17, 0, v17 :: v_dual_cndmask_b32 v16, 7, v16
	v_cmp_ne_u64_e32 vcc_lo, 0, v[16:17]
	s_or_b32 s13, s13, vcc_lo
	s_delay_alu instid0(SALU_CYCLE_1) | instskip(NEXT) | instid1(SALU_CYCLE_1)
	s_and_saveexec_b32 s75, s13
	s_xor_b32 s13, exec_lo, s75
; %bb.7923:                             ;   in Loop: Header=BB6_7897 Depth=3
	v_min_i32_e32 v0, 15, v0
	s_delay_alu instid0(VALU_DEP_1) | instskip(NEXT) | instid1(VALU_DEP_1)
	v_lshl_or_b32 v0, v0, 3, v1
                                        ; implicit-def: $vgpr1
	v_and_or_b32 v2, v16, 7, v0
; %bb.7924:                             ;   in Loop: Header=BB6_7897 Depth=3
	s_and_not1_saveexec_b32 s13, s13
; %bb.7925:                             ;   in Loop: Header=BB6_7897 Depth=3
	v_mov_b32_e32 v2, v1
; %bb.7926:                             ;   in Loop: Header=BB6_7897 Depth=3
	s_or_b32 exec_lo, exec_lo, s13
.LBB6_7927:                             ;   in Loop: Header=BB6_7897 Depth=3
	s_delay_alu instid0(SALU_CYCLE_1)
	s_or_b32 exec_lo, exec_lo, s45
                                        ; implicit-def: $vgpr1
.LBB6_7928:                             ;   in Loop: Header=BB6_7897 Depth=3
	s_and_not1_saveexec_b32 s13, s44
; %bb.7929:                             ;   in Loop: Header=BB6_7897 Depth=3
	v_or_b32_e32 v2, 0x7e, v1
; %bb.7930:                             ;   in Loop: Header=BB6_7897 Depth=3
	s_or_b32 exec_lo, exec_lo, s13
                                        ; implicit-def: $vgpr1
.LBB6_7931:                             ;   in Loop: Header=BB6_7897 Depth=3
	s_and_not1_saveexec_b32 s13, s14
; %bb.7932:                             ;   in Loop: Header=BB6_7897 Depth=3
	v_or_b32_e32 v2, 0x7f, v1
; %bb.7933:                             ;   in Loop: Header=BB6_7897 Depth=3
	s_or_b32 exec_lo, exec_lo, s13
	s_mov_b64 s[44:45], 0
	s_mov_b32 s75, -1
.LBB6_7934:                             ;   Parent Loop BB6_47 Depth=1
                                        ;     Parent Loop BB6_4163 Depth=2
                                        ;       Parent Loop BB6_7897 Depth=3
                                        ; =>      This Inner Loop Header: Depth=4
	s_cmp_eq_u32 s44, 1
	s_cselect_b32 vcc_lo, -1, 0
	s_cmp_eq_u32 s44, 0
	s_wait_xcnt 0x0
	v_dual_cndmask_b32 v1, v9, v11 :: v_dual_cndmask_b32 v0, v8, v10
	s_cselect_b32 s13, -1, 0
	s_and_b32 s14, exec_lo, s75
	s_mov_b64 s[44:45], 1
	s_mov_b32 s75, 0
	v_add_nc_u64_e32 v[16:17], 32, v[0:1]
	flat_store_b8 v[0:1], v2 th:TH_STORE_NT
	v_dual_cndmask_b32 v11, v11, v17 :: v_dual_cndmask_b32 v10, v10, v16
	v_dual_cndmask_b32 v9, v9, v17, s13 :: v_dual_cndmask_b32 v8, v8, v16, s13
	s_mov_b32 vcc_lo, s14
	s_cbranch_vccnz .LBB6_7934
; %bb.7935:                             ;   in Loop: Header=BB6_7897 Depth=3
	s_wait_xcnt 0x0
	v_add_nc_u64_e32 v[0:1], 32, v[118:119]
	v_sub_nc_u32_e32 v4, v4, v86
	v_add_nc_u64_e32 v[8:9], v[8:9], v[118:119]
	v_add_nc_u64_e32 v[10:11], v[10:11], v[118:119]
	s_delay_alu instid0(VALU_DEP_3) | instskip(SKIP_3) | instid1(SALU_CYCLE_1)
	v_cmp_gt_i32_e32 vcc_lo, 1, v4
	v_add_nc_u64_e32 v[12:13], v[12:13], v[0:1]
	v_add_nc_u64_e32 v[14:15], v[14:15], v[0:1]
	s_or_b32 s74, vcc_lo, s74
	s_and_not1_b32 exec_lo, exec_lo, s74
	s_cbranch_execnz .LBB6_7897
.LBB6_7936:                             ;   in Loop: Header=BB6_4163 Depth=2
	s_or_b32 exec_lo, exec_lo, s15
	s_mov_b32 s13, 0
.LBB6_7937:                             ;   in Loop: Header=BB6_4163 Depth=2
	s_delay_alu instid0(SALU_CYCLE_1)
	s_and_b32 vcc_lo, exec_lo, s13
	s_cbranch_vccz .LBB6_11634
; %bb.7938:                             ;   in Loop: Header=BB6_4163 Depth=2
	s_mov_b32 s13, -1
	s_wait_xcnt 0x0
	s_and_saveexec_b32 s14, s12
	s_cbranch_execz .LBB6_7940
; %bb.7939:                             ;   in Loop: Header=BB6_4163 Depth=2
	ds_load_b32 v0, v0 offset:720
	s_wait_dscnt 0x0
	v_and_b32_e32 v0, 15, v0
	s_delay_alu instid0(VALU_DEP_1)
	v_cmp_eq_u32_e32 vcc_lo, 0, v0
	s_or_not1_b32 s13, vcc_lo, exec_lo
.LBB6_7940:                             ;   in Loop: Header=BB6_4163 Depth=2
	s_or_b32 exec_lo, exec_lo, s14
	s_and_saveexec_b32 s14, s7
	s_cbranch_execz .LBB6_7942
; %bb.7941:                             ;   in Loop: Header=BB6_4163 Depth=2
	ds_load_b32 v0, v0 offset:784
	s_wait_dscnt 0x0
	v_and_b32_e32 v0, 15, v0
	s_delay_alu instid0(VALU_DEP_1) | instskip(SKIP_3) | instid1(SALU_CYCLE_1)
	v_cmp_eq_u32_e32 vcc_lo, 0, v0
	s_and_b32 s15, s13, vcc_lo
	s_and_not1_b32 s13, s13, exec_lo
	s_and_b32 s15, s15, exec_lo
	s_or_b32 s13, s13, s15
.LBB6_7942:                             ;   in Loop: Header=BB6_4163 Depth=2
	s_or_b32 exec_lo, exec_lo, s14
	s_xor_b32 s13, s13, -1
	v_dual_mov_b32 v1, 0 :: v_dual_mov_b32 v4, v75
	v_cndmask_b32_e64 v0, 0, 1, s13
	s_wait_loadcnt 0x0
	v_dual_mov_b32 v5, v42 :: v_dual_mov_b32 v2, v95
	s_mov_b32 s13, -1
	s_delay_alu instid0(VALU_DEP_2)
	v_cmp_ne_u32_e32 vcc_lo, 0, v0
	s_cbranch_vccz .LBB6_7944
; %bb.7943:                             ;   in Loop: Header=BB6_4163 Depth=2
	s_and_saveexec_b32 s14, s13
	s_cbranch_execnz .LBB6_10437
	s_branch .LBB6_11633
.LBB6_7944:                             ;   in Loop: Header=BB6_4163 Depth=2
	v_ashrrev_i32_e32 v0, 31, v75
	s_mov_b32 s14, exec_lo
	s_delay_alu instid0(VALU_DEP_1) | instskip(NEXT) | instid1(VALU_DEP_1)
	v_lshrrev_b32_e32 v0, 21, v0
	v_add_nc_u32_e32 v0, v75, v0
	s_delay_alu instid0(VALU_DEP_1) | instskip(NEXT) | instid1(VALU_DEP_1)
	v_ashrrev_i32_e32 v54, 11, v0
	v_sub_nc_u32_e32 v77, v54, v95
	s_delay_alu instid0(VALU_DEP_1)
	v_cmpx_lt_i32_e32 0, v77
	s_cbranch_execz .LBB6_9932
; %bb.7945:                             ;   in Loop: Header=BB6_4163 Depth=2
	s_trap 2
	ds_load_b64 v[0:1], v0
	s_clause 0x1
	scratch_load_b64 v[4:5], off, s33 offset:240
	scratch_load_b64 v[8:9], off, s33 offset:248
	s_mov_b32 s15, 0
	s_wait_loadcnt_dscnt 0x100
	v_add_nc_u64_e32 v[94:95], v[0:1], v[4:5]
	scratch_load_b64 v[0:1], off, s33 offset:256 ; 8-byte Folded Reload
	s_wait_loadcnt 0x1
	v_add_nc_u64_e32 v[92:93], v[8:9], v[4:5]
	s_wait_loadcnt 0x0
	v_add_nc_u64_e32 v[104:105], v[0:1], v[4:5]
	s_branch .LBB6_7947
.LBB6_7946:                             ;   in Loop: Header=BB6_7947 Depth=3
	s_or_b32 exec_lo, exec_lo, s13
	v_lshl_or_b32 v0, v58, 8, v97
	v_dual_lshlrev_b32 v8, 16, v24 :: v_dual_lshlrev_b32 v9, 24, v25
	v_lshl_or_b32 v10, v35, 8, v34
	v_lshlrev_b32_e32 v11, 16, v90
	v_lshl_or_b32 v13, v27, 8, v26
	v_dual_lshlrev_b32 v14, 16, v59 :: v_dual_lshlrev_b32 v15, 24, v72
	v_or3_b32 v9, v0, v8, v9
	v_dual_lshlrev_b32 v0, 24, v96 :: v_dual_lshlrev_b32 v21, 24, v21
	v_lshlrev_b32_e32 v20, 16, v20
	v_lshl_or_b32 v24, v56, 8, v73
	v_lshl_or_b32 v1, v1, 8, v31
	v_dual_lshlrev_b32 v25, 16, v36 :: v_dual_lshlrev_b32 v26, 24, v37
	v_lshl_or_b32 v27, v51, 8, v50
	v_dual_lshlrev_b32 v31, 16, v62 :: v_dual_lshlrev_b32 v34, 24, v63
	v_or3_b32 v8, v10, v11, v0
	v_or3_b32 v10, v13, v14, v15
	;; [unrolled: 1-line block ×4, first 2 shown]
	v_lshl_or_b32 v0, v39, 8, v38
	v_dual_lshlrev_b32 v1, 16, v111 :: v_dual_lshlrev_b32 v13, 24, v78
	v_lshl_or_b32 v21, v101, 8, v100
	v_dual_lshlrev_b32 v4, 16, v4 :: v_dual_lshlrev_b32 v5, 24, v5
	v_dual_lshlrev_b32 v14, 24, v33 :: v_dual_lshlrev_b32 v15, 16, v32
	v_lshl_or_b32 v20, v53, 8, v79
	v_or3_b32 v24, v27, v31, v34
	v_lshl_or_b32 v31, v110, 8, v55
	v_dual_lshlrev_b32 v28, 16, v28 :: v_dual_lshlrev_b32 v29, 24, v29
	v_lshl_or_b32 v34, v107, 8, v106
	v_dual_lshlrev_b32 v35, 16, v108 :: v_dual_lshlrev_b32 v36, 24, v109
	v_or3_b32 v26, v0, v1, v13
	v_or3_b32 v33, v21, v4, v5
	v_dual_lshlrev_b32 v0, 24, v49 :: v_dual_lshlrev_b32 v1, 16, v48
	v_lshl_or_b32 v4, v99, 8, v98
	v_or3_b32 v27, v20, v15, v14
	v_lshl_or_b32 v5, v91, 8, v47
	v_dual_lshlrev_b32 v13, 16, v16 :: v_dual_lshlrev_b32 v14, 24, v17
	v_lshl_or_b32 v15, v23, 8, v22
	v_dual_lshlrev_b32 v16, 16, v57 :: v_dual_lshlrev_b32 v17, 24, v46
	;; [unrolled: 2-line block ×3, first 2 shown]
	v_dual_lshlrev_b32 v2, 24, v2 :: v_dual_lshlrev_b32 v21, 16, v12
	v_lshl_or_b32 v22, v66, 8, v43
	v_or3_b32 v32, v31, v28, v29
	v_or3_b32 v34, v34, v35, v36
	;; [unrolled: 1-line block ×3, first 2 shown]
	v_sub_nc_u32_e32 v77, v77, v84
	v_or3_b32 v13, v5, v13, v14
	v_or3_b32 v12, v15, v16, v17
	;; [unrolled: 1-line block ×4, first 2 shown]
	s_clause 0x3
	global_store_b128 v[104:105], v[32:35], off th:TH_STORE_NT
	global_store_b128 v[104:105], v[24:27], off offset:512 th:TH_STORE_NT
	global_store_b128 v[104:105], v[8:11], off offset:1024 th:TH_STORE_NT
	;; [unrolled: 1-line block ×3, first 2 shown]
	v_add_nc_u64_e32 v[92:93], v[92:93], v[116:117]
	v_add_nc_u64_e32 v[94:95], v[94:95], v[116:117]
	v_cmp_gt_i32_e32 vcc_lo, 1, v77
	s_wait_xcnt 0x0
	v_add_nc_u64_e32 v[104:105], v[104:105], v[116:117]
	s_or_b32 s15, vcc_lo, s15
	s_delay_alu instid0(SALU_CYCLE_1)
	s_and_not1_b32 exec_lo, exec_lo, s15
	s_cbranch_execz .LBB6_9931
.LBB6_7947:                             ;   Parent Loop BB6_47 Depth=1
                                        ;     Parent Loop BB6_4163 Depth=2
                                        ; =>    This Inner Loop Header: Depth=3
	s_clause 0x3
	global_load_b128 v[48:51], v[92:93], off th:TH_LOAD_NT
	global_load_b128 v[32:35], v[92:93], off offset:512 th:TH_LOAD_NT
	global_load_b128 v[20:23], v[92:93], off offset:1024 th:TH_LOAD_NT
	;; [unrolled: 1-line block ×3, first 2 shown]
	s_clause 0x3
	global_load_b128 v[36:39], v[94:95], off th:TH_LOAD_NT
	global_load_b128 v[24:27], v[94:95], off offset:512 th:TH_LOAD_NT
	global_load_b128 v[16:19], v[94:95], off offset:1024 th:TH_LOAD_NT
	;; [unrolled: 1-line block ×3, first 2 shown]
	v_dual_mov_b32 v1, 0 :: v_dual_mov_b32 v2, 0
	s_mov_b32 s13, exec_lo
	s_wait_loadcnt 0x7
	v_and_b32_e32 v0, 0xff, v48
	s_wait_xcnt 0x0
	s_delay_alu instid0(VALU_DEP_1)
	v_cmpx_ne_u16_e32 0, v0
	s_cbranch_execz .LBB6_7953
; %bb.7948:                             ;   in Loop: Header=BB6_7947 Depth=3
	v_bfrev_b32_e32 v2, 1
	s_mov_b32 s44, exec_lo
	v_cmpx_ne_u16_e32 0x80, v0
	s_cbranch_execz .LBB6_7952
; %bb.7949:                             ;   in Loop: Header=BB6_7947 Depth=3
	v_and_b32_e32 v0, 0x7f, v48
	v_mov_b32_e32 v2, 0x7f800001
	s_mov_b32 s45, exec_lo
	s_delay_alu instid0(VALU_DEP_2)
	v_cmpx_ne_u32_e32 0x7f, v0
	s_cbranch_execz .LBB6_7951
; %bb.7950:                             ;   in Loop: Header=BB6_7947 Depth=3
	v_and_b32_e32 v2, 7, v48
	v_lshrrev_b32_e32 v4, 3, v0
	v_cmp_gt_u32_e32 vcc_lo, 8, v0
	s_delay_alu instid0(VALU_DEP_3) | instskip(NEXT) | instid1(VALU_DEP_1)
	v_clz_i32_u32_e32 v0, v2
	v_min_u32_e32 v0, 32, v0
	s_delay_alu instid0(VALU_DEP_1) | instskip(NEXT) | instid1(VALU_DEP_1)
	v_subrev_nc_u32_e32 v2, 28, v0
	v_dual_sub_nc_u32 v0, 29, v0 :: v_dual_cndmask_b32 v2, 0, v2, vcc_lo
	s_delay_alu instid0(VALU_DEP_1) | instskip(NEXT) | instid1(VALU_DEP_2)
	v_cndmask_b32_e32 v0, v4, v0, vcc_lo
	v_lshlrev_b64_e32 v[4:5], v2, v[48:49]
	s_delay_alu instid0(VALU_DEP_2) | instskip(NEXT) | instid1(VALU_DEP_2)
	v_lshl_add_u32 v0, v0, 23, 0x3c000000
	v_lshlrev_b32_e32 v2, 20, v4
	v_lshlrev_b32_e32 v4, 24, v48
	s_delay_alu instid0(VALU_DEP_2) | instskip(NEXT) | instid1(VALU_DEP_2)
	v_and_b32_e32 v2, 0x700000, v2
	v_and_b32_e32 v4, 0x80000000, v4
	s_delay_alu instid0(VALU_DEP_1)
	v_or3_b32 v2, v2, v4, v0
.LBB6_7951:                             ;   in Loop: Header=BB6_7947 Depth=3
	s_or_b32 exec_lo, exec_lo, s45
.LBB6_7952:                             ;   in Loop: Header=BB6_7947 Depth=3
	s_delay_alu instid0(SALU_CYCLE_1)
	s_or_b32 exec_lo, exec_lo, s44
.LBB6_7953:                             ;   in Loop: Header=BB6_7947 Depth=3
	s_delay_alu instid0(SALU_CYCLE_1) | instskip(SKIP_3) | instid1(VALU_DEP_1)
	s_or_b32 exec_lo, exec_lo, s13
	s_wait_loadcnt 0x3
	v_and_b32_e32 v0, 0xff, v36
	s_mov_b32 s13, exec_lo
	v_cmpx_ne_u16_e32 0, v0
	s_cbranch_execz .LBB6_7959
; %bb.7954:                             ;   in Loop: Header=BB6_7947 Depth=3
	v_bfrev_b32_e32 v1, 1
	s_mov_b32 s44, exec_lo
	v_cmpx_ne_u16_e32 0x80, v0
	s_cbranch_execz .LBB6_7958
; %bb.7955:                             ;   in Loop: Header=BB6_7947 Depth=3
	v_and_b32_e32 v0, 0x7f, v36
	v_mov_b32_e32 v1, 0x7f800001
	s_mov_b32 s45, exec_lo
	s_delay_alu instid0(VALU_DEP_2)
	v_cmpx_ne_u32_e32 0x7f, v0
	s_cbranch_execz .LBB6_7957
; %bb.7956:                             ;   in Loop: Header=BB6_7947 Depth=3
	v_and_b32_e32 v1, 7, v36
	v_lshrrev_b32_e32 v4, 3, v0
	v_cmp_gt_u32_e32 vcc_lo, 8, v0
	s_delay_alu instid0(VALU_DEP_3) | instskip(NEXT) | instid1(VALU_DEP_1)
	v_clz_i32_u32_e32 v0, v1
	v_min_u32_e32 v0, 32, v0
	s_delay_alu instid0(VALU_DEP_1) | instskip(SKIP_1) | instid1(VALU_DEP_1)
	v_subrev_nc_u32_e32 v1, 28, v0
	v_sub_nc_u32_e32 v0, 29, v0
	v_dual_cndmask_b32 v4, v4, v0, vcc_lo :: v_dual_cndmask_b32 v0, 0, v1, vcc_lo
	s_delay_alu instid0(VALU_DEP_1) | instskip(NEXT) | instid1(VALU_DEP_2)
	v_lshl_add_u32 v4, v4, 23, 0x3c000000
	v_lshlrev_b64_e32 v[0:1], v0, v[36:37]
	v_lshlrev_b32_e32 v1, 24, v36
	s_delay_alu instid0(VALU_DEP_1) | instskip(NEXT) | instid1(VALU_DEP_3)
	v_and_b32_e32 v1, 0x80000000, v1
	v_lshlrev_b32_e32 v0, 20, v0
	s_delay_alu instid0(VALU_DEP_1) | instskip(NEXT) | instid1(VALU_DEP_1)
	v_and_b32_e32 v0, 0x700000, v0
	v_or3_b32 v1, v0, v1, v4
.LBB6_7957:                             ;   in Loop: Header=BB6_7947 Depth=3
	s_or_b32 exec_lo, exec_lo, s45
.LBB6_7958:                             ;   in Loop: Header=BB6_7947 Depth=3
	s_delay_alu instid0(SALU_CYCLE_1)
	s_or_b32 exec_lo, exec_lo, s44
.LBB6_7959:                             ;   in Loop: Header=BB6_7947 Depth=3
	s_delay_alu instid0(SALU_CYCLE_1) | instskip(NEXT) | instid1(VALU_DEP_1)
	s_or_b32 exec_lo, exec_lo, s13
	v_add_f32_e32 v0, v2, v1
                                        ; implicit-def: $vgpr55
	s_mov_b32 s13, exec_lo
	s_delay_alu instid0(VALU_DEP_1) | instskip(SKIP_1) | instid1(VALU_DEP_2)
	v_and_b32_e32 v2, 0x7f800000, v0
	v_lshrrev_b32_e32 v1, 24, v0
	v_cmpx_ne_u64_e32 0x7f800000, v[2:3]
	s_xor_b32 s44, exec_lo, s13
	s_cbranch_execz .LBB6_7973
; %bb.7960:                             ;   in Loop: Header=BB6_7947 Depth=3
	v_and_b32_e32 v2, 0x7fffffff, v0
	v_and_b32_e32 v1, 0x80, v1
                                        ; implicit-def: $vgpr55
	s_mov_b32 s13, exec_lo
	s_delay_alu instid0(VALU_DEP_2)
	v_cmpx_gt_u64_e32 0x43e00001, v[2:3]
	s_xor_b32 s45, exec_lo, s13
	s_cbranch_execz .LBB6_7970
; %bb.7961:                             ;   in Loop: Header=BB6_7947 Depth=3
	v_mov_b32_e32 v55, 0
	s_mov_b32 s74, exec_lo
	v_cmpx_ne_u32_e32 0, v0
	s_cbranch_execz .LBB6_7969
; %bb.7962:                             ;   in Loop: Header=BB6_7947 Depth=3
	v_bfe_u32 v4, v0, 23, 8
	v_and_b32_e32 v2, 0x7fffff, v0
	s_mov_b32 s75, exec_lo
	s_delay_alu instid0(VALU_DEP_2) | instskip(SKIP_3) | instid1(VALU_DEP_1)
	v_cmp_gt_u32_e64 s13, 0x7a, v4
	v_sub_nc_u32_e32 v0, 0x79, v4
	v_cmp_eq_u32_e32 vcc_lo, 0, v4
	v_or_b32_e32 v5, 0x800000, v2
	v_dual_cndmask_b32 v0, 0, v0, s13 :: v_dual_cndmask_b32 v2, v5, v2, vcc_lo
	s_delay_alu instid0(VALU_DEP_1) | instskip(NEXT) | instid1(VALU_DEP_1)
	v_cndmask_b32_e64 v0, v0, 0x78, vcc_lo
	v_add_nc_u32_e32 v5, 20, v0
	s_delay_alu instid0(VALU_DEP_3) | instskip(NEXT) | instid1(VALU_DEP_2)
	v_lshrrev_b64 v[106:107], v0, v[2:3]
	v_lshlrev_b64_e64 v[28:29], v5, -1
	v_add_nc_u32_e32 v5, 19, v0
	s_delay_alu instid0(VALU_DEP_3) | instskip(NEXT) | instid1(VALU_DEP_2)
	v_mov_b64_e32 v[108:109], v[106:107]
	v_lshlrev_b64_e64 v[52:53], v5, 1
	s_delay_alu instid0(VALU_DEP_4) | instskip(SKIP_1) | instid1(VALU_DEP_1)
	v_bfi_b32 v29, v29, 0, 0
	v_bfi_b32 v28, v28, 0, v2
	v_cmpx_eq_u64_e64 v[28:29], v[52:53]
; %bb.7963:                             ;   in Loop: Header=BB6_7947 Depth=3
	v_bfe_u32 v2, v106, 20, 1
	s_delay_alu instid0(VALU_DEP_1) | instskip(NEXT) | instid1(VALU_DEP_1)
	v_add_nc_u64_e32 v[28:29], v[106:107], v[2:3]
	v_add_nc_u64_e32 v[108:109], -1, v[28:29]
; %bb.7964:                             ;   in Loop: Header=BB6_7947 Depth=3
	s_or_b32 exec_lo, exec_lo, s75
	v_add_nc_u32_e32 v2, 0xffffff81, v4
	v_lshrrev_b32_e32 v4, 23, v106
	s_mov_b32 s13, exec_lo
	s_delay_alu instid0(VALU_DEP_2) | instskip(NEXT) | instid1(VALU_DEP_1)
	v_cndmask_b32_e64 v2, v2, 0xffffff82, vcc_lo
	v_add3_u32 v5, v0, v2, v4
	v_and_b32_e32 v0, 0xfffff, v108
	s_delay_alu instid0(VALU_DEP_1) | instskip(NEXT) | instid1(VALU_DEP_1)
	v_dual_add_nc_u32 v4, 6, v5 :: v_dual_add_nc_u32 v2, v0, v106
                                        ; implicit-def: $vgpr106_vgpr107
                                        ; implicit-def: $vgpr0
	v_cmpx_ne_u32_e32 0, v4
	s_xor_b32 s13, exec_lo, s13
; %bb.7965:                             ;   in Loop: Header=BB6_7947 Depth=3
	s_delay_alu instid0(VALU_DEP_2) | instskip(SKIP_1) | instid1(VALU_DEP_1)
	v_cmp_lt_u64_e32 vcc_lo, 0xffffff, v[2:3]
	v_add_nc_u32_e32 v0, 7, v5
	v_cndmask_b32_e32 v0, v4, v0, vcc_lo
	v_cndmask_b32_e64 v4, 0, 1, vcc_lo
	s_delay_alu instid0(VALU_DEP_1)
	v_lshrrev_b64 v[106:107], v4, v[2:3]
; %bb.7966:                             ;   in Loop: Header=BB6_7947 Depth=3
	s_and_not1_saveexec_b32 s13, s13
; %bb.7967:                             ;   in Loop: Header=BB6_7947 Depth=3
	v_mov_b64_e32 v[106:107], v[2:3]
	v_bfe_u32 v0, v2, 23, 1
; %bb.7968:                             ;   in Loop: Header=BB6_7947 Depth=3
	s_or_b32 exec_lo, exec_lo, s13
	s_delay_alu instid0(VALU_DEP_2) | instskip(NEXT) | instid1(VALU_DEP_2)
	v_lshrrev_b64 v[4:5], 20, v[106:107]
	v_cmp_gt_i32_e32 vcc_lo, 16, v0
	v_min_i32_e32 v2, 15, v0
	v_cmp_eq_u32_e64 s13, 0, v0
	s_delay_alu instid0(VALU_DEP_2) | instskip(SKIP_1) | instid1(VALU_DEP_2)
	v_dual_cndmask_b32 v5, 0, v5 :: v_dual_lshlrev_b32 v2, 3, v2
	v_cndmask_b32_e32 v4, 7, v4, vcc_lo
	v_and_b32_e32 v2, 0xf8, v2
	s_delay_alu instid0(VALU_DEP_2) | instskip(NEXT) | instid1(VALU_DEP_2)
	v_cmp_eq_u64_e32 vcc_lo, 0, v[4:5]
	v_and_or_b32 v0, v4, 7, v2
	s_and_b32 s13, s13, vcc_lo
	s_delay_alu instid0(VALU_DEP_1) | instid1(SALU_CYCLE_1)
	v_cndmask_b32_e64 v0, v0, 0, s13
	s_delay_alu instid0(VALU_DEP_1)
	v_or_b32_e32 v55, v0, v1
.LBB6_7969:                             ;   in Loop: Header=BB6_7947 Depth=3
	s_or_b32 exec_lo, exec_lo, s74
                                        ; implicit-def: $vgpr1
.LBB6_7970:                             ;   in Loop: Header=BB6_7947 Depth=3
	s_and_not1_saveexec_b32 s13, s45
; %bb.7971:                             ;   in Loop: Header=BB6_7947 Depth=3
	v_or_b32_e32 v55, 0x7e, v1
; %bb.7972:                             ;   in Loop: Header=BB6_7947 Depth=3
	s_or_b32 exec_lo, exec_lo, s13
                                        ; implicit-def: $vgpr1
.LBB6_7973:                             ;   in Loop: Header=BB6_7947 Depth=3
	s_and_not1_saveexec_b32 s13, s44
; %bb.7974:                             ;   in Loop: Header=BB6_7947 Depth=3
	v_or_b32_e32 v55, 0x7f, v1
; %bb.7975:                             ;   in Loop: Header=BB6_7947 Depth=3
	s_or_b32 exec_lo, exec_lo, s13
	v_lshrrev_b16 v0, 8, v48
	v_dual_mov_b32 v1, 0 :: v_dual_mov_b32 v4, 0
	s_mov_b32 s13, exec_lo
	s_delay_alu instid0(VALU_DEP_2)
	v_cmpx_ne_u16_e32 0, v0
	s_cbranch_execz .LBB6_7983
; %bb.7976:                             ;   in Loop: Header=BB6_7947 Depth=3
	v_bfrev_b32_e32 v4, 1
	s_mov_b32 s44, exec_lo
	v_cmpx_ne_u16_e32 0x80, v0
	s_cbranch_execz .LBB6_7982
; %bb.7977:                             ;   in Loop: Header=BB6_7947 Depth=3
	v_and_b32_e32 v0, 0xffff, v0
	v_mov_b32_e32 v4, 0x7f800001
	s_mov_b32 s45, exec_lo
	s_delay_alu instid0(VALU_DEP_2) | instskip(NEXT) | instid1(VALU_DEP_1)
	v_and_b32_e32 v5, 0x7f, v0
	v_cmpx_ne_u32_e32 0x7f, v5
	s_cbranch_execz .LBB6_7981
; %bb.7978:                             ;   in Loop: Header=BB6_7947 Depth=3
	v_dual_lshrrev_b32 v0, 3, v5 :: v_dual_bitop2_b32 v2, 7, v0 bitop3:0x40
	s_mov_b32 s74, exec_lo
	s_delay_alu instid0(VALU_DEP_1)
	v_mov_b64_e32 v[106:107], v[2:3]
	v_cmpx_gt_u32_e32 8, v5
; %bb.7979:                             ;   in Loop: Header=BB6_7947 Depth=3
	v_clz_i32_u32_e32 v0, v2
	s_delay_alu instid0(VALU_DEP_1) | instskip(NEXT) | instid1(VALU_DEP_1)
	v_min_u32_e32 v0, 32, v0
	v_subrev_nc_u32_e32 v4, 28, v0
	v_sub_nc_u32_e32 v0, 29, v0
	s_delay_alu instid0(VALU_DEP_2) | instskip(NEXT) | instid1(VALU_DEP_1)
	v_lshlrev_b64_e32 v[4:5], v4, v[2:3]
	v_and_b32_e32 v106, 7, v4
; %bb.7980:                             ;   in Loop: Header=BB6_7947 Depth=3
	s_or_b32 exec_lo, exec_lo, s74
	s_delay_alu instid0(VALU_DEP_1) | instskip(SKIP_1) | instid1(VALU_DEP_2)
	v_dual_lshlrev_b32 v2, 16, v48 :: v_dual_lshlrev_b32 v4, 20, v106
	v_lshl_add_u32 v0, v0, 23, 0x3c000000
	v_and_b32_e32 v2, 0x80000000, v2
	s_delay_alu instid0(VALU_DEP_1)
	v_or3_b32 v4, v4, v2, v0
.LBB6_7981:                             ;   in Loop: Header=BB6_7947 Depth=3
	s_or_b32 exec_lo, exec_lo, s45
.LBB6_7982:                             ;   in Loop: Header=BB6_7947 Depth=3
	s_delay_alu instid0(SALU_CYCLE_1)
	s_or_b32 exec_lo, exec_lo, s44
.LBB6_7983:                             ;   in Loop: Header=BB6_7947 Depth=3
	s_delay_alu instid0(SALU_CYCLE_1) | instskip(SKIP_2) | instid1(VALU_DEP_1)
	s_or_b32 exec_lo, exec_lo, s13
	v_lshrrev_b16 v0, 8, v36
	s_mov_b32 s13, exec_lo
	v_cmpx_ne_u16_e32 0, v0
	s_cbranch_execz .LBB6_7991
; %bb.7984:                             ;   in Loop: Header=BB6_7947 Depth=3
	v_bfrev_b32_e32 v1, 1
	s_mov_b32 s44, exec_lo
	v_cmpx_ne_u16_e32 0x80, v0
	s_cbranch_execz .LBB6_7990
; %bb.7985:                             ;   in Loop: Header=BB6_7947 Depth=3
	v_and_b32_e32 v0, 0xffff, v0
	v_mov_b32_e32 v1, 0x7f800001
	s_mov_b32 s45, exec_lo
	s_delay_alu instid0(VALU_DEP_2) | instskip(NEXT) | instid1(VALU_DEP_1)
	v_and_b32_e32 v5, 0x7f, v0
	v_cmpx_ne_u32_e32 0x7f, v5
	s_cbranch_execz .LBB6_7989
; %bb.7986:                             ;   in Loop: Header=BB6_7947 Depth=3
	v_dual_lshrrev_b32 v0, 3, v5 :: v_dual_bitop2_b32 v2, 7, v0 bitop3:0x40
	s_mov_b32 s74, exec_lo
	s_delay_alu instid0(VALU_DEP_1)
	v_mov_b64_e32 v[106:107], v[2:3]
	v_cmpx_gt_u32_e32 8, v5
; %bb.7987:                             ;   in Loop: Header=BB6_7947 Depth=3
	v_clz_i32_u32_e32 v0, v2
	s_delay_alu instid0(VALU_DEP_1) | instskip(NEXT) | instid1(VALU_DEP_1)
	v_min_u32_e32 v0, 32, v0
	v_subrev_nc_u32_e32 v1, 28, v0
	v_sub_nc_u32_e32 v0, 29, v0
	s_delay_alu instid0(VALU_DEP_2) | instskip(NEXT) | instid1(VALU_DEP_1)
	v_lshlrev_b64_e32 v[28:29], v1, v[2:3]
	v_and_b32_e32 v106, 7, v28
; %bb.7988:                             ;   in Loop: Header=BB6_7947 Depth=3
	s_or_b32 exec_lo, exec_lo, s74
	s_delay_alu instid0(VALU_DEP_1) | instskip(SKIP_1) | instid1(VALU_DEP_2)
	v_dual_lshlrev_b32 v1, 16, v36 :: v_dual_lshlrev_b32 v2, 20, v106
	v_lshl_add_u32 v0, v0, 23, 0x3c000000
	v_and_b32_e32 v1, 0x80000000, v1
	s_delay_alu instid0(VALU_DEP_1)
	v_or3_b32 v1, v2, v1, v0
.LBB6_7989:                             ;   in Loop: Header=BB6_7947 Depth=3
	s_or_b32 exec_lo, exec_lo, s45
.LBB6_7990:                             ;   in Loop: Header=BB6_7947 Depth=3
	s_delay_alu instid0(SALU_CYCLE_1)
	s_or_b32 exec_lo, exec_lo, s44
.LBB6_7991:                             ;   in Loop: Header=BB6_7947 Depth=3
	s_delay_alu instid0(SALU_CYCLE_1) | instskip(NEXT) | instid1(VALU_DEP_1)
	s_or_b32 exec_lo, exec_lo, s13
	v_add_f32_e32 v0, v4, v1
                                        ; implicit-def: $vgpr110
	s_mov_b32 s13, exec_lo
	s_delay_alu instid0(VALU_DEP_1) | instskip(SKIP_1) | instid1(VALU_DEP_2)
	v_and_b32_e32 v2, 0x7f800000, v0
	v_lshrrev_b32_e32 v1, 24, v0
	v_cmpx_ne_u64_e32 0x7f800000, v[2:3]
	s_xor_b32 s44, exec_lo, s13
	s_cbranch_execz .LBB6_8005
; %bb.7992:                             ;   in Loop: Header=BB6_7947 Depth=3
	v_and_b32_e32 v2, 0x7fffffff, v0
	v_and_b32_e32 v1, 0x80, v1
                                        ; implicit-def: $vgpr110
	s_mov_b32 s13, exec_lo
	s_delay_alu instid0(VALU_DEP_2)
	v_cmpx_gt_u64_e32 0x43e00001, v[2:3]
	s_xor_b32 s45, exec_lo, s13
	s_cbranch_execz .LBB6_8002
; %bb.7993:                             ;   in Loop: Header=BB6_7947 Depth=3
	v_mov_b32_e32 v110, 0
	s_mov_b32 s74, exec_lo
	v_cmpx_ne_u32_e32 0, v0
	s_cbranch_execz .LBB6_8001
; %bb.7994:                             ;   in Loop: Header=BB6_7947 Depth=3
	v_bfe_u32 v4, v0, 23, 8
	v_and_b32_e32 v2, 0x7fffff, v0
	s_mov_b32 s75, exec_lo
	s_delay_alu instid0(VALU_DEP_2) | instskip(SKIP_3) | instid1(VALU_DEP_1)
	v_cmp_gt_u32_e64 s13, 0x7a, v4
	v_sub_nc_u32_e32 v0, 0x79, v4
	v_cmp_eq_u32_e32 vcc_lo, 0, v4
	v_or_b32_e32 v5, 0x800000, v2
	v_dual_cndmask_b32 v0, 0, v0, s13 :: v_dual_cndmask_b32 v2, v5, v2, vcc_lo
	s_delay_alu instid0(VALU_DEP_1) | instskip(NEXT) | instid1(VALU_DEP_1)
	v_cndmask_b32_e64 v0, v0, 0x78, vcc_lo
	v_add_nc_u32_e32 v5, 20, v0
	s_delay_alu instid0(VALU_DEP_3) | instskip(NEXT) | instid1(VALU_DEP_2)
	v_lshrrev_b64 v[106:107], v0, v[2:3]
	v_lshlrev_b64_e64 v[28:29], v5, -1
	v_add_nc_u32_e32 v5, 19, v0
	s_delay_alu instid0(VALU_DEP_3) | instskip(NEXT) | instid1(VALU_DEP_2)
	v_mov_b64_e32 v[108:109], v[106:107]
	v_lshlrev_b64_e64 v[52:53], v5, 1
	s_delay_alu instid0(VALU_DEP_4) | instskip(SKIP_1) | instid1(VALU_DEP_1)
	v_bfi_b32 v29, v29, 0, 0
	v_bfi_b32 v28, v28, 0, v2
	v_cmpx_eq_u64_e64 v[28:29], v[52:53]
; %bb.7995:                             ;   in Loop: Header=BB6_7947 Depth=3
	v_bfe_u32 v2, v106, 20, 1
	s_delay_alu instid0(VALU_DEP_1) | instskip(NEXT) | instid1(VALU_DEP_1)
	v_add_nc_u64_e32 v[28:29], v[106:107], v[2:3]
	v_add_nc_u64_e32 v[108:109], -1, v[28:29]
; %bb.7996:                             ;   in Loop: Header=BB6_7947 Depth=3
	s_or_b32 exec_lo, exec_lo, s75
	v_add_nc_u32_e32 v2, 0xffffff81, v4
	v_lshrrev_b32_e32 v4, 23, v106
	s_mov_b32 s13, exec_lo
	s_delay_alu instid0(VALU_DEP_2) | instskip(NEXT) | instid1(VALU_DEP_1)
	v_cndmask_b32_e64 v2, v2, 0xffffff82, vcc_lo
	v_add3_u32 v5, v0, v2, v4
	v_and_b32_e32 v0, 0xfffff, v108
	s_delay_alu instid0(VALU_DEP_1) | instskip(NEXT) | instid1(VALU_DEP_1)
	v_dual_add_nc_u32 v4, 6, v5 :: v_dual_add_nc_u32 v2, v0, v106
                                        ; implicit-def: $vgpr106_vgpr107
                                        ; implicit-def: $vgpr0
	v_cmpx_ne_u32_e32 0, v4
	s_xor_b32 s13, exec_lo, s13
; %bb.7997:                             ;   in Loop: Header=BB6_7947 Depth=3
	s_delay_alu instid0(VALU_DEP_2) | instskip(SKIP_1) | instid1(VALU_DEP_1)
	v_cmp_lt_u64_e32 vcc_lo, 0xffffff, v[2:3]
	v_add_nc_u32_e32 v0, 7, v5
	v_cndmask_b32_e32 v0, v4, v0, vcc_lo
	v_cndmask_b32_e64 v4, 0, 1, vcc_lo
	s_delay_alu instid0(VALU_DEP_1)
	v_lshrrev_b64 v[106:107], v4, v[2:3]
; %bb.7998:                             ;   in Loop: Header=BB6_7947 Depth=3
	s_and_not1_saveexec_b32 s13, s13
; %bb.7999:                             ;   in Loop: Header=BB6_7947 Depth=3
	v_mov_b64_e32 v[106:107], v[2:3]
	v_bfe_u32 v0, v2, 23, 1
; %bb.8000:                             ;   in Loop: Header=BB6_7947 Depth=3
	s_or_b32 exec_lo, exec_lo, s13
	s_delay_alu instid0(VALU_DEP_2) | instskip(NEXT) | instid1(VALU_DEP_2)
	v_lshrrev_b64 v[4:5], 20, v[106:107]
	v_cmp_gt_i32_e32 vcc_lo, 16, v0
	v_min_i32_e32 v2, 15, v0
	v_cmp_eq_u32_e64 s13, 0, v0
	s_delay_alu instid0(VALU_DEP_2) | instskip(SKIP_1) | instid1(VALU_DEP_2)
	v_dual_cndmask_b32 v5, 0, v5 :: v_dual_lshlrev_b32 v2, 3, v2
	v_cndmask_b32_e32 v4, 7, v4, vcc_lo
	v_and_b32_e32 v2, 0xf8, v2
	s_delay_alu instid0(VALU_DEP_2) | instskip(NEXT) | instid1(VALU_DEP_2)
	v_cmp_eq_u64_e32 vcc_lo, 0, v[4:5]
	v_and_or_b32 v0, v4, 7, v2
	s_and_b32 s13, s13, vcc_lo
	s_delay_alu instid0(VALU_DEP_1) | instid1(SALU_CYCLE_1)
	v_cndmask_b32_e64 v0, v0, 0, s13
	s_delay_alu instid0(VALU_DEP_1)
	v_or_b32_e32 v110, v0, v1
.LBB6_8001:                             ;   in Loop: Header=BB6_7947 Depth=3
	s_or_b32 exec_lo, exec_lo, s74
                                        ; implicit-def: $vgpr1
.LBB6_8002:                             ;   in Loop: Header=BB6_7947 Depth=3
	s_and_not1_saveexec_b32 s13, s45
; %bb.8003:                             ;   in Loop: Header=BB6_7947 Depth=3
	v_or_b32_e32 v110, 0x7e, v1
; %bb.8004:                             ;   in Loop: Header=BB6_7947 Depth=3
	s_or_b32 exec_lo, exec_lo, s13
                                        ; implicit-def: $vgpr1
.LBB6_8005:                             ;   in Loop: Header=BB6_7947 Depth=3
	s_and_not1_saveexec_b32 s13, s44
; %bb.8006:                             ;   in Loop: Header=BB6_7947 Depth=3
	v_or_b32_e32 v110, 0x7f, v1
; %bb.8007:                             ;   in Loop: Header=BB6_7947 Depth=3
	s_or_b32 exec_lo, exec_lo, s13
	v_dual_mov_b32 v1, 0 :: v_dual_lshrrev_b32 v0, 16, v48
	v_mov_b32_e32 v4, 0
	s_mov_b32 s13, exec_lo
	s_delay_alu instid0(VALU_DEP_2) | instskip(NEXT) | instid1(VALU_DEP_1)
	v_and_b32_e32 v2, 0xff, v0
	v_cmpx_ne_u16_e32 0, v2
	s_cbranch_execz .LBB6_8015
; %bb.8008:                             ;   in Loop: Header=BB6_7947 Depth=3
	v_bfrev_b32_e32 v4, 1
	s_mov_b32 s44, exec_lo
	v_cmpx_ne_u16_e32 0x80, v2
	s_cbranch_execz .LBB6_8014
; %bb.8009:                             ;   in Loop: Header=BB6_7947 Depth=3
	v_bfe_u32 v5, v48, 16, 7
	v_mov_b32_e32 v4, 0x7f800001
	s_mov_b32 s45, exec_lo
	s_delay_alu instid0(VALU_DEP_2)
	v_cmpx_ne_u32_e32 0x7f, v5
	s_cbranch_execz .LBB6_8013
; %bb.8010:                             ;   in Loop: Header=BB6_7947 Depth=3
	v_dual_lshrrev_b32 v4, 3, v5 :: v_dual_bitop2_b32 v2, 7, v0 bitop3:0x40
	s_mov_b32 s74, exec_lo
	s_delay_alu instid0(VALU_DEP_1)
	v_mov_b64_e32 v[106:107], v[2:3]
	v_cmpx_gt_u32_e32 8, v5
; %bb.8011:                             ;   in Loop: Header=BB6_7947 Depth=3
	v_clz_i32_u32_e32 v4, v2
	s_delay_alu instid0(VALU_DEP_1) | instskip(NEXT) | instid1(VALU_DEP_1)
	v_min_u32_e32 v4, 32, v4
	v_subrev_nc_u32_e32 v5, 28, v4
	v_sub_nc_u32_e32 v4, 29, v4
	s_delay_alu instid0(VALU_DEP_2) | instskip(NEXT) | instid1(VALU_DEP_1)
	v_lshlrev_b64_e32 v[28:29], v5, v[2:3]
	v_and_b32_e32 v106, 7, v28
; %bb.8012:                             ;   in Loop: Header=BB6_7947 Depth=3
	s_or_b32 exec_lo, exec_lo, s74
	s_delay_alu instid0(VALU_DEP_1) | instskip(SKIP_1) | instid1(VALU_DEP_2)
	v_dual_lshlrev_b32 v0, 24, v0 :: v_dual_lshlrev_b32 v2, 20, v106
	v_lshl_add_u32 v4, v4, 23, 0x3c000000
	v_and_b32_e32 v0, 0x80000000, v0
	s_delay_alu instid0(VALU_DEP_1)
	v_or3_b32 v4, v2, v0, v4
.LBB6_8013:                             ;   in Loop: Header=BB6_7947 Depth=3
	s_or_b32 exec_lo, exec_lo, s45
.LBB6_8014:                             ;   in Loop: Header=BB6_7947 Depth=3
	s_delay_alu instid0(SALU_CYCLE_1)
	s_or_b32 exec_lo, exec_lo, s44
.LBB6_8015:                             ;   in Loop: Header=BB6_7947 Depth=3
	s_delay_alu instid0(SALU_CYCLE_1) | instskip(SKIP_2) | instid1(VALU_DEP_1)
	s_or_b32 exec_lo, exec_lo, s13
	v_lshrrev_b32_e32 v0, 16, v36
	s_mov_b32 s13, exec_lo
	v_and_b32_e32 v2, 0xff, v0
	s_delay_alu instid0(VALU_DEP_1)
	v_cmpx_ne_u16_e32 0, v2
	s_cbranch_execz .LBB6_8023
; %bb.8016:                             ;   in Loop: Header=BB6_7947 Depth=3
	v_bfrev_b32_e32 v1, 1
	s_mov_b32 s44, exec_lo
	v_cmpx_ne_u16_e32 0x80, v2
	s_cbranch_execz .LBB6_8022
; %bb.8017:                             ;   in Loop: Header=BB6_7947 Depth=3
	v_bfe_u32 v5, v36, 16, 7
	v_mov_b32_e32 v1, 0x7f800001
	s_mov_b32 s45, exec_lo
	s_delay_alu instid0(VALU_DEP_2)
	v_cmpx_ne_u32_e32 0x7f, v5
	s_cbranch_execz .LBB6_8021
; %bb.8018:                             ;   in Loop: Header=BB6_7947 Depth=3
	v_dual_lshrrev_b32 v0, 3, v5 :: v_dual_bitop2_b32 v2, 7, v0 bitop3:0x40
	s_mov_b32 s74, exec_lo
	s_delay_alu instid0(VALU_DEP_1)
	v_mov_b64_e32 v[106:107], v[2:3]
	v_cmpx_gt_u32_e32 8, v5
; %bb.8019:                             ;   in Loop: Header=BB6_7947 Depth=3
	v_clz_i32_u32_e32 v0, v2
	s_delay_alu instid0(VALU_DEP_1) | instskip(NEXT) | instid1(VALU_DEP_1)
	v_min_u32_e32 v0, 32, v0
	v_subrev_nc_u32_e32 v1, 28, v0
	v_sub_nc_u32_e32 v0, 29, v0
	s_delay_alu instid0(VALU_DEP_2) | instskip(NEXT) | instid1(VALU_DEP_1)
	v_lshlrev_b64_e32 v[28:29], v1, v[2:3]
	v_and_b32_e32 v106, 7, v28
; %bb.8020:                             ;   in Loop: Header=BB6_7947 Depth=3
	s_or_b32 exec_lo, exec_lo, s74
	s_delay_alu instid0(VALU_DEP_1) | instskip(SKIP_1) | instid1(VALU_DEP_2)
	v_dual_lshlrev_b32 v1, 8, v36 :: v_dual_lshlrev_b32 v2, 20, v106
	v_lshl_add_u32 v0, v0, 23, 0x3c000000
	v_and_b32_e32 v1, 0x80000000, v1
	s_delay_alu instid0(VALU_DEP_1)
	v_or3_b32 v1, v2, v1, v0
.LBB6_8021:                             ;   in Loop: Header=BB6_7947 Depth=3
	s_or_b32 exec_lo, exec_lo, s45
.LBB6_8022:                             ;   in Loop: Header=BB6_7947 Depth=3
	s_delay_alu instid0(SALU_CYCLE_1)
	s_or_b32 exec_lo, exec_lo, s44
.LBB6_8023:                             ;   in Loop: Header=BB6_7947 Depth=3
	s_delay_alu instid0(SALU_CYCLE_1) | instskip(NEXT) | instid1(VALU_DEP_1)
	s_or_b32 exec_lo, exec_lo, s13
	v_add_f32_e32 v0, v4, v1
                                        ; implicit-def: $vgpr28
	s_mov_b32 s13, exec_lo
	s_delay_alu instid0(VALU_DEP_1) | instskip(SKIP_1) | instid1(VALU_DEP_2)
	v_and_b32_e32 v2, 0x7f800000, v0
	v_lshrrev_b32_e32 v1, 24, v0
	v_cmpx_ne_u64_e32 0x7f800000, v[2:3]
	s_xor_b32 s44, exec_lo, s13
	s_cbranch_execz .LBB6_8037
; %bb.8024:                             ;   in Loop: Header=BB6_7947 Depth=3
	v_and_b32_e32 v2, 0x7fffffff, v0
	v_and_b32_e32 v1, 0x80, v1
                                        ; implicit-def: $vgpr28
	s_mov_b32 s13, exec_lo
	s_delay_alu instid0(VALU_DEP_2)
	v_cmpx_gt_u64_e32 0x43e00001, v[2:3]
	s_xor_b32 s45, exec_lo, s13
	s_cbranch_execz .LBB6_8034
; %bb.8025:                             ;   in Loop: Header=BB6_7947 Depth=3
	v_mov_b32_e32 v28, 0
	s_mov_b32 s74, exec_lo
	v_cmpx_ne_u32_e32 0, v0
	s_cbranch_execz .LBB6_8033
; %bb.8026:                             ;   in Loop: Header=BB6_7947 Depth=3
	v_bfe_u32 v4, v0, 23, 8
	v_and_b32_e32 v2, 0x7fffff, v0
	s_mov_b32 s75, exec_lo
	s_delay_alu instid0(VALU_DEP_2) | instskip(SKIP_3) | instid1(VALU_DEP_1)
	v_cmp_gt_u32_e64 s13, 0x7a, v4
	v_sub_nc_u32_e32 v0, 0x79, v4
	v_cmp_eq_u32_e32 vcc_lo, 0, v4
	v_or_b32_e32 v5, 0x800000, v2
	v_dual_cndmask_b32 v0, 0, v0, s13 :: v_dual_cndmask_b32 v2, v5, v2, vcc_lo
	s_delay_alu instid0(VALU_DEP_1) | instskip(NEXT) | instid1(VALU_DEP_1)
	v_cndmask_b32_e64 v0, v0, 0x78, vcc_lo
	v_add_nc_u32_e32 v5, 20, v0
	s_delay_alu instid0(VALU_DEP_3) | instskip(NEXT) | instid1(VALU_DEP_2)
	v_lshrrev_b64 v[106:107], v0, v[2:3]
	v_lshlrev_b64_e64 v[28:29], v5, -1
	v_add_nc_u32_e32 v5, 19, v0
	s_delay_alu instid0(VALU_DEP_3) | instskip(NEXT) | instid1(VALU_DEP_2)
	v_mov_b64_e32 v[108:109], v[106:107]
	v_lshlrev_b64_e64 v[52:53], v5, 1
	s_delay_alu instid0(VALU_DEP_4) | instskip(SKIP_1) | instid1(VALU_DEP_1)
	v_bfi_b32 v29, v29, 0, 0
	v_bfi_b32 v28, v28, 0, v2
	v_cmpx_eq_u64_e64 v[28:29], v[52:53]
; %bb.8027:                             ;   in Loop: Header=BB6_7947 Depth=3
	v_bfe_u32 v2, v106, 20, 1
	s_delay_alu instid0(VALU_DEP_1) | instskip(NEXT) | instid1(VALU_DEP_1)
	v_add_nc_u64_e32 v[28:29], v[106:107], v[2:3]
	v_add_nc_u64_e32 v[108:109], -1, v[28:29]
; %bb.8028:                             ;   in Loop: Header=BB6_7947 Depth=3
	s_or_b32 exec_lo, exec_lo, s75
	v_add_nc_u32_e32 v2, 0xffffff81, v4
	v_lshrrev_b32_e32 v4, 23, v106
	s_mov_b32 s13, exec_lo
	s_delay_alu instid0(VALU_DEP_2) | instskip(NEXT) | instid1(VALU_DEP_1)
	v_cndmask_b32_e64 v2, v2, 0xffffff82, vcc_lo
	v_add3_u32 v5, v0, v2, v4
	v_and_b32_e32 v0, 0xfffff, v108
	s_delay_alu instid0(VALU_DEP_1) | instskip(NEXT) | instid1(VALU_DEP_1)
	v_dual_add_nc_u32 v4, 6, v5 :: v_dual_add_nc_u32 v2, v0, v106
                                        ; implicit-def: $vgpr106_vgpr107
                                        ; implicit-def: $vgpr0
	v_cmpx_ne_u32_e32 0, v4
	s_xor_b32 s13, exec_lo, s13
; %bb.8029:                             ;   in Loop: Header=BB6_7947 Depth=3
	s_delay_alu instid0(VALU_DEP_2) | instskip(SKIP_1) | instid1(VALU_DEP_1)
	v_cmp_lt_u64_e32 vcc_lo, 0xffffff, v[2:3]
	v_add_nc_u32_e32 v0, 7, v5
	v_cndmask_b32_e32 v0, v4, v0, vcc_lo
	v_cndmask_b32_e64 v4, 0, 1, vcc_lo
	s_delay_alu instid0(VALU_DEP_1)
	v_lshrrev_b64 v[106:107], v4, v[2:3]
; %bb.8030:                             ;   in Loop: Header=BB6_7947 Depth=3
	s_and_not1_saveexec_b32 s13, s13
; %bb.8031:                             ;   in Loop: Header=BB6_7947 Depth=3
	v_mov_b64_e32 v[106:107], v[2:3]
	v_bfe_u32 v0, v2, 23, 1
; %bb.8032:                             ;   in Loop: Header=BB6_7947 Depth=3
	s_or_b32 exec_lo, exec_lo, s13
	s_delay_alu instid0(VALU_DEP_2) | instskip(NEXT) | instid1(VALU_DEP_2)
	v_lshrrev_b64 v[4:5], 20, v[106:107]
	v_cmp_gt_i32_e32 vcc_lo, 16, v0
	v_min_i32_e32 v2, 15, v0
	v_cmp_eq_u32_e64 s13, 0, v0
	s_delay_alu instid0(VALU_DEP_2) | instskip(SKIP_1) | instid1(VALU_DEP_2)
	v_dual_cndmask_b32 v5, 0, v5 :: v_dual_lshlrev_b32 v2, 3, v2
	v_cndmask_b32_e32 v4, 7, v4, vcc_lo
	v_and_b32_e32 v2, 0xf8, v2
	s_delay_alu instid0(VALU_DEP_2) | instskip(NEXT) | instid1(VALU_DEP_2)
	v_cmp_eq_u64_e32 vcc_lo, 0, v[4:5]
	v_and_or_b32 v0, v4, 7, v2
	s_and_b32 s13, s13, vcc_lo
	s_delay_alu instid0(VALU_DEP_1) | instid1(SALU_CYCLE_1)
	v_cndmask_b32_e64 v0, v0, 0, s13
	s_delay_alu instid0(VALU_DEP_1)
	v_or_b32_e32 v28, v0, v1
.LBB6_8033:                             ;   in Loop: Header=BB6_7947 Depth=3
	s_or_b32 exec_lo, exec_lo, s74
                                        ; implicit-def: $vgpr1
.LBB6_8034:                             ;   in Loop: Header=BB6_7947 Depth=3
	s_and_not1_saveexec_b32 s13, s45
; %bb.8035:                             ;   in Loop: Header=BB6_7947 Depth=3
	v_or_b32_e32 v28, 0x7e, v1
; %bb.8036:                             ;   in Loop: Header=BB6_7947 Depth=3
	s_or_b32 exec_lo, exec_lo, s13
                                        ; implicit-def: $vgpr1
.LBB6_8037:                             ;   in Loop: Header=BB6_7947 Depth=3
	s_and_not1_saveexec_b32 s13, s44
; %bb.8038:                             ;   in Loop: Header=BB6_7947 Depth=3
	v_or_b32_e32 v28, 0x7f, v1
; %bb.8039:                             ;   in Loop: Header=BB6_7947 Depth=3
	s_or_b32 exec_lo, exec_lo, s13
	v_dual_mov_b32 v1, 0 :: v_dual_mov_b32 v4, 0
	s_mov_b32 s13, exec_lo
	v_cmpx_lt_u32_e32 0xffffff, v48
	s_cbranch_execz .LBB6_8047
; %bb.8040:                             ;   in Loop: Header=BB6_7947 Depth=3
	v_lshrrev_b32_e32 v0, 24, v48
	v_bfrev_b32_e32 v4, 1
	s_mov_b32 s44, exec_lo
	s_delay_alu instid0(VALU_DEP_2)
	v_cmpx_ne_u32_e32 0x80, v0
	s_cbranch_execz .LBB6_8046
; %bb.8041:                             ;   in Loop: Header=BB6_7947 Depth=3
	v_bfe_u32 v5, v48, 24, 7
	v_mov_b32_e32 v4, 0x7f800001
	s_mov_b32 s45, exec_lo
	s_delay_alu instid0(VALU_DEP_2)
	v_cmpx_ne_u32_e32 0x7f, v5
	s_cbranch_execz .LBB6_8045
; %bb.8042:                             ;   in Loop: Header=BB6_7947 Depth=3
	v_dual_lshrrev_b32 v4, 3, v5 :: v_dual_bitop2_b32 v2, 7, v0 bitop3:0x40
	s_mov_b32 s74, exec_lo
	s_delay_alu instid0(VALU_DEP_1)
	v_mov_b64_e32 v[106:107], v[2:3]
	v_cmpx_gt_u32_e32 8, v5
; %bb.8043:                             ;   in Loop: Header=BB6_7947 Depth=3
	v_clz_i32_u32_e32 v4, v2
	s_delay_alu instid0(VALU_DEP_1) | instskip(NEXT) | instid1(VALU_DEP_1)
	v_min_u32_e32 v4, 32, v4
	v_subrev_nc_u32_e32 v5, 28, v4
	v_sub_nc_u32_e32 v4, 29, v4
	s_delay_alu instid0(VALU_DEP_2) | instskip(NEXT) | instid1(VALU_DEP_1)
	v_lshlrev_b64_e32 v[52:53], v5, v[2:3]
	v_and_b32_e32 v106, 7, v52
; %bb.8044:                             ;   in Loop: Header=BB6_7947 Depth=3
	s_or_b32 exec_lo, exec_lo, s74
	s_delay_alu instid0(VALU_DEP_1) | instskip(SKIP_1) | instid1(VALU_DEP_2)
	v_dual_lshlrev_b32 v0, 24, v0 :: v_dual_lshlrev_b32 v2, 20, v106
	v_lshl_add_u32 v4, v4, 23, 0x3c000000
	v_and_b32_e32 v0, 0x80000000, v0
	s_delay_alu instid0(VALU_DEP_1)
	v_or3_b32 v4, v2, v0, v4
.LBB6_8045:                             ;   in Loop: Header=BB6_7947 Depth=3
	s_or_b32 exec_lo, exec_lo, s45
.LBB6_8046:                             ;   in Loop: Header=BB6_7947 Depth=3
	s_delay_alu instid0(SALU_CYCLE_1)
	s_or_b32 exec_lo, exec_lo, s44
.LBB6_8047:                             ;   in Loop: Header=BB6_7947 Depth=3
	s_delay_alu instid0(SALU_CYCLE_1) | instskip(NEXT) | instid1(SALU_CYCLE_1)
	s_or_b32 exec_lo, exec_lo, s13
	s_mov_b32 s13, exec_lo
	v_cmpx_lt_u32_e32 0xffffff, v36
	s_cbranch_execz .LBB6_8055
; %bb.8048:                             ;   in Loop: Header=BB6_7947 Depth=3
	v_lshrrev_b32_e32 v0, 24, v36
	v_bfrev_b32_e32 v1, 1
	s_mov_b32 s44, exec_lo
	s_delay_alu instid0(VALU_DEP_2)
	v_cmpx_ne_u32_e32 0x80, v0
	s_cbranch_execz .LBB6_8054
; %bb.8049:                             ;   in Loop: Header=BB6_7947 Depth=3
	v_bfe_u32 v5, v36, 24, 7
	v_mov_b32_e32 v1, 0x7f800001
	s_mov_b32 s45, exec_lo
	s_delay_alu instid0(VALU_DEP_2)
	v_cmpx_ne_u32_e32 0x7f, v5
	s_cbranch_execz .LBB6_8053
; %bb.8050:                             ;   in Loop: Header=BB6_7947 Depth=3
	v_dual_lshrrev_b32 v1, 3, v5 :: v_dual_bitop2_b32 v2, 7, v0 bitop3:0x40
	s_mov_b32 s74, exec_lo
	s_delay_alu instid0(VALU_DEP_1)
	v_mov_b64_e32 v[106:107], v[2:3]
	v_cmpx_gt_u32_e32 8, v5
; %bb.8051:                             ;   in Loop: Header=BB6_7947 Depth=3
	v_clz_i32_u32_e32 v1, v2
	s_delay_alu instid0(VALU_DEP_1) | instskip(NEXT) | instid1(VALU_DEP_1)
	v_min_u32_e32 v1, 32, v1
	v_subrev_nc_u32_e32 v5, 28, v1
	s_delay_alu instid0(VALU_DEP_1) | instskip(NEXT) | instid1(VALU_DEP_1)
	v_lshlrev_b64_e32 v[52:53], v5, v[2:3]
	v_dual_sub_nc_u32 v1, 29, v1 :: v_dual_bitop2_b32 v106, 7, v52 bitop3:0x40
; %bb.8052:                             ;   in Loop: Header=BB6_7947 Depth=3
	s_or_b32 exec_lo, exec_lo, s74
	s_delay_alu instid0(VALU_DEP_1) | instskip(NEXT) | instid1(VALU_DEP_2)
	v_dual_lshlrev_b32 v0, 24, v0 :: v_dual_lshlrev_b32 v2, 20, v106
	v_lshl_add_u32 v1, v1, 23, 0x3c000000
	s_delay_alu instid0(VALU_DEP_2) | instskip(NEXT) | instid1(VALU_DEP_1)
	v_and_b32_e32 v0, 0x80000000, v0
	v_or3_b32 v1, v2, v0, v1
.LBB6_8053:                             ;   in Loop: Header=BB6_7947 Depth=3
	s_or_b32 exec_lo, exec_lo, s45
.LBB6_8054:                             ;   in Loop: Header=BB6_7947 Depth=3
	s_delay_alu instid0(SALU_CYCLE_1)
	s_or_b32 exec_lo, exec_lo, s44
.LBB6_8055:                             ;   in Loop: Header=BB6_7947 Depth=3
	s_delay_alu instid0(SALU_CYCLE_1) | instskip(NEXT) | instid1(VALU_DEP_1)
	s_or_b32 exec_lo, exec_lo, s13
	v_add_f32_e32 v0, v4, v1
                                        ; implicit-def: $vgpr29
	s_mov_b32 s13, exec_lo
	s_delay_alu instid0(VALU_DEP_1) | instskip(SKIP_1) | instid1(VALU_DEP_2)
	v_and_b32_e32 v2, 0x7f800000, v0
	v_lshrrev_b32_e32 v1, 24, v0
	v_cmpx_ne_u64_e32 0x7f800000, v[2:3]
	s_xor_b32 s44, exec_lo, s13
	s_cbranch_execz .LBB6_8069
; %bb.8056:                             ;   in Loop: Header=BB6_7947 Depth=3
	v_and_b32_e32 v2, 0x7fffffff, v0
	v_and_b32_e32 v1, 0x80, v1
                                        ; implicit-def: $vgpr29
	s_mov_b32 s13, exec_lo
	s_delay_alu instid0(VALU_DEP_2)
	v_cmpx_gt_u64_e32 0x43e00001, v[2:3]
	s_xor_b32 s45, exec_lo, s13
	s_cbranch_execz .LBB6_8066
; %bb.8057:                             ;   in Loop: Header=BB6_7947 Depth=3
	v_mov_b32_e32 v29, 0
	s_mov_b32 s74, exec_lo
	v_cmpx_ne_u32_e32 0, v0
	s_cbranch_execz .LBB6_8065
; %bb.8058:                             ;   in Loop: Header=BB6_7947 Depth=3
	v_bfe_u32 v4, v0, 23, 8
	v_and_b32_e32 v2, 0x7fffff, v0
	s_mov_b32 s75, exec_lo
	s_delay_alu instid0(VALU_DEP_2) | instskip(SKIP_3) | instid1(VALU_DEP_1)
	v_cmp_gt_u32_e64 s13, 0x7a, v4
	v_sub_nc_u32_e32 v0, 0x79, v4
	v_cmp_eq_u32_e32 vcc_lo, 0, v4
	v_or_b32_e32 v5, 0x800000, v2
	v_dual_cndmask_b32 v0, 0, v0, s13 :: v_dual_cndmask_b32 v2, v5, v2, vcc_lo
	s_delay_alu instid0(VALU_DEP_1) | instskip(NEXT) | instid1(VALU_DEP_1)
	v_cndmask_b32_e64 v0, v0, 0x78, vcc_lo
	v_add_nc_u32_e32 v5, 20, v0
	s_delay_alu instid0(VALU_DEP_3) | instskip(NEXT) | instid1(VALU_DEP_2)
	v_lshrrev_b64 v[106:107], v0, v[2:3]
	v_lshlrev_b64_e64 v[52:53], v5, -1
	v_add_nc_u32_e32 v5, 19, v0
	s_delay_alu instid0(VALU_DEP_3) | instskip(NEXT) | instid1(VALU_DEP_2)
	v_mov_b64_e32 v[108:109], v[106:107]
	v_lshlrev_b64_e64 v[66:67], v5, 1
	s_delay_alu instid0(VALU_DEP_4) | instskip(SKIP_1) | instid1(VALU_DEP_1)
	v_bfi_b32 v53, v53, 0, 0
	v_bfi_b32 v52, v52, 0, v2
	v_cmpx_eq_u64_e64 v[52:53], v[66:67]
; %bb.8059:                             ;   in Loop: Header=BB6_7947 Depth=3
	v_bfe_u32 v2, v106, 20, 1
	s_delay_alu instid0(VALU_DEP_1) | instskip(NEXT) | instid1(VALU_DEP_1)
	v_add_nc_u64_e32 v[52:53], v[106:107], v[2:3]
	v_add_nc_u64_e32 v[108:109], -1, v[52:53]
; %bb.8060:                             ;   in Loop: Header=BB6_7947 Depth=3
	s_or_b32 exec_lo, exec_lo, s75
	v_add_nc_u32_e32 v2, 0xffffff81, v4
	v_lshrrev_b32_e32 v4, 23, v106
	s_mov_b32 s13, exec_lo
	s_delay_alu instid0(VALU_DEP_2) | instskip(NEXT) | instid1(VALU_DEP_1)
	v_cndmask_b32_e64 v2, v2, 0xffffff82, vcc_lo
	v_add3_u32 v5, v0, v2, v4
	v_and_b32_e32 v0, 0xfffff, v108
	s_delay_alu instid0(VALU_DEP_1) | instskip(NEXT) | instid1(VALU_DEP_1)
	v_dual_add_nc_u32 v4, 6, v5 :: v_dual_add_nc_u32 v2, v0, v106
                                        ; implicit-def: $vgpr106_vgpr107
                                        ; implicit-def: $vgpr0
	v_cmpx_ne_u32_e32 0, v4
	s_xor_b32 s13, exec_lo, s13
; %bb.8061:                             ;   in Loop: Header=BB6_7947 Depth=3
	s_delay_alu instid0(VALU_DEP_2) | instskip(SKIP_1) | instid1(VALU_DEP_1)
	v_cmp_lt_u64_e32 vcc_lo, 0xffffff, v[2:3]
	v_add_nc_u32_e32 v0, 7, v5
	v_cndmask_b32_e32 v0, v4, v0, vcc_lo
	v_cndmask_b32_e64 v4, 0, 1, vcc_lo
	s_delay_alu instid0(VALU_DEP_1)
	v_lshrrev_b64 v[106:107], v4, v[2:3]
; %bb.8062:                             ;   in Loop: Header=BB6_7947 Depth=3
	s_and_not1_saveexec_b32 s13, s13
; %bb.8063:                             ;   in Loop: Header=BB6_7947 Depth=3
	v_mov_b64_e32 v[106:107], v[2:3]
	v_bfe_u32 v0, v2, 23, 1
; %bb.8064:                             ;   in Loop: Header=BB6_7947 Depth=3
	s_or_b32 exec_lo, exec_lo, s13
	s_delay_alu instid0(VALU_DEP_2) | instskip(NEXT) | instid1(VALU_DEP_2)
	v_lshrrev_b64 v[4:5], 20, v[106:107]
	v_cmp_gt_i32_e32 vcc_lo, 16, v0
	v_min_i32_e32 v2, 15, v0
	v_cmp_eq_u32_e64 s13, 0, v0
	s_delay_alu instid0(VALU_DEP_2) | instskip(SKIP_1) | instid1(VALU_DEP_2)
	v_dual_cndmask_b32 v5, 0, v5 :: v_dual_lshlrev_b32 v2, 3, v2
	v_cndmask_b32_e32 v4, 7, v4, vcc_lo
	v_and_b32_e32 v2, 0xf8, v2
	s_delay_alu instid0(VALU_DEP_2) | instskip(NEXT) | instid1(VALU_DEP_2)
	v_cmp_eq_u64_e32 vcc_lo, 0, v[4:5]
	v_and_or_b32 v0, v4, 7, v2
	s_and_b32 s13, s13, vcc_lo
	s_delay_alu instid0(VALU_DEP_1) | instid1(SALU_CYCLE_1)
	v_cndmask_b32_e64 v0, v0, 0, s13
	s_delay_alu instid0(VALU_DEP_1)
	v_or_b32_e32 v29, v0, v1
.LBB6_8065:                             ;   in Loop: Header=BB6_7947 Depth=3
	s_or_b32 exec_lo, exec_lo, s74
                                        ; implicit-def: $vgpr1
.LBB6_8066:                             ;   in Loop: Header=BB6_7947 Depth=3
	s_and_not1_saveexec_b32 s13, s45
; %bb.8067:                             ;   in Loop: Header=BB6_7947 Depth=3
	v_or_b32_e32 v29, 0x7e, v1
; %bb.8068:                             ;   in Loop: Header=BB6_7947 Depth=3
	s_or_b32 exec_lo, exec_lo, s13
                                        ; implicit-def: $vgpr1
.LBB6_8069:                             ;   in Loop: Header=BB6_7947 Depth=3
	s_and_not1_saveexec_b32 s13, s44
; %bb.8070:                             ;   in Loop: Header=BB6_7947 Depth=3
	v_or_b32_e32 v29, 0x7f, v1
; %bb.8071:                             ;   in Loop: Header=BB6_7947 Depth=3
	s_or_b32 exec_lo, exec_lo, s13
	v_and_b32_e32 v0, 0xff, v49
	v_dual_mov_b32 v2, v49 :: v_dual_mov_b32 v1, 0
	v_mov_b32_e32 v4, 0
	s_mov_b32 s13, exec_lo
	s_delay_alu instid0(VALU_DEP_3)
	v_cmpx_ne_u16_e32 0, v0
	s_cbranch_execz .LBB6_8077
; %bb.8072:                             ;   in Loop: Header=BB6_7947 Depth=3
	v_bfrev_b32_e32 v4, 1
	s_mov_b32 s44, exec_lo
	v_cmpx_ne_u16_e32 0x80, v0
	s_cbranch_execz .LBB6_8076
; %bb.8073:                             ;   in Loop: Header=BB6_7947 Depth=3
	v_and_b32_e32 v0, 0x7f, v49
	v_mov_b32_e32 v4, 0x7f800001
	s_mov_b32 s45, exec_lo
	s_delay_alu instid0(VALU_DEP_2)
	v_cmpx_ne_u32_e32 0x7f, v0
	s_cbranch_execz .LBB6_8075
; %bb.8074:                             ;   in Loop: Header=BB6_7947 Depth=3
	v_dual_lshrrev_b32 v5, 3, v0 :: v_dual_bitop2_b32 v4, 7, v49 bitop3:0x40
	v_cmp_gt_u32_e32 vcc_lo, 8, v0
	s_delay_alu instid0(VALU_DEP_2) | instskip(NEXT) | instid1(VALU_DEP_1)
	v_clz_i32_u32_e32 v0, v4
	v_min_u32_e32 v0, 32, v0
	s_delay_alu instid0(VALU_DEP_1) | instskip(SKIP_1) | instid1(VALU_DEP_2)
	v_subrev_nc_u32_e32 v4, 28, v0
	v_sub_nc_u32_e32 v0, 29, v0
	v_cndmask_b32_e32 v4, 0, v4, vcc_lo
	s_delay_alu instid0(VALU_DEP_2) | instskip(NEXT) | instid1(VALU_DEP_2)
	v_cndmask_b32_e32 v0, v5, v0, vcc_lo
	v_lshlrev_b64_e32 v[4:5], v4, v[2:3]
	v_lshlrev_b32_e32 v5, 24, v2
	s_delay_alu instid0(VALU_DEP_3) | instskip(NEXT) | instid1(VALU_DEP_2)
	v_lshl_add_u32 v0, v0, 23, 0x3c000000
	v_and_b32_e32 v5, 0x80000000, v5
	s_delay_alu instid0(VALU_DEP_4) | instskip(NEXT) | instid1(VALU_DEP_1)
	v_lshlrev_b32_e32 v4, 20, v4
	v_and_b32_e32 v4, 0x700000, v4
	s_delay_alu instid0(VALU_DEP_1)
	v_or3_b32 v4, v4, v5, v0
.LBB6_8075:                             ;   in Loop: Header=BB6_7947 Depth=3
	s_or_b32 exec_lo, exec_lo, s45
.LBB6_8076:                             ;   in Loop: Header=BB6_7947 Depth=3
	s_delay_alu instid0(SALU_CYCLE_1)
	s_or_b32 exec_lo, exec_lo, s44
.LBB6_8077:                             ;   in Loop: Header=BB6_7947 Depth=3
	s_delay_alu instid0(SALU_CYCLE_1) | instskip(SKIP_2) | instid1(VALU_DEP_1)
	s_or_b32 exec_lo, exec_lo, s13
	v_and_b32_e32 v0, 0xff, v37
	s_mov_b32 s13, exec_lo
	v_cmpx_ne_u16_e32 0, v0
	s_cbranch_execz .LBB6_8083
; %bb.8078:                             ;   in Loop: Header=BB6_7947 Depth=3
	v_bfrev_b32_e32 v1, 1
	s_mov_b32 s44, exec_lo
	v_cmpx_ne_u16_e32 0x80, v0
	s_cbranch_execz .LBB6_8082
; %bb.8079:                             ;   in Loop: Header=BB6_7947 Depth=3
	v_and_b32_e32 v0, 0x7f, v37
	v_mov_b32_e32 v1, 0x7f800001
	s_mov_b32 s45, exec_lo
	s_delay_alu instid0(VALU_DEP_2)
	v_cmpx_ne_u32_e32 0x7f, v0
	s_cbranch_execz .LBB6_8081
; %bb.8080:                             ;   in Loop: Header=BB6_7947 Depth=3
	v_dual_lshrrev_b32 v5, 3, v0 :: v_dual_bitop2_b32 v1, 7, v37 bitop3:0x40
	v_cmp_gt_u32_e32 vcc_lo, 8, v0
	v_mov_b32_e32 v0, v37
	s_delay_alu instid0(VALU_DEP_3) | instskip(NEXT) | instid1(VALU_DEP_1)
	v_clz_i32_u32_e32 v1, v1
	v_min_u32_e32 v1, 32, v1
	s_delay_alu instid0(VALU_DEP_1) | instskip(SKIP_1) | instid1(VALU_DEP_2)
	v_sub_nc_u32_e32 v31, 29, v1
	v_subrev_nc_u32_e32 v52, 28, v1
	v_dual_mov_b32 v1, v3 :: v_dual_cndmask_b32 v5, v5, v31, vcc_lo
	s_delay_alu instid0(VALU_DEP_2) | instskip(NEXT) | instid1(VALU_DEP_2)
	v_cndmask_b32_e32 v31, 0, v52, vcc_lo
	v_lshl_add_u32 v5, v5, 23, 0x3c000000
	s_delay_alu instid0(VALU_DEP_2) | instskip(SKIP_1) | instid1(VALU_DEP_1)
	v_lshlrev_b64_e32 v[52:53], v31, v[0:1]
	v_lshlrev_b32_e32 v0, 24, v0
	v_and_b32_e32 v0, 0x80000000, v0
	s_delay_alu instid0(VALU_DEP_3) | instskip(NEXT) | instid1(VALU_DEP_1)
	v_lshlrev_b32_e32 v1, 20, v52
	v_and_b32_e32 v1, 0x700000, v1
	s_delay_alu instid0(VALU_DEP_1)
	v_or3_b32 v1, v1, v0, v5
.LBB6_8081:                             ;   in Loop: Header=BB6_7947 Depth=3
	s_or_b32 exec_lo, exec_lo, s45
.LBB6_8082:                             ;   in Loop: Header=BB6_7947 Depth=3
	s_delay_alu instid0(SALU_CYCLE_1)
	s_or_b32 exec_lo, exec_lo, s44
.LBB6_8083:                             ;   in Loop: Header=BB6_7947 Depth=3
	s_delay_alu instid0(SALU_CYCLE_1) | instskip(NEXT) | instid1(VALU_DEP_1)
	s_or_b32 exec_lo, exec_lo, s13
	v_dual_add_f32 v0, v4, v1 :: v_dual_mov_b32 v5, v3
                                        ; implicit-def: $vgpr100
	s_mov_b32 s13, exec_lo
	s_delay_alu instid0(VALU_DEP_1) | instskip(SKIP_1) | instid1(VALU_DEP_2)
	v_and_b32_e32 v4, 0x7f800000, v0
	v_lshrrev_b32_e32 v1, 24, v0
	v_cmpx_ne_u64_e32 0x7f800000, v[4:5]
	s_xor_b32 s44, exec_lo, s13
	s_cbranch_execz .LBB6_8097
; %bb.8084:                             ;   in Loop: Header=BB6_7947 Depth=3
	v_and_b32_e32 v4, 0x7fffffff, v0
	v_mov_b32_e32 v5, v3
	v_and_b32_e32 v1, 0x80, v1
                                        ; implicit-def: $vgpr100
	s_mov_b32 s13, exec_lo
	s_delay_alu instid0(VALU_DEP_2)
	v_cmpx_gt_u64_e32 0x43e00001, v[4:5]
	s_xor_b32 s45, exec_lo, s13
	s_cbranch_execz .LBB6_8094
; %bb.8085:                             ;   in Loop: Header=BB6_7947 Depth=3
	v_mov_b32_e32 v100, 0
	s_mov_b32 s74, exec_lo
	v_cmpx_ne_u32_e32 0, v0
	s_cbranch_execz .LBB6_8093
; %bb.8086:                             ;   in Loop: Header=BB6_7947 Depth=3
	v_bfe_u32 v4, v0, 23, 8
	v_and_b32_e32 v5, 0x7fffff, v0
	s_mov_b32 s75, exec_lo
	s_delay_alu instid0(VALU_DEP_2) | instskip(SKIP_3) | instid1(VALU_DEP_1)
	v_dual_mov_b32 v53, v3 :: v_dual_sub_nc_u32 v0, 0x79, v4
	v_cmp_gt_u32_e64 s13, 0x7a, v4
	v_cmp_eq_u32_e32 vcc_lo, 0, v4
	v_or_b32_e32 v31, 0x800000, v5
	v_dual_cndmask_b32 v0, 0, v0, s13 :: v_dual_cndmask_b32 v52, v31, v5, vcc_lo
	s_delay_alu instid0(VALU_DEP_1) | instskip(NEXT) | instid1(VALU_DEP_1)
	v_cndmask_b32_e64 v0, v0, 0x78, vcc_lo
	v_add_nc_u32_e32 v5, 20, v0
	s_delay_alu instid0(VALU_DEP_3) | instskip(NEXT) | instid1(VALU_DEP_2)
	v_lshrrev_b64 v[106:107], v0, v[52:53]
	v_lshlrev_b64_e64 v[66:67], v5, -1
	v_add_nc_u32_e32 v5, 19, v0
	s_delay_alu instid0(VALU_DEP_3) | instskip(NEXT) | instid1(VALU_DEP_2)
	v_mov_b64_e32 v[108:109], v[106:107]
	v_lshlrev_b64_e64 v[96:97], v5, 1
	s_delay_alu instid0(VALU_DEP_4) | instskip(SKIP_1) | instid1(VALU_DEP_1)
	v_bfi_b32 v67, v67, 0, 0
	v_bfi_b32 v66, v66, 0, v52
	v_cmpx_eq_u64_e64 v[66:67], v[96:97]
; %bb.8087:                             ;   in Loop: Header=BB6_7947 Depth=3
	v_bfe_u32 v52, v106, 20, 1
	v_mov_b32_e32 v53, v3
	s_delay_alu instid0(VALU_DEP_1) | instskip(NEXT) | instid1(VALU_DEP_1)
	v_add_nc_u64_e32 v[52:53], v[106:107], v[52:53]
	v_add_nc_u64_e32 v[108:109], -1, v[52:53]
; %bb.8088:                             ;   in Loop: Header=BB6_7947 Depth=3
	s_or_b32 exec_lo, exec_lo, s75
	v_dual_mov_b32 v107, v3 :: v_dual_add_nc_u32 v4, 0xffffff81, v4
	v_lshrrev_b32_e32 v5, 23, v106
	s_mov_b32 s13, exec_lo
	s_delay_alu instid0(VALU_DEP_2) | instskip(NEXT) | instid1(VALU_DEP_1)
	v_cndmask_b32_e64 v4, v4, 0xffffff82, vcc_lo
	v_add3_u32 v5, v0, v4, v5
	v_and_b32_e32 v0, 0xfffff, v108
	s_delay_alu instid0(VALU_DEP_1) | instskip(NEXT) | instid1(VALU_DEP_1)
	v_dual_add_nc_u32 v4, 6, v5 :: v_dual_add_nc_u32 v106, v0, v106
                                        ; implicit-def: $vgpr0
	v_cmpx_ne_u32_e32 0, v4
	s_xor_b32 s13, exec_lo, s13
; %bb.8089:                             ;   in Loop: Header=BB6_7947 Depth=3
	s_delay_alu instid0(VALU_DEP_2) | instskip(SKIP_1) | instid1(VALU_DEP_1)
	v_cmp_lt_u64_e32 vcc_lo, 0xffffff, v[106:107]
	v_add_nc_u32_e32 v0, 7, v5
	v_cndmask_b32_e32 v0, v4, v0, vcc_lo
	v_cndmask_b32_e64 v4, 0, 1, vcc_lo
	s_delay_alu instid0(VALU_DEP_1)
	v_lshrrev_b64 v[106:107], v4, v[106:107]
; %bb.8090:                             ;   in Loop: Header=BB6_7947 Depth=3
	s_and_not1_saveexec_b32 s13, s13
; %bb.8091:                             ;   in Loop: Header=BB6_7947 Depth=3
	s_delay_alu instid0(VALU_DEP_1)
	v_bfe_u32 v0, v106, 23, 1
; %bb.8092:                             ;   in Loop: Header=BB6_7947 Depth=3
	s_or_b32 exec_lo, exec_lo, s13
	s_delay_alu instid0(VALU_DEP_2) | instskip(NEXT) | instid1(VALU_DEP_2)
	v_lshrrev_b64 v[4:5], 20, v[106:107]
	v_cmp_gt_i32_e32 vcc_lo, 16, v0
	v_min_i32_e32 v31, 15, v0
	v_cmp_eq_u32_e64 s13, 0, v0
	s_delay_alu instid0(VALU_DEP_2) | instskip(SKIP_1) | instid1(VALU_DEP_2)
	v_dual_cndmask_b32 v5, 0, v5, vcc_lo :: v_dual_lshlrev_b32 v31, 3, v31
	v_cndmask_b32_e32 v4, 7, v4, vcc_lo
	v_and_b32_e32 v31, 0xf8, v31
	s_delay_alu instid0(VALU_DEP_2) | instskip(NEXT) | instid1(VALU_DEP_2)
	v_cmp_eq_u64_e32 vcc_lo, 0, v[4:5]
	v_and_or_b32 v0, v4, 7, v31
	s_and_b32 s13, s13, vcc_lo
	s_delay_alu instid0(VALU_DEP_1) | instid1(SALU_CYCLE_1)
	v_cndmask_b32_e64 v0, v0, 0, s13
	s_delay_alu instid0(VALU_DEP_1)
	v_or_b32_e32 v100, v0, v1
.LBB6_8093:                             ;   in Loop: Header=BB6_7947 Depth=3
	s_or_b32 exec_lo, exec_lo, s74
                                        ; implicit-def: $vgpr1
.LBB6_8094:                             ;   in Loop: Header=BB6_7947 Depth=3
	s_and_not1_saveexec_b32 s13, s45
; %bb.8095:                             ;   in Loop: Header=BB6_7947 Depth=3
	v_or_b32_e32 v100, 0x7e, v1
; %bb.8096:                             ;   in Loop: Header=BB6_7947 Depth=3
	s_or_b32 exec_lo, exec_lo, s13
                                        ; implicit-def: $vgpr1
.LBB6_8097:                             ;   in Loop: Header=BB6_7947 Depth=3
	s_and_not1_saveexec_b32 s13, s44
; %bb.8098:                             ;   in Loop: Header=BB6_7947 Depth=3
	v_or_b32_e32 v100, 0x7f, v1
; %bb.8099:                             ;   in Loop: Header=BB6_7947 Depth=3
	s_or_b32 exec_lo, exec_lo, s13
	v_lshrrev_b16 v0, 8, v2
	v_dual_mov_b32 v1, 0 :: v_dual_mov_b32 v4, 0
	s_mov_b32 s13, exec_lo
	s_delay_alu instid0(VALU_DEP_2)
	v_cmpx_ne_u16_e32 0, v0
	s_cbranch_execz .LBB6_8107
; %bb.8100:                             ;   in Loop: Header=BB6_7947 Depth=3
	v_bfrev_b32_e32 v4, 1
	s_mov_b32 s44, exec_lo
	v_cmpx_ne_u16_e32 0x80, v0
	s_cbranch_execz .LBB6_8106
; %bb.8101:                             ;   in Loop: Header=BB6_7947 Depth=3
	v_and_b32_e32 v0, 0xffff, v0
	v_mov_b32_e32 v4, 0x7f800001
	s_mov_b32 s45, exec_lo
	s_delay_alu instid0(VALU_DEP_2) | instskip(NEXT) | instid1(VALU_DEP_1)
	v_and_b32_e32 v5, 0x7f, v0
	v_cmpx_ne_u32_e32 0x7f, v5
	s_cbranch_execz .LBB6_8105
; %bb.8102:                             ;   in Loop: Header=BB6_7947 Depth=3
	v_dual_mov_b32 v107, v3 :: v_dual_bitop2_b32 v106, 7, v0 bitop3:0x40
	v_lshrrev_b32_e32 v0, 3, v5
	s_mov_b32 s74, exec_lo
	v_cmpx_gt_u32_e32 8, v5
; %bb.8103:                             ;   in Loop: Header=BB6_7947 Depth=3
	s_delay_alu instid0(VALU_DEP_3) | instskip(NEXT) | instid1(VALU_DEP_1)
	v_clz_i32_u32_e32 v0, v106
	v_min_u32_e32 v0, 32, v0
	s_delay_alu instid0(VALU_DEP_1) | instskip(SKIP_1) | instid1(VALU_DEP_2)
	v_subrev_nc_u32_e32 v4, 28, v0
	v_sub_nc_u32_e32 v0, 29, v0
	v_lshlrev_b64_e32 v[4:5], v4, v[106:107]
	s_delay_alu instid0(VALU_DEP_1)
	v_and_b32_e32 v106, 7, v4
; %bb.8104:                             ;   in Loop: Header=BB6_7947 Depth=3
	s_or_b32 exec_lo, exec_lo, s74
	v_lshlrev_b32_e32 v2, 16, v2
	s_delay_alu instid0(VALU_DEP_2) | instskip(SKIP_1) | instid1(VALU_DEP_3)
	v_lshlrev_b32_e32 v4, 20, v106
	v_lshl_add_u32 v0, v0, 23, 0x3c000000
	v_and_b32_e32 v2, 0x80000000, v2
	s_delay_alu instid0(VALU_DEP_1)
	v_or3_b32 v4, v4, v2, v0
.LBB6_8105:                             ;   in Loop: Header=BB6_7947 Depth=3
	s_or_b32 exec_lo, exec_lo, s45
.LBB6_8106:                             ;   in Loop: Header=BB6_7947 Depth=3
	s_delay_alu instid0(SALU_CYCLE_1)
	s_or_b32 exec_lo, exec_lo, s44
.LBB6_8107:                             ;   in Loop: Header=BB6_7947 Depth=3
	s_delay_alu instid0(SALU_CYCLE_1) | instskip(SKIP_2) | instid1(VALU_DEP_1)
	s_or_b32 exec_lo, exec_lo, s13
	v_lshrrev_b16 v0, 8, v37
	s_mov_b32 s13, exec_lo
	v_cmpx_ne_u16_e32 0, v0
	s_cbranch_execz .LBB6_8115
; %bb.8108:                             ;   in Loop: Header=BB6_7947 Depth=3
	v_bfrev_b32_e32 v1, 1
	s_mov_b32 s44, exec_lo
	v_cmpx_ne_u16_e32 0x80, v0
	s_cbranch_execz .LBB6_8114
; %bb.8109:                             ;   in Loop: Header=BB6_7947 Depth=3
	v_and_b32_e32 v0, 0xffff, v0
	v_mov_b32_e32 v1, 0x7f800001
	s_mov_b32 s45, exec_lo
	s_delay_alu instid0(VALU_DEP_2) | instskip(NEXT) | instid1(VALU_DEP_1)
	v_and_b32_e32 v5, 0x7f, v0
	v_cmpx_ne_u32_e32 0x7f, v5
	s_cbranch_execz .LBB6_8113
; %bb.8110:                             ;   in Loop: Header=BB6_7947 Depth=3
	v_dual_lshrrev_b32 v0, 3, v5 :: v_dual_bitop2_b32 v2, 7, v0 bitop3:0x40
	s_mov_b32 s74, exec_lo
	s_delay_alu instid0(VALU_DEP_1)
	v_mov_b64_e32 v[106:107], v[2:3]
	v_cmpx_gt_u32_e32 8, v5
; %bb.8111:                             ;   in Loop: Header=BB6_7947 Depth=3
	v_clz_i32_u32_e32 v0, v2
	s_delay_alu instid0(VALU_DEP_1) | instskip(NEXT) | instid1(VALU_DEP_1)
	v_min_u32_e32 v0, 32, v0
	v_subrev_nc_u32_e32 v1, 28, v0
	v_sub_nc_u32_e32 v0, 29, v0
	s_delay_alu instid0(VALU_DEP_2) | instskip(NEXT) | instid1(VALU_DEP_1)
	v_lshlrev_b64_e32 v[52:53], v1, v[2:3]
	v_and_b32_e32 v106, 7, v52
; %bb.8112:                             ;   in Loop: Header=BB6_7947 Depth=3
	s_or_b32 exec_lo, exec_lo, s74
	s_delay_alu instid0(VALU_DEP_1) | instskip(SKIP_1) | instid1(VALU_DEP_2)
	v_dual_lshlrev_b32 v1, 16, v37 :: v_dual_lshlrev_b32 v2, 20, v106
	v_lshl_add_u32 v0, v0, 23, 0x3c000000
	v_and_b32_e32 v1, 0x80000000, v1
	s_delay_alu instid0(VALU_DEP_1)
	v_or3_b32 v1, v2, v1, v0
.LBB6_8113:                             ;   in Loop: Header=BB6_7947 Depth=3
	s_or_b32 exec_lo, exec_lo, s45
.LBB6_8114:                             ;   in Loop: Header=BB6_7947 Depth=3
	s_delay_alu instid0(SALU_CYCLE_1)
	s_or_b32 exec_lo, exec_lo, s44
.LBB6_8115:                             ;   in Loop: Header=BB6_7947 Depth=3
	s_delay_alu instid0(SALU_CYCLE_1) | instskip(NEXT) | instid1(VALU_DEP_1)
	s_or_b32 exec_lo, exec_lo, s13
	v_add_f32_e32 v0, v4, v1
                                        ; implicit-def: $vgpr101
	s_mov_b32 s13, exec_lo
	s_delay_alu instid0(VALU_DEP_1) | instskip(SKIP_1) | instid1(VALU_DEP_2)
	v_and_b32_e32 v2, 0x7f800000, v0
	v_lshrrev_b32_e32 v1, 24, v0
	v_cmpx_ne_u64_e32 0x7f800000, v[2:3]
	s_xor_b32 s44, exec_lo, s13
	s_cbranch_execz .LBB6_8129
; %bb.8116:                             ;   in Loop: Header=BB6_7947 Depth=3
	v_and_b32_e32 v2, 0x7fffffff, v0
	v_and_b32_e32 v1, 0x80, v1
                                        ; implicit-def: $vgpr101
	s_mov_b32 s13, exec_lo
	s_delay_alu instid0(VALU_DEP_2)
	v_cmpx_gt_u64_e32 0x43e00001, v[2:3]
	s_xor_b32 s45, exec_lo, s13
	s_cbranch_execz .LBB6_8126
; %bb.8117:                             ;   in Loop: Header=BB6_7947 Depth=3
	v_mov_b32_e32 v101, 0
	s_mov_b32 s74, exec_lo
	v_cmpx_ne_u32_e32 0, v0
	s_cbranch_execz .LBB6_8125
; %bb.8118:                             ;   in Loop: Header=BB6_7947 Depth=3
	v_bfe_u32 v4, v0, 23, 8
	v_and_b32_e32 v2, 0x7fffff, v0
	s_mov_b32 s75, exec_lo
	s_delay_alu instid0(VALU_DEP_2) | instskip(SKIP_3) | instid1(VALU_DEP_1)
	v_cmp_gt_u32_e64 s13, 0x7a, v4
	v_sub_nc_u32_e32 v0, 0x79, v4
	v_cmp_eq_u32_e32 vcc_lo, 0, v4
	v_or_b32_e32 v5, 0x800000, v2
	v_dual_cndmask_b32 v0, 0, v0, s13 :: v_dual_cndmask_b32 v2, v5, v2, vcc_lo
	s_delay_alu instid0(VALU_DEP_1) | instskip(NEXT) | instid1(VALU_DEP_1)
	v_cndmask_b32_e64 v0, v0, 0x78, vcc_lo
	v_add_nc_u32_e32 v5, 20, v0
	s_delay_alu instid0(VALU_DEP_3) | instskip(NEXT) | instid1(VALU_DEP_2)
	v_lshrrev_b64 v[106:107], v0, v[2:3]
	v_lshlrev_b64_e64 v[52:53], v5, -1
	v_add_nc_u32_e32 v5, 19, v0
	s_delay_alu instid0(VALU_DEP_3) | instskip(NEXT) | instid1(VALU_DEP_2)
	v_mov_b64_e32 v[108:109], v[106:107]
	v_lshlrev_b64_e64 v[66:67], v5, 1
	s_delay_alu instid0(VALU_DEP_4) | instskip(SKIP_1) | instid1(VALU_DEP_1)
	v_bfi_b32 v53, v53, 0, 0
	v_bfi_b32 v52, v52, 0, v2
	v_cmpx_eq_u64_e64 v[52:53], v[66:67]
; %bb.8119:                             ;   in Loop: Header=BB6_7947 Depth=3
	v_bfe_u32 v2, v106, 20, 1
	s_delay_alu instid0(VALU_DEP_1) | instskip(NEXT) | instid1(VALU_DEP_1)
	v_add_nc_u64_e32 v[52:53], v[106:107], v[2:3]
	v_add_nc_u64_e32 v[108:109], -1, v[52:53]
; %bb.8120:                             ;   in Loop: Header=BB6_7947 Depth=3
	s_or_b32 exec_lo, exec_lo, s75
	v_add_nc_u32_e32 v2, 0xffffff81, v4
	v_lshrrev_b32_e32 v4, 23, v106
	s_mov_b32 s13, exec_lo
	s_delay_alu instid0(VALU_DEP_2) | instskip(NEXT) | instid1(VALU_DEP_1)
	v_cndmask_b32_e64 v2, v2, 0xffffff82, vcc_lo
	v_add3_u32 v5, v0, v2, v4
	v_and_b32_e32 v0, 0xfffff, v108
	s_delay_alu instid0(VALU_DEP_1) | instskip(NEXT) | instid1(VALU_DEP_1)
	v_dual_add_nc_u32 v4, 6, v5 :: v_dual_add_nc_u32 v2, v0, v106
                                        ; implicit-def: $vgpr106_vgpr107
                                        ; implicit-def: $vgpr0
	v_cmpx_ne_u32_e32 0, v4
	s_xor_b32 s13, exec_lo, s13
; %bb.8121:                             ;   in Loop: Header=BB6_7947 Depth=3
	s_delay_alu instid0(VALU_DEP_2) | instskip(SKIP_1) | instid1(VALU_DEP_1)
	v_cmp_lt_u64_e32 vcc_lo, 0xffffff, v[2:3]
	v_add_nc_u32_e32 v0, 7, v5
	v_cndmask_b32_e32 v0, v4, v0, vcc_lo
	v_cndmask_b32_e64 v4, 0, 1, vcc_lo
	s_delay_alu instid0(VALU_DEP_1)
	v_lshrrev_b64 v[106:107], v4, v[2:3]
; %bb.8122:                             ;   in Loop: Header=BB6_7947 Depth=3
	s_and_not1_saveexec_b32 s13, s13
; %bb.8123:                             ;   in Loop: Header=BB6_7947 Depth=3
	v_mov_b64_e32 v[106:107], v[2:3]
	v_bfe_u32 v0, v2, 23, 1
; %bb.8124:                             ;   in Loop: Header=BB6_7947 Depth=3
	s_or_b32 exec_lo, exec_lo, s13
	s_delay_alu instid0(VALU_DEP_2) | instskip(NEXT) | instid1(VALU_DEP_2)
	v_lshrrev_b64 v[4:5], 20, v[106:107]
	v_cmp_gt_i32_e32 vcc_lo, 16, v0
	v_min_i32_e32 v2, 15, v0
	v_cmp_eq_u32_e64 s13, 0, v0
	s_delay_alu instid0(VALU_DEP_2) | instskip(SKIP_1) | instid1(VALU_DEP_2)
	v_dual_cndmask_b32 v5, 0, v5 :: v_dual_lshlrev_b32 v2, 3, v2
	v_cndmask_b32_e32 v4, 7, v4, vcc_lo
	v_and_b32_e32 v2, 0xf8, v2
	s_delay_alu instid0(VALU_DEP_2) | instskip(NEXT) | instid1(VALU_DEP_2)
	v_cmp_eq_u64_e32 vcc_lo, 0, v[4:5]
	v_and_or_b32 v0, v4, 7, v2
	s_and_b32 s13, s13, vcc_lo
	s_delay_alu instid0(VALU_DEP_1) | instid1(SALU_CYCLE_1)
	v_cndmask_b32_e64 v0, v0, 0, s13
	s_delay_alu instid0(VALU_DEP_1)
	v_or_b32_e32 v101, v0, v1
.LBB6_8125:                             ;   in Loop: Header=BB6_7947 Depth=3
	s_or_b32 exec_lo, exec_lo, s74
                                        ; implicit-def: $vgpr1
.LBB6_8126:                             ;   in Loop: Header=BB6_7947 Depth=3
	s_and_not1_saveexec_b32 s13, s45
; %bb.8127:                             ;   in Loop: Header=BB6_7947 Depth=3
	v_or_b32_e32 v101, 0x7e, v1
; %bb.8128:                             ;   in Loop: Header=BB6_7947 Depth=3
	s_or_b32 exec_lo, exec_lo, s13
                                        ; implicit-def: $vgpr1
.LBB6_8129:                             ;   in Loop: Header=BB6_7947 Depth=3
	s_and_not1_saveexec_b32 s13, s44
; %bb.8130:                             ;   in Loop: Header=BB6_7947 Depth=3
	v_or_b32_e32 v101, 0x7f, v1
; %bb.8131:                             ;   in Loop: Header=BB6_7947 Depth=3
	s_or_b32 exec_lo, exec_lo, s13
	v_dual_mov_b32 v1, 0 :: v_dual_lshrrev_b32 v0, 16, v49
	v_mov_b32_e32 v4, 0
	s_mov_b32 s13, exec_lo
	s_delay_alu instid0(VALU_DEP_2) | instskip(NEXT) | instid1(VALU_DEP_1)
	v_and_b32_e32 v2, 0xff, v0
	v_cmpx_ne_u16_e32 0, v2
	s_cbranch_execz .LBB6_8139
; %bb.8132:                             ;   in Loop: Header=BB6_7947 Depth=3
	v_bfrev_b32_e32 v4, 1
	s_mov_b32 s44, exec_lo
	v_cmpx_ne_u16_e32 0x80, v2
	s_cbranch_execz .LBB6_8138
; %bb.8133:                             ;   in Loop: Header=BB6_7947 Depth=3
	v_bfe_u32 v5, v49, 16, 7
	v_mov_b32_e32 v4, 0x7f800001
	s_mov_b32 s45, exec_lo
	s_delay_alu instid0(VALU_DEP_2)
	v_cmpx_ne_u32_e32 0x7f, v5
	s_cbranch_execz .LBB6_8137
; %bb.8134:                             ;   in Loop: Header=BB6_7947 Depth=3
	v_dual_lshrrev_b32 v4, 3, v5 :: v_dual_bitop2_b32 v2, 7, v0 bitop3:0x40
	s_mov_b32 s74, exec_lo
	s_delay_alu instid0(VALU_DEP_1)
	v_mov_b64_e32 v[106:107], v[2:3]
	v_cmpx_gt_u32_e32 8, v5
; %bb.8135:                             ;   in Loop: Header=BB6_7947 Depth=3
	v_clz_i32_u32_e32 v4, v2
	s_delay_alu instid0(VALU_DEP_1) | instskip(NEXT) | instid1(VALU_DEP_1)
	v_min_u32_e32 v4, 32, v4
	v_subrev_nc_u32_e32 v5, 28, v4
	v_sub_nc_u32_e32 v4, 29, v4
	s_delay_alu instid0(VALU_DEP_2) | instskip(NEXT) | instid1(VALU_DEP_1)
	v_lshlrev_b64_e32 v[52:53], v5, v[2:3]
	v_and_b32_e32 v106, 7, v52
; %bb.8136:                             ;   in Loop: Header=BB6_7947 Depth=3
	s_or_b32 exec_lo, exec_lo, s74
	s_delay_alu instid0(VALU_DEP_1) | instskip(SKIP_1) | instid1(VALU_DEP_2)
	v_dual_lshlrev_b32 v0, 24, v0 :: v_dual_lshlrev_b32 v2, 20, v106
	v_lshl_add_u32 v4, v4, 23, 0x3c000000
	v_and_b32_e32 v0, 0x80000000, v0
	s_delay_alu instid0(VALU_DEP_1)
	v_or3_b32 v4, v2, v0, v4
.LBB6_8137:                             ;   in Loop: Header=BB6_7947 Depth=3
	s_or_b32 exec_lo, exec_lo, s45
.LBB6_8138:                             ;   in Loop: Header=BB6_7947 Depth=3
	s_delay_alu instid0(SALU_CYCLE_1)
	s_or_b32 exec_lo, exec_lo, s44
.LBB6_8139:                             ;   in Loop: Header=BB6_7947 Depth=3
	s_delay_alu instid0(SALU_CYCLE_1) | instskip(SKIP_2) | instid1(VALU_DEP_1)
	s_or_b32 exec_lo, exec_lo, s13
	v_lshrrev_b32_e32 v0, 16, v37
	s_mov_b32 s13, exec_lo
	v_and_b32_e32 v2, 0xff, v0
	s_delay_alu instid0(VALU_DEP_1)
	v_cmpx_ne_u16_e32 0, v2
	s_cbranch_execz .LBB6_8147
; %bb.8140:                             ;   in Loop: Header=BB6_7947 Depth=3
	v_bfrev_b32_e32 v1, 1
	s_mov_b32 s44, exec_lo
	v_cmpx_ne_u16_e32 0x80, v2
	s_cbranch_execz .LBB6_8146
; %bb.8141:                             ;   in Loop: Header=BB6_7947 Depth=3
	v_bfe_u32 v5, v37, 16, 7
	v_mov_b32_e32 v1, 0x7f800001
	s_mov_b32 s45, exec_lo
	s_delay_alu instid0(VALU_DEP_2)
	v_cmpx_ne_u32_e32 0x7f, v5
	s_cbranch_execz .LBB6_8145
; %bb.8142:                             ;   in Loop: Header=BB6_7947 Depth=3
	v_dual_lshrrev_b32 v0, 3, v5 :: v_dual_bitop2_b32 v2, 7, v0 bitop3:0x40
	s_mov_b32 s74, exec_lo
	s_delay_alu instid0(VALU_DEP_1)
	v_mov_b64_e32 v[106:107], v[2:3]
	v_cmpx_gt_u32_e32 8, v5
; %bb.8143:                             ;   in Loop: Header=BB6_7947 Depth=3
	v_clz_i32_u32_e32 v0, v2
	s_delay_alu instid0(VALU_DEP_1) | instskip(NEXT) | instid1(VALU_DEP_1)
	v_min_u32_e32 v0, 32, v0
	v_subrev_nc_u32_e32 v1, 28, v0
	v_sub_nc_u32_e32 v0, 29, v0
	s_delay_alu instid0(VALU_DEP_2) | instskip(NEXT) | instid1(VALU_DEP_1)
	v_lshlrev_b64_e32 v[52:53], v1, v[2:3]
	v_and_b32_e32 v106, 7, v52
; %bb.8144:                             ;   in Loop: Header=BB6_7947 Depth=3
	s_or_b32 exec_lo, exec_lo, s74
	s_delay_alu instid0(VALU_DEP_1) | instskip(SKIP_1) | instid1(VALU_DEP_2)
	v_dual_lshlrev_b32 v1, 8, v37 :: v_dual_lshlrev_b32 v2, 20, v106
	v_lshl_add_u32 v0, v0, 23, 0x3c000000
	v_and_b32_e32 v1, 0x80000000, v1
	s_delay_alu instid0(VALU_DEP_1)
	v_or3_b32 v1, v2, v1, v0
.LBB6_8145:                             ;   in Loop: Header=BB6_7947 Depth=3
	s_or_b32 exec_lo, exec_lo, s45
.LBB6_8146:                             ;   in Loop: Header=BB6_7947 Depth=3
	s_delay_alu instid0(SALU_CYCLE_1)
	s_or_b32 exec_lo, exec_lo, s44
.LBB6_8147:                             ;   in Loop: Header=BB6_7947 Depth=3
	s_delay_alu instid0(SALU_CYCLE_1) | instskip(NEXT) | instid1(VALU_DEP_1)
	s_or_b32 exec_lo, exec_lo, s13
	v_add_f32_e32 v0, v4, v1
                                        ; implicit-def: $vgpr4
	s_mov_b32 s13, exec_lo
	s_delay_alu instid0(VALU_DEP_1) | instskip(SKIP_1) | instid1(VALU_DEP_2)
	v_and_b32_e32 v2, 0x7f800000, v0
	v_lshrrev_b32_e32 v1, 24, v0
	v_cmpx_ne_u64_e32 0x7f800000, v[2:3]
	s_xor_b32 s44, exec_lo, s13
	s_cbranch_execz .LBB6_8161
; %bb.8148:                             ;   in Loop: Header=BB6_7947 Depth=3
	v_and_b32_e32 v2, 0x7fffffff, v0
	v_and_b32_e32 v1, 0x80, v1
                                        ; implicit-def: $vgpr4
	s_mov_b32 s13, exec_lo
	s_delay_alu instid0(VALU_DEP_2)
	v_cmpx_gt_u64_e32 0x43e00001, v[2:3]
	s_xor_b32 s45, exec_lo, s13
	s_cbranch_execz .LBB6_8158
; %bb.8149:                             ;   in Loop: Header=BB6_7947 Depth=3
	v_mov_b32_e32 v4, 0
	s_mov_b32 s74, exec_lo
	v_cmpx_ne_u32_e32 0, v0
	s_cbranch_execz .LBB6_8157
; %bb.8150:                             ;   in Loop: Header=BB6_7947 Depth=3
	v_bfe_u32 v4, v0, 23, 8
	v_and_b32_e32 v2, 0x7fffff, v0
	s_mov_b32 s75, exec_lo
	s_delay_alu instid0(VALU_DEP_2) | instskip(SKIP_3) | instid1(VALU_DEP_1)
	v_cmp_gt_u32_e64 s13, 0x7a, v4
	v_sub_nc_u32_e32 v0, 0x79, v4
	v_cmp_eq_u32_e32 vcc_lo, 0, v4
	v_or_b32_e32 v5, 0x800000, v2
	v_dual_cndmask_b32 v0, 0, v0, s13 :: v_dual_cndmask_b32 v2, v5, v2, vcc_lo
	s_delay_alu instid0(VALU_DEP_1) | instskip(NEXT) | instid1(VALU_DEP_1)
	v_cndmask_b32_e64 v0, v0, 0x78, vcc_lo
	v_add_nc_u32_e32 v5, 20, v0
	s_delay_alu instid0(VALU_DEP_3) | instskip(NEXT) | instid1(VALU_DEP_2)
	v_lshrrev_b64 v[106:107], v0, v[2:3]
	v_lshlrev_b64_e64 v[52:53], v5, -1
	v_add_nc_u32_e32 v5, 19, v0
	s_delay_alu instid0(VALU_DEP_3) | instskip(NEXT) | instid1(VALU_DEP_2)
	v_mov_b64_e32 v[108:109], v[106:107]
	v_lshlrev_b64_e64 v[66:67], v5, 1
	s_delay_alu instid0(VALU_DEP_4) | instskip(SKIP_1) | instid1(VALU_DEP_1)
	v_bfi_b32 v53, v53, 0, 0
	v_bfi_b32 v52, v52, 0, v2
	v_cmpx_eq_u64_e64 v[52:53], v[66:67]
; %bb.8151:                             ;   in Loop: Header=BB6_7947 Depth=3
	v_bfe_u32 v2, v106, 20, 1
	s_delay_alu instid0(VALU_DEP_1) | instskip(NEXT) | instid1(VALU_DEP_1)
	v_add_nc_u64_e32 v[52:53], v[106:107], v[2:3]
	v_add_nc_u64_e32 v[108:109], -1, v[52:53]
; %bb.8152:                             ;   in Loop: Header=BB6_7947 Depth=3
	s_or_b32 exec_lo, exec_lo, s75
	v_add_nc_u32_e32 v2, 0xffffff81, v4
	v_lshrrev_b32_e32 v4, 23, v106
	s_mov_b32 s13, exec_lo
	s_delay_alu instid0(VALU_DEP_2) | instskip(NEXT) | instid1(VALU_DEP_1)
	v_cndmask_b32_e64 v2, v2, 0xffffff82, vcc_lo
	v_add3_u32 v5, v0, v2, v4
	v_and_b32_e32 v0, 0xfffff, v108
	s_delay_alu instid0(VALU_DEP_1) | instskip(NEXT) | instid1(VALU_DEP_1)
	v_dual_add_nc_u32 v4, 6, v5 :: v_dual_add_nc_u32 v2, v0, v106
                                        ; implicit-def: $vgpr106_vgpr107
                                        ; implicit-def: $vgpr0
	v_cmpx_ne_u32_e32 0, v4
	s_xor_b32 s13, exec_lo, s13
; %bb.8153:                             ;   in Loop: Header=BB6_7947 Depth=3
	s_delay_alu instid0(VALU_DEP_2) | instskip(SKIP_1) | instid1(VALU_DEP_1)
	v_cmp_lt_u64_e32 vcc_lo, 0xffffff, v[2:3]
	v_add_nc_u32_e32 v0, 7, v5
	v_cndmask_b32_e32 v0, v4, v0, vcc_lo
	v_cndmask_b32_e64 v4, 0, 1, vcc_lo
	s_delay_alu instid0(VALU_DEP_1)
	v_lshrrev_b64 v[106:107], v4, v[2:3]
; %bb.8154:                             ;   in Loop: Header=BB6_7947 Depth=3
	s_and_not1_saveexec_b32 s13, s13
; %bb.8155:                             ;   in Loop: Header=BB6_7947 Depth=3
	v_mov_b64_e32 v[106:107], v[2:3]
	v_bfe_u32 v0, v2, 23, 1
; %bb.8156:                             ;   in Loop: Header=BB6_7947 Depth=3
	s_or_b32 exec_lo, exec_lo, s13
	s_delay_alu instid0(VALU_DEP_2) | instskip(NEXT) | instid1(VALU_DEP_2)
	v_lshrrev_b64 v[4:5], 20, v[106:107]
	v_cmp_gt_i32_e32 vcc_lo, 16, v0
	v_min_i32_e32 v2, 15, v0
	v_cmp_eq_u32_e64 s13, 0, v0
	s_delay_alu instid0(VALU_DEP_2) | instskip(SKIP_1) | instid1(VALU_DEP_2)
	v_dual_cndmask_b32 v5, 0, v5 :: v_dual_lshlrev_b32 v2, 3, v2
	v_cndmask_b32_e32 v4, 7, v4, vcc_lo
	v_and_b32_e32 v2, 0xf8, v2
	s_delay_alu instid0(VALU_DEP_2) | instskip(NEXT) | instid1(VALU_DEP_2)
	v_cmp_eq_u64_e32 vcc_lo, 0, v[4:5]
	v_and_or_b32 v0, v4, 7, v2
	s_and_b32 s13, s13, vcc_lo
	s_delay_alu instid0(VALU_DEP_1) | instid1(SALU_CYCLE_1)
	v_cndmask_b32_e64 v0, v0, 0, s13
	s_delay_alu instid0(VALU_DEP_1)
	v_or_b32_e32 v4, v0, v1
.LBB6_8157:                             ;   in Loop: Header=BB6_7947 Depth=3
	s_or_b32 exec_lo, exec_lo, s74
                                        ; implicit-def: $vgpr1
.LBB6_8158:                             ;   in Loop: Header=BB6_7947 Depth=3
	s_and_not1_saveexec_b32 s13, s45
; %bb.8159:                             ;   in Loop: Header=BB6_7947 Depth=3
	v_or_b32_e32 v4, 0x7e, v1
; %bb.8160:                             ;   in Loop: Header=BB6_7947 Depth=3
	s_or_b32 exec_lo, exec_lo, s13
                                        ; implicit-def: $vgpr1
.LBB6_8161:                             ;   in Loop: Header=BB6_7947 Depth=3
	s_and_not1_saveexec_b32 s13, s44
; %bb.8162:                             ;   in Loop: Header=BB6_7947 Depth=3
	v_or_b32_e32 v4, 0x7f, v1
; %bb.8163:                             ;   in Loop: Header=BB6_7947 Depth=3
	s_or_b32 exec_lo, exec_lo, s13
	v_dual_mov_b32 v1, 0 :: v_dual_mov_b32 v5, 0
	s_mov_b32 s13, exec_lo
	v_cmpx_lt_u64_e64 s[22:23], v[48:49]
	s_cbranch_execz .LBB6_8171
; %bb.8164:                             ;   in Loop: Header=BB6_7947 Depth=3
	v_lshrrev_b32_e32 v0, 24, v49
	v_bfrev_b32_e32 v5, 1
	s_mov_b32 s44, exec_lo
	s_delay_alu instid0(VALU_DEP_2)
	v_cmpx_ne_u32_e32 0x80, v0
	s_cbranch_execz .LBB6_8170
; %bb.8165:                             ;   in Loop: Header=BB6_7947 Depth=3
	v_bfe_u32 v31, v49, 24, 7
	v_mov_b32_e32 v5, 0x7f800001
	s_mov_b32 s45, exec_lo
	s_delay_alu instid0(VALU_DEP_2)
	v_cmpx_ne_u32_e32 0x7f, v31
	s_cbranch_execz .LBB6_8169
; %bb.8166:                             ;   in Loop: Header=BB6_7947 Depth=3
	v_dual_lshrrev_b32 v5, 3, v31 :: v_dual_bitop2_b32 v2, 7, v0 bitop3:0x40
	s_mov_b32 s74, exec_lo
	s_delay_alu instid0(VALU_DEP_1)
	v_mov_b64_e32 v[48:49], v[2:3]
	v_cmpx_gt_u32_e32 8, v31
; %bb.8167:                             ;   in Loop: Header=BB6_7947 Depth=3
	v_clz_i32_u32_e32 v5, v2
	s_delay_alu instid0(VALU_DEP_1) | instskip(NEXT) | instid1(VALU_DEP_1)
	v_min_u32_e32 v5, 32, v5
	v_subrev_nc_u32_e32 v31, 28, v5
	s_delay_alu instid0(VALU_DEP_1) | instskip(NEXT) | instid1(VALU_DEP_1)
	v_lshlrev_b64_e32 v[48:49], v31, v[2:3]
	v_dual_sub_nc_u32 v5, 29, v5 :: v_dual_bitop2_b32 v48, 7, v48 bitop3:0x40
; %bb.8168:                             ;   in Loop: Header=BB6_7947 Depth=3
	s_or_b32 exec_lo, exec_lo, s74
	v_lshlrev_b32_e32 v0, 24, v0
	s_delay_alu instid0(VALU_DEP_2) | instskip(NEXT) | instid1(VALU_DEP_3)
	v_lshlrev_b32_e32 v2, 20, v48
	v_lshl_add_u32 v5, v5, 23, 0x3c000000
	s_delay_alu instid0(VALU_DEP_3) | instskip(NEXT) | instid1(VALU_DEP_1)
	v_and_b32_e32 v0, 0x80000000, v0
	v_or3_b32 v5, v2, v0, v5
.LBB6_8169:                             ;   in Loop: Header=BB6_7947 Depth=3
	s_or_b32 exec_lo, exec_lo, s45
.LBB6_8170:                             ;   in Loop: Header=BB6_7947 Depth=3
	s_delay_alu instid0(SALU_CYCLE_1)
	s_or_b32 exec_lo, exec_lo, s44
.LBB6_8171:                             ;   in Loop: Header=BB6_7947 Depth=3
	s_delay_alu instid0(SALU_CYCLE_1) | instskip(NEXT) | instid1(SALU_CYCLE_1)
	s_or_b32 exec_lo, exec_lo, s13
	s_mov_b32 s13, exec_lo
	v_cmpx_lt_u64_e64 s[22:23], v[36:37]
	s_cbranch_execz .LBB6_8179
; %bb.8172:                             ;   in Loop: Header=BB6_7947 Depth=3
	v_lshrrev_b32_e32 v0, 24, v37
	v_bfrev_b32_e32 v1, 1
	s_mov_b32 s44, exec_lo
	s_delay_alu instid0(VALU_DEP_2)
	v_cmpx_ne_u32_e32 0x80, v0
	s_cbranch_execz .LBB6_8178
; %bb.8173:                             ;   in Loop: Header=BB6_7947 Depth=3
	v_bfe_u32 v31, v37, 24, 7
	v_mov_b32_e32 v1, 0x7f800001
	s_mov_b32 s45, exec_lo
	s_delay_alu instid0(VALU_DEP_2)
	v_cmpx_ne_u32_e32 0x7f, v31
	s_cbranch_execz .LBB6_8177
; %bb.8174:                             ;   in Loop: Header=BB6_7947 Depth=3
	v_dual_lshrrev_b32 v1, 3, v31 :: v_dual_bitop2_b32 v2, 7, v0 bitop3:0x40
	s_mov_b32 s74, exec_lo
	s_delay_alu instid0(VALU_DEP_1)
	v_mov_b64_e32 v[36:37], v[2:3]
	v_cmpx_gt_u32_e32 8, v31
; %bb.8175:                             ;   in Loop: Header=BB6_7947 Depth=3
	v_clz_i32_u32_e32 v1, v2
	s_delay_alu instid0(VALU_DEP_1) | instskip(NEXT) | instid1(VALU_DEP_1)
	v_min_u32_e32 v1, 32, v1
	v_subrev_nc_u32_e32 v31, 28, v1
	s_delay_alu instid0(VALU_DEP_1) | instskip(NEXT) | instid1(VALU_DEP_1)
	v_lshlrev_b64_e32 v[36:37], v31, v[2:3]
	v_dual_sub_nc_u32 v1, 29, v1 :: v_dual_bitop2_b32 v36, 7, v36 bitop3:0x40
; %bb.8176:                             ;   in Loop: Header=BB6_7947 Depth=3
	s_or_b32 exec_lo, exec_lo, s74
	v_lshlrev_b32_e32 v0, 24, v0
	s_delay_alu instid0(VALU_DEP_2) | instskip(NEXT) | instid1(VALU_DEP_3)
	v_lshlrev_b32_e32 v2, 20, v36
	v_lshl_add_u32 v1, v1, 23, 0x3c000000
	s_delay_alu instid0(VALU_DEP_3) | instskip(NEXT) | instid1(VALU_DEP_1)
	v_and_b32_e32 v0, 0x80000000, v0
	v_or3_b32 v1, v2, v0, v1
.LBB6_8177:                             ;   in Loop: Header=BB6_7947 Depth=3
	s_or_b32 exec_lo, exec_lo, s45
.LBB6_8178:                             ;   in Loop: Header=BB6_7947 Depth=3
	s_delay_alu instid0(SALU_CYCLE_1)
	s_or_b32 exec_lo, exec_lo, s44
.LBB6_8179:                             ;   in Loop: Header=BB6_7947 Depth=3
	s_delay_alu instid0(SALU_CYCLE_1) | instskip(NEXT) | instid1(VALU_DEP_1)
	s_or_b32 exec_lo, exec_lo, s13
	v_add_f32_e32 v0, v5, v1
                                        ; implicit-def: $vgpr5
	s_mov_b32 s13, exec_lo
	s_delay_alu instid0(VALU_DEP_1) | instskip(SKIP_1) | instid1(VALU_DEP_2)
	v_and_b32_e32 v2, 0x7f800000, v0
	v_lshrrev_b32_e32 v1, 24, v0
	v_cmpx_ne_u64_e32 0x7f800000, v[2:3]
	s_xor_b32 s44, exec_lo, s13
	s_cbranch_execz .LBB6_8193
; %bb.8180:                             ;   in Loop: Header=BB6_7947 Depth=3
	v_and_b32_e32 v2, 0x7fffffff, v0
	v_and_b32_e32 v1, 0x80, v1
                                        ; implicit-def: $vgpr5
	s_mov_b32 s13, exec_lo
	s_delay_alu instid0(VALU_DEP_2)
	v_cmpx_gt_u64_e32 0x43e00001, v[2:3]
	s_xor_b32 s45, exec_lo, s13
	s_cbranch_execz .LBB6_8190
; %bb.8181:                             ;   in Loop: Header=BB6_7947 Depth=3
	v_mov_b32_e32 v5, 0
	s_mov_b32 s74, exec_lo
	v_cmpx_ne_u32_e32 0, v0
	s_cbranch_execz .LBB6_8189
; %bb.8182:                             ;   in Loop: Header=BB6_7947 Depth=3
	v_bfe_u32 v5, v0, 23, 8
	v_and_b32_e32 v2, 0x7fffff, v0
	s_delay_alu instid0(VALU_DEP_2) | instskip(SKIP_2) | instid1(VALU_DEP_4)
	v_cmp_gt_u32_e64 s13, 0x7a, v5
	v_sub_nc_u32_e32 v0, 0x79, v5
	v_cmp_eq_u32_e32 vcc_lo, 0, v5
	v_or_b32_e32 v31, 0x800000, v2
	s_delay_alu instid0(VALU_DEP_1) | instskip(NEXT) | instid1(VALU_DEP_1)
	v_dual_cndmask_b32 v0, 0, v0, s13 :: v_dual_cndmask_b32 v2, v31, v2, vcc_lo
	v_cndmask_b32_e64 v0, v0, 0x78, vcc_lo
	s_delay_alu instid0(VALU_DEP_1) | instskip(NEXT) | instid1(VALU_DEP_1)
	v_add_nc_u32_e32 v31, 20, v0
	v_lshlrev_b64_e64 v[36:37], v31, -1
	v_add_nc_u32_e32 v31, 19, v0
	s_delay_alu instid0(VALU_DEP_1) | instskip(NEXT) | instid1(VALU_DEP_3)
	v_lshlrev_b64_e64 v[48:49], v31, 1
	v_bfi_b32 v37, v37, 0, 0
	s_delay_alu instid0(VALU_DEP_4) | instskip(NEXT) | instid1(VALU_DEP_1)
	v_bfi_b32 v36, v36, 0, v2
	v_cmp_eq_u64_e64 s13, v[36:37], v[48:49]
	v_lshrrev_b64 v[36:37], v0, v[2:3]
	s_delay_alu instid0(VALU_DEP_1)
	v_mov_b64_e32 v[48:49], v[36:37]
	s_and_saveexec_b32 s75, s13
; %bb.8183:                             ;   in Loop: Header=BB6_7947 Depth=3
	v_bfe_u32 v2, v36, 20, 1
	s_delay_alu instid0(VALU_DEP_1) | instskip(NEXT) | instid1(VALU_DEP_1)
	v_add_nc_u64_e32 v[48:49], v[36:37], v[2:3]
	v_add_nc_u64_e32 v[48:49], -1, v[48:49]
; %bb.8184:                             ;   in Loop: Header=BB6_7947 Depth=3
	s_or_b32 exec_lo, exec_lo, s75
	v_add_nc_u32_e32 v2, 0xffffff81, v5
	v_lshrrev_b32_e32 v5, 23, v36
	s_mov_b32 s13, exec_lo
	s_delay_alu instid0(VALU_DEP_2) | instskip(NEXT) | instid1(VALU_DEP_1)
	v_cndmask_b32_e64 v2, v2, 0xffffff82, vcc_lo
	v_add3_u32 v31, v0, v2, v5
	v_and_b32_e32 v0, 0xfffff, v48
	s_delay_alu instid0(VALU_DEP_1) | instskip(NEXT) | instid1(VALU_DEP_1)
	v_dual_add_nc_u32 v5, 6, v31 :: v_dual_add_nc_u32 v2, v0, v36
                                        ; implicit-def: $vgpr36_vgpr37
                                        ; implicit-def: $vgpr0
	v_cmpx_ne_u32_e32 0, v5
	s_xor_b32 s13, exec_lo, s13
; %bb.8185:                             ;   in Loop: Header=BB6_7947 Depth=3
	s_delay_alu instid0(VALU_DEP_2) | instskip(SKIP_1) | instid1(VALU_DEP_1)
	v_cmp_lt_u64_e32 vcc_lo, 0xffffff, v[2:3]
	v_add_nc_u32_e32 v0, 7, v31
	v_cndmask_b32_e32 v0, v5, v0, vcc_lo
	v_cndmask_b32_e64 v5, 0, 1, vcc_lo
	s_delay_alu instid0(VALU_DEP_1)
	v_lshrrev_b64 v[36:37], v5, v[2:3]
; %bb.8186:                             ;   in Loop: Header=BB6_7947 Depth=3
	s_and_not1_saveexec_b32 s13, s13
; %bb.8187:                             ;   in Loop: Header=BB6_7947 Depth=3
	v_mov_b64_e32 v[36:37], v[2:3]
	v_bfe_u32 v0, v2, 23, 1
; %bb.8188:                             ;   in Loop: Header=BB6_7947 Depth=3
	s_or_b32 exec_lo, exec_lo, s13
	s_delay_alu instid0(VALU_DEP_2) | instskip(NEXT) | instid1(VALU_DEP_2)
	v_lshrrev_b64 v[36:37], 20, v[36:37]
	v_cmp_gt_i32_e32 vcc_lo, 16, v0
	v_min_i32_e32 v2, 15, v0
	v_cmp_eq_u32_e64 s13, 0, v0
	s_delay_alu instid0(VALU_DEP_2) | instskip(SKIP_1) | instid1(VALU_DEP_2)
	v_dual_cndmask_b32 v37, 0, v37 :: v_dual_lshlrev_b32 v2, 3, v2
	v_cndmask_b32_e32 v36, 7, v36, vcc_lo
	v_and_b32_e32 v2, 0xf8, v2
	s_delay_alu instid0(VALU_DEP_2) | instskip(NEXT) | instid1(VALU_DEP_2)
	v_cmp_eq_u64_e32 vcc_lo, 0, v[36:37]
	v_and_or_b32 v0, v36, 7, v2
	s_and_b32 s13, s13, vcc_lo
	s_delay_alu instid0(VALU_DEP_1) | instid1(SALU_CYCLE_1)
	v_cndmask_b32_e64 v0, v0, 0, s13
	s_delay_alu instid0(VALU_DEP_1)
	v_or_b32_e32 v5, v0, v1
.LBB6_8189:                             ;   in Loop: Header=BB6_7947 Depth=3
	s_or_b32 exec_lo, exec_lo, s74
                                        ; implicit-def: $vgpr1
.LBB6_8190:                             ;   in Loop: Header=BB6_7947 Depth=3
	s_and_not1_saveexec_b32 s13, s45
; %bb.8191:                             ;   in Loop: Header=BB6_7947 Depth=3
	v_or_b32_e32 v5, 0x7e, v1
; %bb.8192:                             ;   in Loop: Header=BB6_7947 Depth=3
	s_or_b32 exec_lo, exec_lo, s13
                                        ; implicit-def: $vgpr1
.LBB6_8193:                             ;   in Loop: Header=BB6_7947 Depth=3
	s_and_not1_saveexec_b32 s13, s44
; %bb.8194:                             ;   in Loop: Header=BB6_7947 Depth=3
	v_or_b32_e32 v5, 0x7f, v1
; %bb.8195:                             ;   in Loop: Header=BB6_7947 Depth=3
	s_or_b32 exec_lo, exec_lo, s13
	v_and_b32_e32 v0, 0xff, v50
	v_dual_mov_b32 v1, 0 :: v_dual_mov_b32 v2, 0
	s_mov_b32 s13, exec_lo
	s_delay_alu instid0(VALU_DEP_2)
	v_cmpx_ne_u16_e32 0, v0
	s_cbranch_execz .LBB6_8201
; %bb.8196:                             ;   in Loop: Header=BB6_7947 Depth=3
	v_bfrev_b32_e32 v2, 1
	s_mov_b32 s44, exec_lo
	v_cmpx_ne_u16_e32 0x80, v0
	s_cbranch_execz .LBB6_8200
; %bb.8197:                             ;   in Loop: Header=BB6_7947 Depth=3
	v_and_b32_e32 v0, 0x7f, v50
	v_mov_b32_e32 v2, 0x7f800001
	s_mov_b32 s45, exec_lo
	s_delay_alu instid0(VALU_DEP_2)
	v_cmpx_ne_u32_e32 0x7f, v0
	s_cbranch_execz .LBB6_8199
; %bb.8198:                             ;   in Loop: Header=BB6_7947 Depth=3
	v_dual_lshrrev_b32 v31, 3, v0 :: v_dual_bitop2_b32 v2, 7, v50 bitop3:0x40
	v_cmp_gt_u32_e32 vcc_lo, 8, v0
	s_delay_alu instid0(VALU_DEP_2) | instskip(NEXT) | instid1(VALU_DEP_1)
	v_clz_i32_u32_e32 v0, v2
	v_min_u32_e32 v0, 32, v0
	s_delay_alu instid0(VALU_DEP_1) | instskip(NEXT) | instid1(VALU_DEP_1)
	v_subrev_nc_u32_e32 v2, 28, v0
	v_dual_sub_nc_u32 v0, 29, v0 :: v_dual_cndmask_b32 v2, 0, v2, vcc_lo
	s_delay_alu instid0(VALU_DEP_1) | instskip(NEXT) | instid1(VALU_DEP_2)
	v_dual_cndmask_b32 v0, v31, v0 :: v_dual_lshlrev_b32 v31, 24, v50
	v_lshlrev_b64_e32 v[36:37], v2, v[50:51]
	s_delay_alu instid0(VALU_DEP_2) | instskip(NEXT) | instid1(VALU_DEP_3)
	v_lshl_add_u32 v0, v0, 23, 0x3c000000
	v_and_b32_e32 v31, 0x80000000, v31
	s_delay_alu instid0(VALU_DEP_3) | instskip(NEXT) | instid1(VALU_DEP_1)
	v_lshlrev_b32_e32 v2, 20, v36
	v_and_b32_e32 v2, 0x700000, v2
	s_delay_alu instid0(VALU_DEP_1)
	v_or3_b32 v2, v2, v31, v0
.LBB6_8199:                             ;   in Loop: Header=BB6_7947 Depth=3
	s_or_b32 exec_lo, exec_lo, s45
.LBB6_8200:                             ;   in Loop: Header=BB6_7947 Depth=3
	s_delay_alu instid0(SALU_CYCLE_1)
	s_or_b32 exec_lo, exec_lo, s44
.LBB6_8201:                             ;   in Loop: Header=BB6_7947 Depth=3
	s_delay_alu instid0(SALU_CYCLE_1) | instskip(SKIP_2) | instid1(VALU_DEP_1)
	s_or_b32 exec_lo, exec_lo, s13
	v_and_b32_e32 v0, 0xff, v38
	s_mov_b32 s13, exec_lo
	v_cmpx_ne_u16_e32 0, v0
	s_cbranch_execz .LBB6_8207
; %bb.8202:                             ;   in Loop: Header=BB6_7947 Depth=3
	v_bfrev_b32_e32 v1, 1
	s_mov_b32 s44, exec_lo
	v_cmpx_ne_u16_e32 0x80, v0
	s_cbranch_execz .LBB6_8206
; %bb.8203:                             ;   in Loop: Header=BB6_7947 Depth=3
	v_and_b32_e32 v0, 0x7f, v38
	v_mov_b32_e32 v1, 0x7f800001
	s_mov_b32 s45, exec_lo
	s_delay_alu instid0(VALU_DEP_2)
	v_cmpx_ne_u32_e32 0x7f, v0
	s_cbranch_execz .LBB6_8205
; %bb.8204:                             ;   in Loop: Header=BB6_7947 Depth=3
	v_dual_lshrrev_b32 v31, 3, v0 :: v_dual_bitop2_b32 v1, 7, v38 bitop3:0x40
	v_cmp_gt_u32_e32 vcc_lo, 8, v0
	s_delay_alu instid0(VALU_DEP_2) | instskip(NEXT) | instid1(VALU_DEP_1)
	v_clz_i32_u32_e32 v0, v1
	v_min_u32_e32 v0, 32, v0
	s_delay_alu instid0(VALU_DEP_1) | instskip(SKIP_1) | instid1(VALU_DEP_1)
	v_subrev_nc_u32_e32 v1, 28, v0
	v_sub_nc_u32_e32 v0, 29, v0
	v_dual_cndmask_b32 v31, v31, v0 :: v_dual_cndmask_b32 v0, 0, v1
	s_delay_alu instid0(VALU_DEP_1) | instskip(NEXT) | instid1(VALU_DEP_2)
	v_lshl_add_u32 v31, v31, 23, 0x3c000000
	v_lshlrev_b64_e32 v[0:1], v0, v[38:39]
	v_lshlrev_b32_e32 v1, 24, v38
	s_delay_alu instid0(VALU_DEP_1) | instskip(NEXT) | instid1(VALU_DEP_3)
	v_and_b32_e32 v1, 0x80000000, v1
	v_lshlrev_b32_e32 v0, 20, v0
	s_delay_alu instid0(VALU_DEP_1) | instskip(NEXT) | instid1(VALU_DEP_1)
	v_and_b32_e32 v0, 0x700000, v0
	v_or3_b32 v1, v0, v1, v31
.LBB6_8205:                             ;   in Loop: Header=BB6_7947 Depth=3
	s_or_b32 exec_lo, exec_lo, s45
.LBB6_8206:                             ;   in Loop: Header=BB6_7947 Depth=3
	s_delay_alu instid0(SALU_CYCLE_1)
	s_or_b32 exec_lo, exec_lo, s44
.LBB6_8207:                             ;   in Loop: Header=BB6_7947 Depth=3
	s_delay_alu instid0(SALU_CYCLE_1) | instskip(NEXT) | instid1(VALU_DEP_1)
	s_or_b32 exec_lo, exec_lo, s13
	v_add_f32_e32 v0, v2, v1
                                        ; implicit-def: $vgpr106
	s_mov_b32 s13, exec_lo
	s_delay_alu instid0(VALU_DEP_1) | instskip(SKIP_1) | instid1(VALU_DEP_2)
	v_and_b32_e32 v2, 0x7f800000, v0
	v_lshrrev_b32_e32 v1, 24, v0
	v_cmpx_ne_u64_e32 0x7f800000, v[2:3]
	s_xor_b32 s44, exec_lo, s13
	s_cbranch_execz .LBB6_8221
; %bb.8208:                             ;   in Loop: Header=BB6_7947 Depth=3
	v_and_b32_e32 v2, 0x7fffffff, v0
	v_and_b32_e32 v1, 0x80, v1
                                        ; implicit-def: $vgpr106
	s_mov_b32 s13, exec_lo
	s_delay_alu instid0(VALU_DEP_2)
	v_cmpx_gt_u64_e32 0x43e00001, v[2:3]
	s_xor_b32 s45, exec_lo, s13
	s_cbranch_execz .LBB6_8218
; %bb.8209:                             ;   in Loop: Header=BB6_7947 Depth=3
	v_mov_b32_e32 v106, 0
	s_mov_b32 s74, exec_lo
	v_cmpx_ne_u32_e32 0, v0
	s_cbranch_execz .LBB6_8217
; %bb.8210:                             ;   in Loop: Header=BB6_7947 Depth=3
	v_bfe_u32 v31, v0, 23, 8
	v_and_b32_e32 v2, 0x7fffff, v0
	s_delay_alu instid0(VALU_DEP_2) | instskip(SKIP_2) | instid1(VALU_DEP_4)
	v_cmp_gt_u32_e64 s13, 0x7a, v31
	v_sub_nc_u32_e32 v0, 0x79, v31
	v_cmp_eq_u32_e32 vcc_lo, 0, v31
	v_or_b32_e32 v36, 0x800000, v2
	s_delay_alu instid0(VALU_DEP_1) | instskip(NEXT) | instid1(VALU_DEP_1)
	v_dual_cndmask_b32 v0, 0, v0, s13 :: v_dual_cndmask_b32 v2, v36, v2, vcc_lo
	v_cndmask_b32_e64 v0, v0, 0x78, vcc_lo
	s_delay_alu instid0(VALU_DEP_1) | instskip(NEXT) | instid1(VALU_DEP_1)
	v_dual_add_nc_u32 v36, 20, v0 :: v_dual_add_nc_u32 v48, 19, v0
	v_lshlrev_b64_e64 v[36:37], v36, -1
	s_delay_alu instid0(VALU_DEP_2) | instskip(NEXT) | instid1(VALU_DEP_2)
	v_lshlrev_b64_e64 v[48:49], v48, 1
	v_bfi_b32 v37, v37, 0, 0
	s_delay_alu instid0(VALU_DEP_3) | instskip(NEXT) | instid1(VALU_DEP_1)
	v_bfi_b32 v36, v36, 0, v2
	v_cmp_eq_u64_e64 s13, v[36:37], v[48:49]
	v_lshrrev_b64 v[36:37], v0, v[2:3]
	s_delay_alu instid0(VALU_DEP_1)
	v_mov_b64_e32 v[48:49], v[36:37]
	s_and_saveexec_b32 s75, s13
; %bb.8211:                             ;   in Loop: Header=BB6_7947 Depth=3
	v_bfe_u32 v2, v36, 20, 1
	s_delay_alu instid0(VALU_DEP_1) | instskip(NEXT) | instid1(VALU_DEP_1)
	v_add_nc_u64_e32 v[48:49], v[36:37], v[2:3]
	v_add_nc_u64_e32 v[48:49], -1, v[48:49]
; %bb.8212:                             ;   in Loop: Header=BB6_7947 Depth=3
	s_or_b32 exec_lo, exec_lo, s75
	v_add_nc_u32_e32 v2, 0xffffff81, v31
	v_lshrrev_b32_e32 v31, 23, v36
	s_mov_b32 s13, exec_lo
	s_delay_alu instid0(VALU_DEP_2) | instskip(NEXT) | instid1(VALU_DEP_1)
	v_cndmask_b32_e64 v2, v2, 0xffffff82, vcc_lo
	v_add3_u32 v49, v0, v2, v31
	v_and_b32_e32 v0, 0xfffff, v48
	s_delay_alu instid0(VALU_DEP_1) | instskip(NEXT) | instid1(VALU_DEP_1)
	v_dual_add_nc_u32 v31, 6, v49 :: v_dual_add_nc_u32 v2, v0, v36
                                        ; implicit-def: $vgpr36_vgpr37
                                        ; implicit-def: $vgpr0
	v_cmpx_ne_u32_e32 0, v31
	s_xor_b32 s13, exec_lo, s13
; %bb.8213:                             ;   in Loop: Header=BB6_7947 Depth=3
	s_delay_alu instid0(VALU_DEP_2) | instskip(SKIP_1) | instid1(VALU_DEP_1)
	v_cmp_lt_u64_e32 vcc_lo, 0xffffff, v[2:3]
	v_add_nc_u32_e32 v0, 7, v49
	v_cndmask_b32_e32 v0, v31, v0, vcc_lo
	v_cndmask_b32_e64 v31, 0, 1, vcc_lo
	s_delay_alu instid0(VALU_DEP_1)
	v_lshrrev_b64 v[36:37], v31, v[2:3]
; %bb.8214:                             ;   in Loop: Header=BB6_7947 Depth=3
	s_and_not1_saveexec_b32 s13, s13
; %bb.8215:                             ;   in Loop: Header=BB6_7947 Depth=3
	v_mov_b64_e32 v[36:37], v[2:3]
	v_bfe_u32 v0, v2, 23, 1
; %bb.8216:                             ;   in Loop: Header=BB6_7947 Depth=3
	s_or_b32 exec_lo, exec_lo, s13
	s_delay_alu instid0(VALU_DEP_2) | instskip(NEXT) | instid1(VALU_DEP_2)
	v_lshrrev_b64 v[36:37], 20, v[36:37]
	v_cmp_gt_i32_e32 vcc_lo, 16, v0
	v_min_i32_e32 v2, 15, v0
	v_cmp_eq_u32_e64 s13, 0, v0
	s_delay_alu instid0(VALU_DEP_2) | instskip(SKIP_1) | instid1(VALU_DEP_2)
	v_dual_cndmask_b32 v37, 0, v37 :: v_dual_lshlrev_b32 v2, 3, v2
	v_cndmask_b32_e32 v36, 7, v36, vcc_lo
	v_and_b32_e32 v2, 0xf8, v2
	s_delay_alu instid0(VALU_DEP_2) | instskip(NEXT) | instid1(VALU_DEP_2)
	v_cmp_eq_u64_e32 vcc_lo, 0, v[36:37]
	v_and_or_b32 v0, v36, 7, v2
	s_and_b32 s13, s13, vcc_lo
	s_delay_alu instid0(VALU_DEP_1) | instid1(SALU_CYCLE_1)
	v_cndmask_b32_e64 v0, v0, 0, s13
	s_delay_alu instid0(VALU_DEP_1)
	v_or_b32_e32 v106, v0, v1
.LBB6_8217:                             ;   in Loop: Header=BB6_7947 Depth=3
	s_or_b32 exec_lo, exec_lo, s74
                                        ; implicit-def: $vgpr1
.LBB6_8218:                             ;   in Loop: Header=BB6_7947 Depth=3
	s_and_not1_saveexec_b32 s13, s45
; %bb.8219:                             ;   in Loop: Header=BB6_7947 Depth=3
	v_or_b32_e32 v106, 0x7e, v1
; %bb.8220:                             ;   in Loop: Header=BB6_7947 Depth=3
	s_or_b32 exec_lo, exec_lo, s13
                                        ; implicit-def: $vgpr1
.LBB6_8221:                             ;   in Loop: Header=BB6_7947 Depth=3
	s_and_not1_saveexec_b32 s13, s44
; %bb.8222:                             ;   in Loop: Header=BB6_7947 Depth=3
	v_or_b32_e32 v106, 0x7f, v1
; %bb.8223:                             ;   in Loop: Header=BB6_7947 Depth=3
	s_or_b32 exec_lo, exec_lo, s13
	v_lshrrev_b16 v0, 8, v50
	v_dual_mov_b32 v1, 0 :: v_dual_mov_b32 v31, 0
	s_mov_b32 s13, exec_lo
	s_delay_alu instid0(VALU_DEP_2)
	v_cmpx_ne_u16_e32 0, v0
	s_cbranch_execz .LBB6_8231
; %bb.8224:                             ;   in Loop: Header=BB6_7947 Depth=3
	v_bfrev_b32_e32 v31, 1
	s_mov_b32 s44, exec_lo
	v_cmpx_ne_u16_e32 0x80, v0
	s_cbranch_execz .LBB6_8230
; %bb.8225:                             ;   in Loop: Header=BB6_7947 Depth=3
	v_and_b32_e32 v0, 0xffff, v0
	v_mov_b32_e32 v31, 0x7f800001
	s_mov_b32 s45, exec_lo
	s_delay_alu instid0(VALU_DEP_2) | instskip(NEXT) | instid1(VALU_DEP_1)
	v_and_b32_e32 v36, 0x7f, v0
	v_cmpx_ne_u32_e32 0x7f, v36
	s_cbranch_execz .LBB6_8229
; %bb.8226:                             ;   in Loop: Header=BB6_7947 Depth=3
	v_and_b32_e32 v2, 7, v0
	v_lshrrev_b32_e32 v0, 3, v36
	v_cmp_gt_u32_e32 vcc_lo, 8, v36
	s_delay_alu instid0(VALU_DEP_3)
	v_mov_b64_e32 v[36:37], v[2:3]
	s_and_saveexec_b32 s74, vcc_lo
; %bb.8227:                             ;   in Loop: Header=BB6_7947 Depth=3
	v_clz_i32_u32_e32 v0, v2
	s_delay_alu instid0(VALU_DEP_1) | instskip(NEXT) | instid1(VALU_DEP_1)
	v_min_u32_e32 v0, 32, v0
	v_subrev_nc_u32_e32 v31, 28, v0
	v_sub_nc_u32_e32 v0, 29, v0
	s_delay_alu instid0(VALU_DEP_2) | instskip(NEXT) | instid1(VALU_DEP_1)
	v_lshlrev_b64_e32 v[36:37], v31, v[2:3]
	v_and_b32_e32 v36, 7, v36
; %bb.8228:                             ;   in Loop: Header=BB6_7947 Depth=3
	s_or_b32 exec_lo, exec_lo, s74
	s_delay_alu instid0(VALU_DEP_1) | instskip(SKIP_1) | instid1(VALU_DEP_2)
	v_dual_lshlrev_b32 v2, 16, v50 :: v_dual_lshlrev_b32 v31, 20, v36
	v_lshl_add_u32 v0, v0, 23, 0x3c000000
	v_and_b32_e32 v2, 0x80000000, v2
	s_delay_alu instid0(VALU_DEP_1)
	v_or3_b32 v31, v31, v2, v0
.LBB6_8229:                             ;   in Loop: Header=BB6_7947 Depth=3
	s_or_b32 exec_lo, exec_lo, s45
.LBB6_8230:                             ;   in Loop: Header=BB6_7947 Depth=3
	s_delay_alu instid0(SALU_CYCLE_1)
	s_or_b32 exec_lo, exec_lo, s44
.LBB6_8231:                             ;   in Loop: Header=BB6_7947 Depth=3
	s_delay_alu instid0(SALU_CYCLE_1) | instskip(SKIP_2) | instid1(VALU_DEP_1)
	s_or_b32 exec_lo, exec_lo, s13
	v_lshrrev_b16 v0, 8, v38
	s_mov_b32 s13, exec_lo
	v_cmpx_ne_u16_e32 0, v0
	s_cbranch_execz .LBB6_8239
; %bb.8232:                             ;   in Loop: Header=BB6_7947 Depth=3
	v_bfrev_b32_e32 v1, 1
	s_mov_b32 s44, exec_lo
	v_cmpx_ne_u16_e32 0x80, v0
	s_cbranch_execz .LBB6_8238
; %bb.8233:                             ;   in Loop: Header=BB6_7947 Depth=3
	v_and_b32_e32 v0, 0xffff, v0
	v_mov_b32_e32 v1, 0x7f800001
	s_mov_b32 s45, exec_lo
	s_delay_alu instid0(VALU_DEP_2) | instskip(NEXT) | instid1(VALU_DEP_1)
	v_and_b32_e32 v36, 0x7f, v0
	v_cmpx_ne_u32_e32 0x7f, v36
	s_cbranch_execz .LBB6_8237
; %bb.8234:                             ;   in Loop: Header=BB6_7947 Depth=3
	v_and_b32_e32 v2, 7, v0
	v_lshrrev_b32_e32 v0, 3, v36
	v_cmp_gt_u32_e32 vcc_lo, 8, v36
	s_delay_alu instid0(VALU_DEP_3)
	v_mov_b64_e32 v[36:37], v[2:3]
	s_and_saveexec_b32 s74, vcc_lo
; %bb.8235:                             ;   in Loop: Header=BB6_7947 Depth=3
	v_clz_i32_u32_e32 v0, v2
	s_delay_alu instid0(VALU_DEP_1) | instskip(NEXT) | instid1(VALU_DEP_1)
	v_min_u32_e32 v0, 32, v0
	v_subrev_nc_u32_e32 v1, 28, v0
	v_sub_nc_u32_e32 v0, 29, v0
	s_delay_alu instid0(VALU_DEP_2) | instskip(NEXT) | instid1(VALU_DEP_1)
	v_lshlrev_b64_e32 v[36:37], v1, v[2:3]
	v_and_b32_e32 v36, 7, v36
; %bb.8236:                             ;   in Loop: Header=BB6_7947 Depth=3
	s_or_b32 exec_lo, exec_lo, s74
	s_delay_alu instid0(VALU_DEP_1) | instskip(SKIP_1) | instid1(VALU_DEP_2)
	v_dual_lshlrev_b32 v1, 16, v38 :: v_dual_lshlrev_b32 v2, 20, v36
	v_lshl_add_u32 v0, v0, 23, 0x3c000000
	v_and_b32_e32 v1, 0x80000000, v1
	s_delay_alu instid0(VALU_DEP_1)
	v_or3_b32 v1, v2, v1, v0
.LBB6_8237:                             ;   in Loop: Header=BB6_7947 Depth=3
	s_or_b32 exec_lo, exec_lo, s45
.LBB6_8238:                             ;   in Loop: Header=BB6_7947 Depth=3
	s_delay_alu instid0(SALU_CYCLE_1)
	s_or_b32 exec_lo, exec_lo, s44
.LBB6_8239:                             ;   in Loop: Header=BB6_7947 Depth=3
	s_delay_alu instid0(SALU_CYCLE_1) | instskip(NEXT) | instid1(VALU_DEP_1)
	s_or_b32 exec_lo, exec_lo, s13
	v_add_f32_e32 v0, v31, v1
                                        ; implicit-def: $vgpr107
	s_mov_b32 s13, exec_lo
	s_delay_alu instid0(VALU_DEP_1) | instskip(SKIP_1) | instid1(VALU_DEP_2)
	v_and_b32_e32 v2, 0x7f800000, v0
	v_lshrrev_b32_e32 v1, 24, v0
	v_cmpx_ne_u64_e32 0x7f800000, v[2:3]
	s_xor_b32 s44, exec_lo, s13
	s_cbranch_execz .LBB6_8253
; %bb.8240:                             ;   in Loop: Header=BB6_7947 Depth=3
	v_and_b32_e32 v2, 0x7fffffff, v0
	v_and_b32_e32 v1, 0x80, v1
                                        ; implicit-def: $vgpr107
	s_mov_b32 s13, exec_lo
	s_delay_alu instid0(VALU_DEP_2)
	v_cmpx_gt_u64_e32 0x43e00001, v[2:3]
	s_xor_b32 s45, exec_lo, s13
	s_cbranch_execz .LBB6_8250
; %bb.8241:                             ;   in Loop: Header=BB6_7947 Depth=3
	v_mov_b32_e32 v107, 0
	s_mov_b32 s74, exec_lo
	v_cmpx_ne_u32_e32 0, v0
	s_cbranch_execz .LBB6_8249
; %bb.8242:                             ;   in Loop: Header=BB6_7947 Depth=3
	v_bfe_u32 v31, v0, 23, 8
	v_and_b32_e32 v2, 0x7fffff, v0
	s_delay_alu instid0(VALU_DEP_2) | instskip(SKIP_2) | instid1(VALU_DEP_4)
	v_cmp_gt_u32_e64 s13, 0x7a, v31
	v_sub_nc_u32_e32 v0, 0x79, v31
	v_cmp_eq_u32_e32 vcc_lo, 0, v31
	v_or_b32_e32 v36, 0x800000, v2
	s_delay_alu instid0(VALU_DEP_1) | instskip(NEXT) | instid1(VALU_DEP_1)
	v_dual_cndmask_b32 v0, 0, v0, s13 :: v_dual_cndmask_b32 v2, v36, v2, vcc_lo
	v_cndmask_b32_e64 v0, v0, 0x78, vcc_lo
	s_delay_alu instid0(VALU_DEP_1) | instskip(NEXT) | instid1(VALU_DEP_1)
	v_dual_add_nc_u32 v36, 20, v0 :: v_dual_add_nc_u32 v48, 19, v0
	v_lshlrev_b64_e64 v[36:37], v36, -1
	s_delay_alu instid0(VALU_DEP_2) | instskip(NEXT) | instid1(VALU_DEP_2)
	v_lshlrev_b64_e64 v[48:49], v48, 1
	v_bfi_b32 v37, v37, 0, 0
	s_delay_alu instid0(VALU_DEP_3) | instskip(NEXT) | instid1(VALU_DEP_1)
	v_bfi_b32 v36, v36, 0, v2
	v_cmp_eq_u64_e64 s13, v[36:37], v[48:49]
	v_lshrrev_b64 v[36:37], v0, v[2:3]
	s_delay_alu instid0(VALU_DEP_1)
	v_mov_b64_e32 v[48:49], v[36:37]
	s_and_saveexec_b32 s75, s13
; %bb.8243:                             ;   in Loop: Header=BB6_7947 Depth=3
	v_bfe_u32 v2, v36, 20, 1
	s_delay_alu instid0(VALU_DEP_1) | instskip(NEXT) | instid1(VALU_DEP_1)
	v_add_nc_u64_e32 v[48:49], v[36:37], v[2:3]
	v_add_nc_u64_e32 v[48:49], -1, v[48:49]
; %bb.8244:                             ;   in Loop: Header=BB6_7947 Depth=3
	s_or_b32 exec_lo, exec_lo, s75
	v_add_nc_u32_e32 v2, 0xffffff81, v31
	v_lshrrev_b32_e32 v31, 23, v36
	s_mov_b32 s13, exec_lo
	s_delay_alu instid0(VALU_DEP_2) | instskip(NEXT) | instid1(VALU_DEP_1)
	v_cndmask_b32_e64 v2, v2, 0xffffff82, vcc_lo
	v_add3_u32 v49, v0, v2, v31
	v_and_b32_e32 v0, 0xfffff, v48
	s_delay_alu instid0(VALU_DEP_1) | instskip(NEXT) | instid1(VALU_DEP_1)
	v_dual_add_nc_u32 v31, 6, v49 :: v_dual_add_nc_u32 v2, v0, v36
                                        ; implicit-def: $vgpr36_vgpr37
                                        ; implicit-def: $vgpr0
	v_cmpx_ne_u32_e32 0, v31
	s_xor_b32 s13, exec_lo, s13
; %bb.8245:                             ;   in Loop: Header=BB6_7947 Depth=3
	s_delay_alu instid0(VALU_DEP_2) | instskip(SKIP_1) | instid1(VALU_DEP_1)
	v_cmp_lt_u64_e32 vcc_lo, 0xffffff, v[2:3]
	v_add_nc_u32_e32 v0, 7, v49
	v_cndmask_b32_e32 v0, v31, v0, vcc_lo
	v_cndmask_b32_e64 v31, 0, 1, vcc_lo
	s_delay_alu instid0(VALU_DEP_1)
	v_lshrrev_b64 v[36:37], v31, v[2:3]
; %bb.8246:                             ;   in Loop: Header=BB6_7947 Depth=3
	s_and_not1_saveexec_b32 s13, s13
; %bb.8247:                             ;   in Loop: Header=BB6_7947 Depth=3
	v_mov_b64_e32 v[36:37], v[2:3]
	v_bfe_u32 v0, v2, 23, 1
; %bb.8248:                             ;   in Loop: Header=BB6_7947 Depth=3
	s_or_b32 exec_lo, exec_lo, s13
	s_delay_alu instid0(VALU_DEP_2) | instskip(NEXT) | instid1(VALU_DEP_2)
	v_lshrrev_b64 v[36:37], 20, v[36:37]
	v_cmp_gt_i32_e32 vcc_lo, 16, v0
	v_min_i32_e32 v2, 15, v0
	v_cmp_eq_u32_e64 s13, 0, v0
	s_delay_alu instid0(VALU_DEP_2) | instskip(SKIP_1) | instid1(VALU_DEP_2)
	v_dual_cndmask_b32 v37, 0, v37 :: v_dual_lshlrev_b32 v2, 3, v2
	v_cndmask_b32_e32 v36, 7, v36, vcc_lo
	v_and_b32_e32 v2, 0xf8, v2
	s_delay_alu instid0(VALU_DEP_2) | instskip(NEXT) | instid1(VALU_DEP_2)
	v_cmp_eq_u64_e32 vcc_lo, 0, v[36:37]
	v_and_or_b32 v0, v36, 7, v2
	s_and_b32 s13, s13, vcc_lo
	s_delay_alu instid0(VALU_DEP_1) | instid1(SALU_CYCLE_1)
	v_cndmask_b32_e64 v0, v0, 0, s13
	s_delay_alu instid0(VALU_DEP_1)
	v_or_b32_e32 v107, v0, v1
.LBB6_8249:                             ;   in Loop: Header=BB6_7947 Depth=3
	s_or_b32 exec_lo, exec_lo, s74
                                        ; implicit-def: $vgpr1
.LBB6_8250:                             ;   in Loop: Header=BB6_7947 Depth=3
	s_and_not1_saveexec_b32 s13, s45
; %bb.8251:                             ;   in Loop: Header=BB6_7947 Depth=3
	v_or_b32_e32 v107, 0x7e, v1
; %bb.8252:                             ;   in Loop: Header=BB6_7947 Depth=3
	s_or_b32 exec_lo, exec_lo, s13
                                        ; implicit-def: $vgpr1
.LBB6_8253:                             ;   in Loop: Header=BB6_7947 Depth=3
	s_and_not1_saveexec_b32 s13, s44
; %bb.8254:                             ;   in Loop: Header=BB6_7947 Depth=3
	v_or_b32_e32 v107, 0x7f, v1
; %bb.8255:                             ;   in Loop: Header=BB6_7947 Depth=3
	s_or_b32 exec_lo, exec_lo, s13
	v_dual_mov_b32 v1, 0 :: v_dual_lshrrev_b32 v0, 16, v50
	v_mov_b32_e32 v31, 0
	s_mov_b32 s13, exec_lo
	s_delay_alu instid0(VALU_DEP_2) | instskip(NEXT) | instid1(VALU_DEP_1)
	v_and_b32_e32 v2, 0xff, v0
	v_cmpx_ne_u16_e32 0, v2
	s_cbranch_execz .LBB6_8263
; %bb.8256:                             ;   in Loop: Header=BB6_7947 Depth=3
	v_bfrev_b32_e32 v31, 1
	s_mov_b32 s44, exec_lo
	v_cmpx_ne_u16_e32 0x80, v2
	s_cbranch_execz .LBB6_8262
; %bb.8257:                             ;   in Loop: Header=BB6_7947 Depth=3
	v_bfe_u32 v36, v50, 16, 7
	v_mov_b32_e32 v31, 0x7f800001
	s_mov_b32 s45, exec_lo
	s_delay_alu instid0(VALU_DEP_2)
	v_cmpx_ne_u32_e32 0x7f, v36
	s_cbranch_execz .LBB6_8261
; %bb.8258:                             ;   in Loop: Header=BB6_7947 Depth=3
	v_and_b32_e32 v2, 7, v0
	v_lshrrev_b32_e32 v31, 3, v36
	v_cmp_gt_u32_e32 vcc_lo, 8, v36
	s_delay_alu instid0(VALU_DEP_3)
	v_mov_b64_e32 v[36:37], v[2:3]
	s_and_saveexec_b32 s74, vcc_lo
; %bb.8259:                             ;   in Loop: Header=BB6_7947 Depth=3
	v_clz_i32_u32_e32 v31, v2
	s_delay_alu instid0(VALU_DEP_1) | instskip(NEXT) | instid1(VALU_DEP_1)
	v_min_u32_e32 v31, 32, v31
	v_subrev_nc_u32_e32 v36, 28, v31
	s_delay_alu instid0(VALU_DEP_1) | instskip(NEXT) | instid1(VALU_DEP_1)
	v_lshlrev_b64_e32 v[36:37], v36, v[2:3]
	v_dual_sub_nc_u32 v31, 29, v31 :: v_dual_bitop2_b32 v36, 7, v36 bitop3:0x40
; %bb.8260:                             ;   in Loop: Header=BB6_7947 Depth=3
	s_or_b32 exec_lo, exec_lo, s74
	v_lshlrev_b32_e32 v0, 24, v0
	s_delay_alu instid0(VALU_DEP_2) | instskip(NEXT) | instid1(VALU_DEP_3)
	v_lshlrev_b32_e32 v2, 20, v36
	v_lshl_add_u32 v31, v31, 23, 0x3c000000
	s_delay_alu instid0(VALU_DEP_3) | instskip(NEXT) | instid1(VALU_DEP_1)
	v_and_b32_e32 v0, 0x80000000, v0
	v_or3_b32 v31, v2, v0, v31
.LBB6_8261:                             ;   in Loop: Header=BB6_7947 Depth=3
	s_or_b32 exec_lo, exec_lo, s45
.LBB6_8262:                             ;   in Loop: Header=BB6_7947 Depth=3
	s_delay_alu instid0(SALU_CYCLE_1)
	s_or_b32 exec_lo, exec_lo, s44
.LBB6_8263:                             ;   in Loop: Header=BB6_7947 Depth=3
	s_delay_alu instid0(SALU_CYCLE_1) | instskip(SKIP_2) | instid1(VALU_DEP_1)
	s_or_b32 exec_lo, exec_lo, s13
	v_lshrrev_b32_e32 v0, 16, v38
	s_mov_b32 s13, exec_lo
	v_and_b32_e32 v2, 0xff, v0
	s_delay_alu instid0(VALU_DEP_1)
	v_cmpx_ne_u16_e32 0, v2
	s_cbranch_execz .LBB6_8271
; %bb.8264:                             ;   in Loop: Header=BB6_7947 Depth=3
	v_bfrev_b32_e32 v1, 1
	s_mov_b32 s44, exec_lo
	v_cmpx_ne_u16_e32 0x80, v2
	s_cbranch_execz .LBB6_8270
; %bb.8265:                             ;   in Loop: Header=BB6_7947 Depth=3
	v_bfe_u32 v36, v38, 16, 7
	v_mov_b32_e32 v1, 0x7f800001
	s_mov_b32 s45, exec_lo
	s_delay_alu instid0(VALU_DEP_2)
	v_cmpx_ne_u32_e32 0x7f, v36
	s_cbranch_execz .LBB6_8269
; %bb.8266:                             ;   in Loop: Header=BB6_7947 Depth=3
	v_and_b32_e32 v2, 7, v0
	v_lshrrev_b32_e32 v0, 3, v36
	v_cmp_gt_u32_e32 vcc_lo, 8, v36
	s_delay_alu instid0(VALU_DEP_3)
	v_mov_b64_e32 v[36:37], v[2:3]
	s_and_saveexec_b32 s74, vcc_lo
; %bb.8267:                             ;   in Loop: Header=BB6_7947 Depth=3
	v_clz_i32_u32_e32 v0, v2
	s_delay_alu instid0(VALU_DEP_1) | instskip(NEXT) | instid1(VALU_DEP_1)
	v_min_u32_e32 v0, 32, v0
	v_subrev_nc_u32_e32 v1, 28, v0
	v_sub_nc_u32_e32 v0, 29, v0
	s_delay_alu instid0(VALU_DEP_2) | instskip(NEXT) | instid1(VALU_DEP_1)
	v_lshlrev_b64_e32 v[36:37], v1, v[2:3]
	v_and_b32_e32 v36, 7, v36
; %bb.8268:                             ;   in Loop: Header=BB6_7947 Depth=3
	s_or_b32 exec_lo, exec_lo, s74
	s_delay_alu instid0(VALU_DEP_1) | instskip(SKIP_1) | instid1(VALU_DEP_2)
	v_dual_lshlrev_b32 v1, 8, v38 :: v_dual_lshlrev_b32 v2, 20, v36
	v_lshl_add_u32 v0, v0, 23, 0x3c000000
	v_and_b32_e32 v1, 0x80000000, v1
	s_delay_alu instid0(VALU_DEP_1)
	v_or3_b32 v1, v2, v1, v0
.LBB6_8269:                             ;   in Loop: Header=BB6_7947 Depth=3
	s_or_b32 exec_lo, exec_lo, s45
.LBB6_8270:                             ;   in Loop: Header=BB6_7947 Depth=3
	s_delay_alu instid0(SALU_CYCLE_1)
	s_or_b32 exec_lo, exec_lo, s44
.LBB6_8271:                             ;   in Loop: Header=BB6_7947 Depth=3
	s_delay_alu instid0(SALU_CYCLE_1) | instskip(NEXT) | instid1(VALU_DEP_1)
	s_or_b32 exec_lo, exec_lo, s13
	v_add_f32_e32 v0, v31, v1
                                        ; implicit-def: $vgpr108
	s_mov_b32 s13, exec_lo
	s_delay_alu instid0(VALU_DEP_1) | instskip(SKIP_1) | instid1(VALU_DEP_2)
	v_and_b32_e32 v2, 0x7f800000, v0
	v_lshrrev_b32_e32 v1, 24, v0
	v_cmpx_ne_u64_e32 0x7f800000, v[2:3]
	s_xor_b32 s44, exec_lo, s13
	s_cbranch_execz .LBB6_8285
; %bb.8272:                             ;   in Loop: Header=BB6_7947 Depth=3
	v_and_b32_e32 v2, 0x7fffffff, v0
	v_and_b32_e32 v1, 0x80, v1
                                        ; implicit-def: $vgpr108
	s_mov_b32 s13, exec_lo
	s_delay_alu instid0(VALU_DEP_2)
	v_cmpx_gt_u64_e32 0x43e00001, v[2:3]
	s_xor_b32 s45, exec_lo, s13
	s_cbranch_execz .LBB6_8282
; %bb.8273:                             ;   in Loop: Header=BB6_7947 Depth=3
	v_mov_b32_e32 v108, 0
	s_mov_b32 s74, exec_lo
	v_cmpx_ne_u32_e32 0, v0
	s_cbranch_execz .LBB6_8281
; %bb.8274:                             ;   in Loop: Header=BB6_7947 Depth=3
	v_bfe_u32 v31, v0, 23, 8
	v_and_b32_e32 v2, 0x7fffff, v0
	s_delay_alu instid0(VALU_DEP_2) | instskip(SKIP_2) | instid1(VALU_DEP_4)
	v_cmp_gt_u32_e64 s13, 0x7a, v31
	v_sub_nc_u32_e32 v0, 0x79, v31
	v_cmp_eq_u32_e32 vcc_lo, 0, v31
	v_or_b32_e32 v36, 0x800000, v2
	s_delay_alu instid0(VALU_DEP_1) | instskip(NEXT) | instid1(VALU_DEP_1)
	v_dual_cndmask_b32 v0, 0, v0, s13 :: v_dual_cndmask_b32 v2, v36, v2, vcc_lo
	v_cndmask_b32_e64 v0, v0, 0x78, vcc_lo
	s_delay_alu instid0(VALU_DEP_1) | instskip(NEXT) | instid1(VALU_DEP_1)
	v_dual_add_nc_u32 v36, 20, v0 :: v_dual_add_nc_u32 v48, 19, v0
	v_lshlrev_b64_e64 v[36:37], v36, -1
	s_delay_alu instid0(VALU_DEP_2) | instskip(NEXT) | instid1(VALU_DEP_2)
	v_lshlrev_b64_e64 v[48:49], v48, 1
	v_bfi_b32 v37, v37, 0, 0
	s_delay_alu instid0(VALU_DEP_3) | instskip(NEXT) | instid1(VALU_DEP_1)
	v_bfi_b32 v36, v36, 0, v2
	v_cmp_eq_u64_e64 s13, v[36:37], v[48:49]
	v_lshrrev_b64 v[36:37], v0, v[2:3]
	s_delay_alu instid0(VALU_DEP_1)
	v_mov_b64_e32 v[48:49], v[36:37]
	s_and_saveexec_b32 s75, s13
; %bb.8275:                             ;   in Loop: Header=BB6_7947 Depth=3
	v_bfe_u32 v2, v36, 20, 1
	s_delay_alu instid0(VALU_DEP_1) | instskip(NEXT) | instid1(VALU_DEP_1)
	v_add_nc_u64_e32 v[48:49], v[36:37], v[2:3]
	v_add_nc_u64_e32 v[48:49], -1, v[48:49]
; %bb.8276:                             ;   in Loop: Header=BB6_7947 Depth=3
	s_or_b32 exec_lo, exec_lo, s75
	v_add_nc_u32_e32 v2, 0xffffff81, v31
	v_lshrrev_b32_e32 v31, 23, v36
	s_mov_b32 s13, exec_lo
	s_delay_alu instid0(VALU_DEP_2) | instskip(NEXT) | instid1(VALU_DEP_1)
	v_cndmask_b32_e64 v2, v2, 0xffffff82, vcc_lo
	v_add3_u32 v49, v0, v2, v31
	v_and_b32_e32 v0, 0xfffff, v48
	s_delay_alu instid0(VALU_DEP_1) | instskip(NEXT) | instid1(VALU_DEP_1)
	v_dual_add_nc_u32 v31, 6, v49 :: v_dual_add_nc_u32 v2, v0, v36
                                        ; implicit-def: $vgpr36_vgpr37
                                        ; implicit-def: $vgpr0
	v_cmpx_ne_u32_e32 0, v31
	s_xor_b32 s13, exec_lo, s13
; %bb.8277:                             ;   in Loop: Header=BB6_7947 Depth=3
	s_delay_alu instid0(VALU_DEP_2) | instskip(SKIP_1) | instid1(VALU_DEP_1)
	v_cmp_lt_u64_e32 vcc_lo, 0xffffff, v[2:3]
	v_add_nc_u32_e32 v0, 7, v49
	v_cndmask_b32_e32 v0, v31, v0, vcc_lo
	v_cndmask_b32_e64 v31, 0, 1, vcc_lo
	s_delay_alu instid0(VALU_DEP_1)
	v_lshrrev_b64 v[36:37], v31, v[2:3]
; %bb.8278:                             ;   in Loop: Header=BB6_7947 Depth=3
	s_and_not1_saveexec_b32 s13, s13
; %bb.8279:                             ;   in Loop: Header=BB6_7947 Depth=3
	v_mov_b64_e32 v[36:37], v[2:3]
	v_bfe_u32 v0, v2, 23, 1
; %bb.8280:                             ;   in Loop: Header=BB6_7947 Depth=3
	s_or_b32 exec_lo, exec_lo, s13
	s_delay_alu instid0(VALU_DEP_2) | instskip(NEXT) | instid1(VALU_DEP_2)
	v_lshrrev_b64 v[36:37], 20, v[36:37]
	v_cmp_gt_i32_e32 vcc_lo, 16, v0
	v_min_i32_e32 v2, 15, v0
	v_cmp_eq_u32_e64 s13, 0, v0
	s_delay_alu instid0(VALU_DEP_2) | instskip(SKIP_1) | instid1(VALU_DEP_2)
	v_dual_cndmask_b32 v37, 0, v37 :: v_dual_lshlrev_b32 v2, 3, v2
	v_cndmask_b32_e32 v36, 7, v36, vcc_lo
	v_and_b32_e32 v2, 0xf8, v2
	s_delay_alu instid0(VALU_DEP_2) | instskip(NEXT) | instid1(VALU_DEP_2)
	v_cmp_eq_u64_e32 vcc_lo, 0, v[36:37]
	v_and_or_b32 v0, v36, 7, v2
	s_and_b32 s13, s13, vcc_lo
	s_delay_alu instid0(VALU_DEP_1) | instid1(SALU_CYCLE_1)
	v_cndmask_b32_e64 v0, v0, 0, s13
	s_delay_alu instid0(VALU_DEP_1)
	v_or_b32_e32 v108, v0, v1
.LBB6_8281:                             ;   in Loop: Header=BB6_7947 Depth=3
	s_or_b32 exec_lo, exec_lo, s74
                                        ; implicit-def: $vgpr1
.LBB6_8282:                             ;   in Loop: Header=BB6_7947 Depth=3
	s_and_not1_saveexec_b32 s13, s45
; %bb.8283:                             ;   in Loop: Header=BB6_7947 Depth=3
	v_or_b32_e32 v108, 0x7e, v1
; %bb.8284:                             ;   in Loop: Header=BB6_7947 Depth=3
	s_or_b32 exec_lo, exec_lo, s13
                                        ; implicit-def: $vgpr1
.LBB6_8285:                             ;   in Loop: Header=BB6_7947 Depth=3
	s_and_not1_saveexec_b32 s13, s44
; %bb.8286:                             ;   in Loop: Header=BB6_7947 Depth=3
	v_or_b32_e32 v108, 0x7f, v1
; %bb.8287:                             ;   in Loop: Header=BB6_7947 Depth=3
	s_or_b32 exec_lo, exec_lo, s13
	v_dual_mov_b32 v1, 0 :: v_dual_mov_b32 v31, 0
	s_mov_b32 s13, exec_lo
	v_cmpx_lt_u32_e32 0xffffff, v50
	s_cbranch_execz .LBB6_8295
; %bb.8288:                             ;   in Loop: Header=BB6_7947 Depth=3
	v_lshrrev_b32_e32 v0, 24, v50
	v_bfrev_b32_e32 v31, 1
	s_mov_b32 s44, exec_lo
	s_delay_alu instid0(VALU_DEP_2)
	v_cmpx_ne_u32_e32 0x80, v0
	s_cbranch_execz .LBB6_8294
; %bb.8289:                             ;   in Loop: Header=BB6_7947 Depth=3
	v_bfe_u32 v36, v50, 24, 7
	v_mov_b32_e32 v31, 0x7f800001
	s_mov_b32 s45, exec_lo
	s_delay_alu instid0(VALU_DEP_2)
	v_cmpx_ne_u32_e32 0x7f, v36
	s_cbranch_execz .LBB6_8293
; %bb.8290:                             ;   in Loop: Header=BB6_7947 Depth=3
	v_and_b32_e32 v2, 7, v0
	v_lshrrev_b32_e32 v31, 3, v36
	v_cmp_gt_u32_e32 vcc_lo, 8, v36
	s_delay_alu instid0(VALU_DEP_3)
	v_mov_b64_e32 v[36:37], v[2:3]
	s_and_saveexec_b32 s74, vcc_lo
; %bb.8291:                             ;   in Loop: Header=BB6_7947 Depth=3
	v_clz_i32_u32_e32 v31, v2
	s_delay_alu instid0(VALU_DEP_1) | instskip(NEXT) | instid1(VALU_DEP_1)
	v_min_u32_e32 v31, 32, v31
	v_subrev_nc_u32_e32 v36, 28, v31
	s_delay_alu instid0(VALU_DEP_1) | instskip(NEXT) | instid1(VALU_DEP_1)
	v_lshlrev_b64_e32 v[36:37], v36, v[2:3]
	v_dual_sub_nc_u32 v31, 29, v31 :: v_dual_bitop2_b32 v36, 7, v36 bitop3:0x40
; %bb.8292:                             ;   in Loop: Header=BB6_7947 Depth=3
	s_or_b32 exec_lo, exec_lo, s74
	v_lshlrev_b32_e32 v0, 24, v0
	s_delay_alu instid0(VALU_DEP_2) | instskip(NEXT) | instid1(VALU_DEP_3)
	v_lshlrev_b32_e32 v2, 20, v36
	v_lshl_add_u32 v31, v31, 23, 0x3c000000
	s_delay_alu instid0(VALU_DEP_3) | instskip(NEXT) | instid1(VALU_DEP_1)
	v_and_b32_e32 v0, 0x80000000, v0
	v_or3_b32 v31, v2, v0, v31
.LBB6_8293:                             ;   in Loop: Header=BB6_7947 Depth=3
	s_or_b32 exec_lo, exec_lo, s45
.LBB6_8294:                             ;   in Loop: Header=BB6_7947 Depth=3
	s_delay_alu instid0(SALU_CYCLE_1)
	s_or_b32 exec_lo, exec_lo, s44
.LBB6_8295:                             ;   in Loop: Header=BB6_7947 Depth=3
	s_delay_alu instid0(SALU_CYCLE_1) | instskip(NEXT) | instid1(SALU_CYCLE_1)
	s_or_b32 exec_lo, exec_lo, s13
	s_mov_b32 s13, exec_lo
	v_cmpx_lt_u32_e32 0xffffff, v38
	s_cbranch_execz .LBB6_8303
; %bb.8296:                             ;   in Loop: Header=BB6_7947 Depth=3
	v_lshrrev_b32_e32 v0, 24, v38
	v_bfrev_b32_e32 v1, 1
	s_mov_b32 s44, exec_lo
	s_delay_alu instid0(VALU_DEP_2)
	v_cmpx_ne_u32_e32 0x80, v0
	s_cbranch_execz .LBB6_8302
; %bb.8297:                             ;   in Loop: Header=BB6_7947 Depth=3
	v_bfe_u32 v36, v38, 24, 7
	v_mov_b32_e32 v1, 0x7f800001
	s_mov_b32 s45, exec_lo
	s_delay_alu instid0(VALU_DEP_2)
	v_cmpx_ne_u32_e32 0x7f, v36
	s_cbranch_execz .LBB6_8301
; %bb.8298:                             ;   in Loop: Header=BB6_7947 Depth=3
	v_and_b32_e32 v2, 7, v0
	v_lshrrev_b32_e32 v1, 3, v36
	v_cmp_gt_u32_e32 vcc_lo, 8, v36
	s_delay_alu instid0(VALU_DEP_3)
	v_mov_b64_e32 v[36:37], v[2:3]
	s_and_saveexec_b32 s74, vcc_lo
; %bb.8299:                             ;   in Loop: Header=BB6_7947 Depth=3
	v_clz_i32_u32_e32 v1, v2
	s_delay_alu instid0(VALU_DEP_1) | instskip(NEXT) | instid1(VALU_DEP_1)
	v_min_u32_e32 v1, 32, v1
	v_subrev_nc_u32_e32 v36, 28, v1
	s_delay_alu instid0(VALU_DEP_1) | instskip(NEXT) | instid1(VALU_DEP_1)
	v_lshlrev_b64_e32 v[36:37], v36, v[2:3]
	v_dual_sub_nc_u32 v1, 29, v1 :: v_dual_bitop2_b32 v36, 7, v36 bitop3:0x40
; %bb.8300:                             ;   in Loop: Header=BB6_7947 Depth=3
	s_or_b32 exec_lo, exec_lo, s74
	v_lshlrev_b32_e32 v0, 24, v0
	s_delay_alu instid0(VALU_DEP_2) | instskip(NEXT) | instid1(VALU_DEP_3)
	v_lshlrev_b32_e32 v2, 20, v36
	v_lshl_add_u32 v1, v1, 23, 0x3c000000
	s_delay_alu instid0(VALU_DEP_3) | instskip(NEXT) | instid1(VALU_DEP_1)
	v_and_b32_e32 v0, 0x80000000, v0
	v_or3_b32 v1, v2, v0, v1
.LBB6_8301:                             ;   in Loop: Header=BB6_7947 Depth=3
	s_or_b32 exec_lo, exec_lo, s45
.LBB6_8302:                             ;   in Loop: Header=BB6_7947 Depth=3
	s_delay_alu instid0(SALU_CYCLE_1)
	s_or_b32 exec_lo, exec_lo, s44
.LBB6_8303:                             ;   in Loop: Header=BB6_7947 Depth=3
	s_delay_alu instid0(SALU_CYCLE_1) | instskip(NEXT) | instid1(VALU_DEP_1)
	s_or_b32 exec_lo, exec_lo, s13
	v_add_f32_e32 v0, v31, v1
                                        ; implicit-def: $vgpr109
	s_mov_b32 s13, exec_lo
	s_delay_alu instid0(VALU_DEP_1) | instskip(SKIP_1) | instid1(VALU_DEP_2)
	v_and_b32_e32 v2, 0x7f800000, v0
	v_lshrrev_b32_e32 v1, 24, v0
	v_cmpx_ne_u64_e32 0x7f800000, v[2:3]
	s_xor_b32 s44, exec_lo, s13
	s_cbranch_execz .LBB6_8317
; %bb.8304:                             ;   in Loop: Header=BB6_7947 Depth=3
	v_and_b32_e32 v2, 0x7fffffff, v0
	v_and_b32_e32 v1, 0x80, v1
                                        ; implicit-def: $vgpr109
	s_mov_b32 s13, exec_lo
	s_delay_alu instid0(VALU_DEP_2)
	v_cmpx_gt_u64_e32 0x43e00001, v[2:3]
	s_xor_b32 s45, exec_lo, s13
	s_cbranch_execz .LBB6_8314
; %bb.8305:                             ;   in Loop: Header=BB6_7947 Depth=3
	v_mov_b32_e32 v109, 0
	s_mov_b32 s74, exec_lo
	v_cmpx_ne_u32_e32 0, v0
	s_cbranch_execz .LBB6_8313
; %bb.8306:                             ;   in Loop: Header=BB6_7947 Depth=3
	v_bfe_u32 v31, v0, 23, 8
	v_and_b32_e32 v2, 0x7fffff, v0
	s_delay_alu instid0(VALU_DEP_2) | instskip(SKIP_2) | instid1(VALU_DEP_4)
	v_cmp_gt_u32_e64 s13, 0x7a, v31
	v_sub_nc_u32_e32 v0, 0x79, v31
	v_cmp_eq_u32_e32 vcc_lo, 0, v31
	v_or_b32_e32 v36, 0x800000, v2
	s_delay_alu instid0(VALU_DEP_1) | instskip(NEXT) | instid1(VALU_DEP_1)
	v_dual_cndmask_b32 v0, 0, v0, s13 :: v_dual_cndmask_b32 v2, v36, v2, vcc_lo
	v_cndmask_b32_e64 v0, v0, 0x78, vcc_lo
	s_delay_alu instid0(VALU_DEP_1) | instskip(NEXT) | instid1(VALU_DEP_1)
	v_dual_add_nc_u32 v36, 20, v0 :: v_dual_add_nc_u32 v48, 19, v0
	v_lshlrev_b64_e64 v[36:37], v36, -1
	s_delay_alu instid0(VALU_DEP_2) | instskip(NEXT) | instid1(VALU_DEP_2)
	v_lshlrev_b64_e64 v[48:49], v48, 1
	v_bfi_b32 v37, v37, 0, 0
	s_delay_alu instid0(VALU_DEP_3) | instskip(NEXT) | instid1(VALU_DEP_1)
	v_bfi_b32 v36, v36, 0, v2
	v_cmp_eq_u64_e64 s13, v[36:37], v[48:49]
	v_lshrrev_b64 v[36:37], v0, v[2:3]
	s_delay_alu instid0(VALU_DEP_1)
	v_mov_b64_e32 v[48:49], v[36:37]
	s_and_saveexec_b32 s75, s13
; %bb.8307:                             ;   in Loop: Header=BB6_7947 Depth=3
	v_bfe_u32 v2, v36, 20, 1
	s_delay_alu instid0(VALU_DEP_1) | instskip(NEXT) | instid1(VALU_DEP_1)
	v_add_nc_u64_e32 v[48:49], v[36:37], v[2:3]
	v_add_nc_u64_e32 v[48:49], -1, v[48:49]
; %bb.8308:                             ;   in Loop: Header=BB6_7947 Depth=3
	s_or_b32 exec_lo, exec_lo, s75
	v_add_nc_u32_e32 v2, 0xffffff81, v31
	v_lshrrev_b32_e32 v31, 23, v36
	s_mov_b32 s13, exec_lo
	s_delay_alu instid0(VALU_DEP_2) | instskip(NEXT) | instid1(VALU_DEP_1)
	v_cndmask_b32_e64 v2, v2, 0xffffff82, vcc_lo
	v_add3_u32 v49, v0, v2, v31
	v_and_b32_e32 v0, 0xfffff, v48
	s_delay_alu instid0(VALU_DEP_1) | instskip(NEXT) | instid1(VALU_DEP_1)
	v_dual_add_nc_u32 v31, 6, v49 :: v_dual_add_nc_u32 v2, v0, v36
                                        ; implicit-def: $vgpr36_vgpr37
                                        ; implicit-def: $vgpr0
	v_cmpx_ne_u32_e32 0, v31
	s_xor_b32 s13, exec_lo, s13
; %bb.8309:                             ;   in Loop: Header=BB6_7947 Depth=3
	s_delay_alu instid0(VALU_DEP_2) | instskip(SKIP_1) | instid1(VALU_DEP_1)
	v_cmp_lt_u64_e32 vcc_lo, 0xffffff, v[2:3]
	v_add_nc_u32_e32 v0, 7, v49
	v_cndmask_b32_e32 v0, v31, v0, vcc_lo
	v_cndmask_b32_e64 v31, 0, 1, vcc_lo
	s_delay_alu instid0(VALU_DEP_1)
	v_lshrrev_b64 v[36:37], v31, v[2:3]
; %bb.8310:                             ;   in Loop: Header=BB6_7947 Depth=3
	s_and_not1_saveexec_b32 s13, s13
; %bb.8311:                             ;   in Loop: Header=BB6_7947 Depth=3
	v_mov_b64_e32 v[36:37], v[2:3]
	v_bfe_u32 v0, v2, 23, 1
; %bb.8312:                             ;   in Loop: Header=BB6_7947 Depth=3
	s_or_b32 exec_lo, exec_lo, s13
	s_delay_alu instid0(VALU_DEP_2) | instskip(NEXT) | instid1(VALU_DEP_2)
	v_lshrrev_b64 v[36:37], 20, v[36:37]
	v_cmp_gt_i32_e32 vcc_lo, 16, v0
	v_min_i32_e32 v2, 15, v0
	v_cmp_eq_u32_e64 s13, 0, v0
	s_delay_alu instid0(VALU_DEP_2) | instskip(SKIP_1) | instid1(VALU_DEP_2)
	v_dual_cndmask_b32 v37, 0, v37 :: v_dual_lshlrev_b32 v2, 3, v2
	v_cndmask_b32_e32 v36, 7, v36, vcc_lo
	v_and_b32_e32 v2, 0xf8, v2
	s_delay_alu instid0(VALU_DEP_2) | instskip(NEXT) | instid1(VALU_DEP_2)
	v_cmp_eq_u64_e32 vcc_lo, 0, v[36:37]
	v_and_or_b32 v0, v36, 7, v2
	s_and_b32 s13, s13, vcc_lo
	s_delay_alu instid0(VALU_DEP_1) | instid1(SALU_CYCLE_1)
	v_cndmask_b32_e64 v0, v0, 0, s13
	s_delay_alu instid0(VALU_DEP_1)
	v_or_b32_e32 v109, v0, v1
.LBB6_8313:                             ;   in Loop: Header=BB6_7947 Depth=3
	s_or_b32 exec_lo, exec_lo, s74
                                        ; implicit-def: $vgpr1
.LBB6_8314:                             ;   in Loop: Header=BB6_7947 Depth=3
	s_and_not1_saveexec_b32 s13, s45
; %bb.8315:                             ;   in Loop: Header=BB6_7947 Depth=3
	v_or_b32_e32 v109, 0x7e, v1
; %bb.8316:                             ;   in Loop: Header=BB6_7947 Depth=3
	s_or_b32 exec_lo, exec_lo, s13
                                        ; implicit-def: $vgpr1
.LBB6_8317:                             ;   in Loop: Header=BB6_7947 Depth=3
	s_and_not1_saveexec_b32 s13, s44
; %bb.8318:                             ;   in Loop: Header=BB6_7947 Depth=3
	v_or_b32_e32 v109, 0x7f, v1
; %bb.8319:                             ;   in Loop: Header=BB6_7947 Depth=3
	s_or_b32 exec_lo, exec_lo, s13
	v_and_b32_e32 v0, 0xff, v51
	v_dual_mov_b32 v2, v51 :: v_dual_mov_b32 v1, 0
	v_mov_b32_e32 v31, 0
	s_mov_b32 s13, exec_lo
	s_delay_alu instid0(VALU_DEP_3)
	v_cmpx_ne_u16_e32 0, v0
	s_cbranch_execz .LBB6_8325
; %bb.8320:                             ;   in Loop: Header=BB6_7947 Depth=3
	v_bfrev_b32_e32 v31, 1
	s_mov_b32 s44, exec_lo
	v_cmpx_ne_u16_e32 0x80, v0
	s_cbranch_execz .LBB6_8324
; %bb.8321:                             ;   in Loop: Header=BB6_7947 Depth=3
	v_and_b32_e32 v0, 0x7f, v51
	v_mov_b32_e32 v31, 0x7f800001
	s_mov_b32 s45, exec_lo
	s_delay_alu instid0(VALU_DEP_2)
	v_cmpx_ne_u32_e32 0x7f, v0
	s_cbranch_execz .LBB6_8323
; %bb.8322:                             ;   in Loop: Header=BB6_7947 Depth=3
	v_dual_lshrrev_b32 v36, 3, v0 :: v_dual_bitop2_b32 v31, 7, v51 bitop3:0x40
	v_cmp_gt_u32_e32 vcc_lo, 8, v0
	s_delay_alu instid0(VALU_DEP_2) | instskip(NEXT) | instid1(VALU_DEP_1)
	v_clz_i32_u32_e32 v0, v31
	v_min_u32_e32 v0, 32, v0
	s_delay_alu instid0(VALU_DEP_1) | instskip(NEXT) | instid1(VALU_DEP_1)
	v_subrev_nc_u32_e32 v31, 28, v0
	v_dual_cndmask_b32 v31, 0, v31 :: v_dual_sub_nc_u32 v0, 29, v0
	s_delay_alu instid0(VALU_DEP_1) | instskip(NEXT) | instid1(VALU_DEP_2)
	v_cndmask_b32_e32 v0, v36, v0, vcc_lo
	v_lshlrev_b64_e32 v[36:37], v31, v[2:3]
	s_delay_alu instid0(VALU_DEP_1) | instskip(NEXT) | instid1(VALU_DEP_3)
	v_dual_lshlrev_b32 v31, 20, v36 :: v_dual_lshlrev_b32 v36, 24, v2
	v_lshl_add_u32 v0, v0, 23, 0x3c000000
	s_delay_alu instid0(VALU_DEP_2) | instskip(NEXT) | instid1(VALU_DEP_3)
	v_and_b32_e32 v31, 0x700000, v31
	v_and_b32_e32 v36, 0x80000000, v36
	s_delay_alu instid0(VALU_DEP_1)
	v_or3_b32 v31, v31, v36, v0
.LBB6_8323:                             ;   in Loop: Header=BB6_7947 Depth=3
	s_or_b32 exec_lo, exec_lo, s45
.LBB6_8324:                             ;   in Loop: Header=BB6_7947 Depth=3
	s_delay_alu instid0(SALU_CYCLE_1)
	s_or_b32 exec_lo, exec_lo, s44
.LBB6_8325:                             ;   in Loop: Header=BB6_7947 Depth=3
	s_delay_alu instid0(SALU_CYCLE_1) | instskip(SKIP_2) | instid1(VALU_DEP_1)
	s_or_b32 exec_lo, exec_lo, s13
	v_and_b32_e32 v0, 0xff, v39
	s_mov_b32 s13, exec_lo
	v_cmpx_ne_u16_e32 0, v0
	s_cbranch_execz .LBB6_8331
; %bb.8326:                             ;   in Loop: Header=BB6_7947 Depth=3
	v_bfrev_b32_e32 v1, 1
	s_mov_b32 s44, exec_lo
	v_cmpx_ne_u16_e32 0x80, v0
	s_cbranch_execz .LBB6_8330
; %bb.8327:                             ;   in Loop: Header=BB6_7947 Depth=3
	v_and_b32_e32 v0, 0x7f, v39
	v_mov_b32_e32 v1, 0x7f800001
	s_mov_b32 s45, exec_lo
	s_delay_alu instid0(VALU_DEP_2)
	v_cmpx_ne_u32_e32 0x7f, v0
	s_cbranch_execz .LBB6_8329
; %bb.8328:                             ;   in Loop: Header=BB6_7947 Depth=3
	v_dual_lshrrev_b32 v36, 3, v0 :: v_dual_bitop2_b32 v1, 7, v39 bitop3:0x40
	v_cmp_gt_u32_e32 vcc_lo, 8, v0
	v_mov_b32_e32 v0, v39
	s_delay_alu instid0(VALU_DEP_3) | instskip(NEXT) | instid1(VALU_DEP_1)
	v_clz_i32_u32_e32 v1, v1
	v_min_u32_e32 v1, 32, v1
	s_delay_alu instid0(VALU_DEP_1) | instskip(SKIP_1) | instid1(VALU_DEP_2)
	v_sub_nc_u32_e32 v37, 29, v1
	v_subrev_nc_u32_e32 v48, 28, v1
	v_dual_mov_b32 v1, v3 :: v_dual_cndmask_b32 v49, v36, v37, vcc_lo
	s_delay_alu instid0(VALU_DEP_2) | instskip(NEXT) | instid1(VALU_DEP_1)
	v_cndmask_b32_e32 v36, 0, v48, vcc_lo
	v_lshlrev_b64_e32 v[36:37], v36, v[0:1]
	v_lshlrev_b32_e32 v0, 24, v0
	s_delay_alu instid0(VALU_DEP_1) | instskip(NEXT) | instid1(VALU_DEP_3)
	v_and_b32_e32 v0, 0x80000000, v0
	v_lshlrev_b32_e32 v1, 20, v36
	v_lshl_add_u32 v36, v49, 23, 0x3c000000
	s_delay_alu instid0(VALU_DEP_2) | instskip(NEXT) | instid1(VALU_DEP_1)
	v_and_b32_e32 v1, 0x700000, v1
	v_or3_b32 v1, v1, v0, v36
.LBB6_8329:                             ;   in Loop: Header=BB6_7947 Depth=3
	s_or_b32 exec_lo, exec_lo, s45
.LBB6_8330:                             ;   in Loop: Header=BB6_7947 Depth=3
	s_delay_alu instid0(SALU_CYCLE_1)
	s_or_b32 exec_lo, exec_lo, s44
.LBB6_8331:                             ;   in Loop: Header=BB6_7947 Depth=3
	s_delay_alu instid0(SALU_CYCLE_1) | instskip(NEXT) | instid1(VALU_DEP_1)
	s_or_b32 exec_lo, exec_lo, s13
	v_add_f32_e32 v0, v31, v1
	v_mov_b32_e32 v37, v3
                                        ; implicit-def: $vgpr98
	s_mov_b32 s13, exec_lo
	s_delay_alu instid0(VALU_DEP_2) | instskip(SKIP_1) | instid1(VALU_DEP_2)
	v_and_b32_e32 v36, 0x7f800000, v0
	v_lshrrev_b32_e32 v1, 24, v0
	v_cmpx_ne_u64_e32 0x7f800000, v[36:37]
	s_xor_b32 s44, exec_lo, s13
	s_cbranch_execz .LBB6_8345
; %bb.8332:                             ;   in Loop: Header=BB6_7947 Depth=3
	v_and_b32_e32 v36, 0x7fffffff, v0
	v_mov_b32_e32 v37, v3
	v_and_b32_e32 v1, 0x80, v1
                                        ; implicit-def: $vgpr98
	s_mov_b32 s13, exec_lo
	s_delay_alu instid0(VALU_DEP_2)
	v_cmpx_gt_u64_e32 0x43e00001, v[36:37]
	s_xor_b32 s45, exec_lo, s13
	s_cbranch_execz .LBB6_8342
; %bb.8333:                             ;   in Loop: Header=BB6_7947 Depth=3
	v_mov_b32_e32 v98, 0
	s_mov_b32 s74, exec_lo
	v_cmpx_ne_u32_e32 0, v0
	s_cbranch_execz .LBB6_8341
; %bb.8334:                             ;   in Loop: Header=BB6_7947 Depth=3
	v_and_b32_e32 v36, 0x7fffff, v0
	v_bfe_u32 v31, v0, 23, 8
	s_delay_alu instid0(VALU_DEP_2) | instskip(NEXT) | instid1(VALU_DEP_2)
	v_or_b32_e32 v37, 0x800000, v36
	v_cmp_eq_u32_e32 vcc_lo, 0, v31
	v_cmp_gt_u32_e64 s13, 0x7a, v31
	v_sub_nc_u32_e32 v0, 0x79, v31
	s_delay_alu instid0(VALU_DEP_4) | instskip(NEXT) | instid1(VALU_DEP_2)
	v_dual_cndmask_b32 v36, v37, v36 :: v_dual_mov_b32 v37, v3
	v_cndmask_b32_e64 v0, 0, v0, s13
	s_delay_alu instid0(VALU_DEP_1) | instskip(NEXT) | instid1(VALU_DEP_1)
	v_cndmask_b32_e64 v0, v0, 0x78, vcc_lo
	v_dual_add_nc_u32 v48, 20, v0 :: v_dual_add_nc_u32 v52, 19, v0
	s_delay_alu instid0(VALU_DEP_1) | instskip(NEXT) | instid1(VALU_DEP_2)
	v_lshlrev_b64_e64 v[48:49], v48, -1
	v_lshlrev_b64_e64 v[52:53], v52, 1
	s_delay_alu instid0(VALU_DEP_2) | instskip(SKIP_1) | instid1(VALU_DEP_4)
	v_bfi_b32 v48, v48, 0, v36
	v_lshrrev_b64 v[36:37], v0, v[36:37]
	v_bfi_b32 v49, v49, 0, 0
	s_delay_alu instid0(VALU_DEP_1) | instskip(NEXT) | instid1(VALU_DEP_3)
	v_cmp_eq_u64_e64 s13, v[48:49], v[52:53]
	v_mov_b64_e32 v[48:49], v[36:37]
	s_and_saveexec_b32 s75, s13
; %bb.8335:                             ;   in Loop: Header=BB6_7947 Depth=3
	v_bfe_u32 v48, v36, 20, 1
	v_mov_b32_e32 v49, v3
	s_delay_alu instid0(VALU_DEP_1) | instskip(NEXT) | instid1(VALU_DEP_1)
	v_add_nc_u64_e32 v[48:49], v[36:37], v[48:49]
	v_add_nc_u64_e32 v[48:49], -1, v[48:49]
; %bb.8336:                             ;   in Loop: Header=BB6_7947 Depth=3
	s_or_b32 exec_lo, exec_lo, s75
	v_add_nc_u32_e32 v31, 0xffffff81, v31
	v_lshrrev_b32_e32 v37, 23, v36
	s_mov_b32 s13, exec_lo
	s_delay_alu instid0(VALU_DEP_2) | instskip(NEXT) | instid1(VALU_DEP_1)
	v_cndmask_b32_e64 v31, v31, 0xffffff82, vcc_lo
	v_add3_u32 v49, v0, v31, v37
	v_and_b32_e32 v0, 0xfffff, v48
	s_delay_alu instid0(VALU_DEP_2) | instskip(NEXT) | instid1(VALU_DEP_2)
	v_dual_mov_b32 v37, v3 :: v_dual_add_nc_u32 v31, 6, v49
	v_add_nc_u32_e32 v36, v0, v36
                                        ; implicit-def: $vgpr0
	s_delay_alu instid0(VALU_DEP_2)
	v_cmpx_ne_u32_e32 0, v31
	s_xor_b32 s13, exec_lo, s13
; %bb.8337:                             ;   in Loop: Header=BB6_7947 Depth=3
	s_delay_alu instid0(VALU_DEP_2) | instskip(SKIP_1) | instid1(VALU_DEP_1)
	v_cmp_lt_u64_e32 vcc_lo, 0xffffff, v[36:37]
	v_add_nc_u32_e32 v0, 7, v49
	v_cndmask_b32_e32 v0, v31, v0, vcc_lo
	v_cndmask_b32_e64 v31, 0, 1, vcc_lo
	s_delay_alu instid0(VALU_DEP_1)
	v_lshrrev_b64 v[36:37], v31, v[36:37]
; %bb.8338:                             ;   in Loop: Header=BB6_7947 Depth=3
	s_and_not1_saveexec_b32 s13, s13
; %bb.8339:                             ;   in Loop: Header=BB6_7947 Depth=3
	s_delay_alu instid0(VALU_DEP_1)
	v_bfe_u32 v0, v36, 23, 1
; %bb.8340:                             ;   in Loop: Header=BB6_7947 Depth=3
	s_or_b32 exec_lo, exec_lo, s13
	s_delay_alu instid0(VALU_DEP_2) | instskip(NEXT) | instid1(VALU_DEP_2)
	v_lshrrev_b64 v[36:37], 20, v[36:37]
	v_cmp_gt_i32_e32 vcc_lo, 16, v0
	v_min_i32_e32 v31, 15, v0
	v_cmp_eq_u32_e64 s13, 0, v0
	s_delay_alu instid0(VALU_DEP_2) | instskip(SKIP_1) | instid1(VALU_DEP_2)
	v_dual_cndmask_b32 v37, 0, v37, vcc_lo :: v_dual_lshlrev_b32 v31, 3, v31
	v_cndmask_b32_e32 v36, 7, v36, vcc_lo
	v_and_b32_e32 v31, 0xf8, v31
	s_delay_alu instid0(VALU_DEP_2) | instskip(NEXT) | instid1(VALU_DEP_2)
	v_cmp_eq_u64_e32 vcc_lo, 0, v[36:37]
	v_and_or_b32 v0, v36, 7, v31
	s_and_b32 s13, s13, vcc_lo
	s_delay_alu instid0(VALU_DEP_1) | instid1(SALU_CYCLE_1)
	v_cndmask_b32_e64 v0, v0, 0, s13
	s_delay_alu instid0(VALU_DEP_1)
	v_or_b32_e32 v98, v0, v1
.LBB6_8341:                             ;   in Loop: Header=BB6_7947 Depth=3
	s_or_b32 exec_lo, exec_lo, s74
                                        ; implicit-def: $vgpr1
.LBB6_8342:                             ;   in Loop: Header=BB6_7947 Depth=3
	s_and_not1_saveexec_b32 s13, s45
; %bb.8343:                             ;   in Loop: Header=BB6_7947 Depth=3
	v_or_b32_e32 v98, 0x7e, v1
; %bb.8344:                             ;   in Loop: Header=BB6_7947 Depth=3
	s_or_b32 exec_lo, exec_lo, s13
                                        ; implicit-def: $vgpr1
.LBB6_8345:                             ;   in Loop: Header=BB6_7947 Depth=3
	s_and_not1_saveexec_b32 s13, s44
; %bb.8346:                             ;   in Loop: Header=BB6_7947 Depth=3
	v_or_b32_e32 v98, 0x7f, v1
; %bb.8347:                             ;   in Loop: Header=BB6_7947 Depth=3
	s_or_b32 exec_lo, exec_lo, s13
	v_lshrrev_b16 v0, 8, v2
	v_dual_mov_b32 v1, 0 :: v_dual_mov_b32 v31, 0
	s_mov_b32 s13, exec_lo
	s_delay_alu instid0(VALU_DEP_2)
	v_cmpx_ne_u16_e32 0, v0
	s_cbranch_execz .LBB6_8355
; %bb.8348:                             ;   in Loop: Header=BB6_7947 Depth=3
	v_bfrev_b32_e32 v31, 1
	s_mov_b32 s44, exec_lo
	v_cmpx_ne_u16_e32 0x80, v0
	s_cbranch_execz .LBB6_8354
; %bb.8349:                             ;   in Loop: Header=BB6_7947 Depth=3
	v_and_b32_e32 v0, 0xffff, v0
	v_mov_b32_e32 v31, 0x7f800001
	s_mov_b32 s45, exec_lo
	s_delay_alu instid0(VALU_DEP_2) | instskip(NEXT) | instid1(VALU_DEP_1)
	v_and_b32_e32 v48, 0x7f, v0
	v_cmpx_ne_u32_e32 0x7f, v48
	s_cbranch_execz .LBB6_8353
; %bb.8350:                             ;   in Loop: Header=BB6_7947 Depth=3
	v_dual_mov_b32 v37, v3 :: v_dual_bitop2_b32 v36, 7, v0 bitop3:0x40
	v_lshrrev_b32_e32 v0, 3, v48
	s_mov_b32 s74, exec_lo
	v_cmpx_gt_u32_e32 8, v48
; %bb.8351:                             ;   in Loop: Header=BB6_7947 Depth=3
	s_delay_alu instid0(VALU_DEP_3) | instskip(NEXT) | instid1(VALU_DEP_1)
	v_clz_i32_u32_e32 v0, v36
	v_min_u32_e32 v0, 32, v0
	s_delay_alu instid0(VALU_DEP_1) | instskip(SKIP_1) | instid1(VALU_DEP_2)
	v_subrev_nc_u32_e32 v31, 28, v0
	v_sub_nc_u32_e32 v0, 29, v0
	v_lshlrev_b64_e32 v[36:37], v31, v[36:37]
	s_delay_alu instid0(VALU_DEP_1)
	v_and_b32_e32 v36, 7, v36
; %bb.8352:                             ;   in Loop: Header=BB6_7947 Depth=3
	s_or_b32 exec_lo, exec_lo, s74
	s_delay_alu instid0(VALU_DEP_1) | instskip(SKIP_1) | instid1(VALU_DEP_2)
	v_dual_lshlrev_b32 v2, 16, v2 :: v_dual_lshlrev_b32 v31, 20, v36
	v_lshl_add_u32 v0, v0, 23, 0x3c000000
	v_and_b32_e32 v2, 0x80000000, v2
	s_delay_alu instid0(VALU_DEP_1)
	v_or3_b32 v31, v31, v2, v0
.LBB6_8353:                             ;   in Loop: Header=BB6_7947 Depth=3
	s_or_b32 exec_lo, exec_lo, s45
.LBB6_8354:                             ;   in Loop: Header=BB6_7947 Depth=3
	s_delay_alu instid0(SALU_CYCLE_1)
	s_or_b32 exec_lo, exec_lo, s44
.LBB6_8355:                             ;   in Loop: Header=BB6_7947 Depth=3
	s_delay_alu instid0(SALU_CYCLE_1) | instskip(SKIP_2) | instid1(VALU_DEP_1)
	s_or_b32 exec_lo, exec_lo, s13
	v_lshrrev_b16 v0, 8, v39
	s_mov_b32 s13, exec_lo
	v_cmpx_ne_u16_e32 0, v0
	s_cbranch_execz .LBB6_8363
; %bb.8356:                             ;   in Loop: Header=BB6_7947 Depth=3
	v_bfrev_b32_e32 v1, 1
	s_mov_b32 s44, exec_lo
	v_cmpx_ne_u16_e32 0x80, v0
	s_cbranch_execz .LBB6_8362
; %bb.8357:                             ;   in Loop: Header=BB6_7947 Depth=3
	v_and_b32_e32 v0, 0xffff, v0
	v_mov_b32_e32 v1, 0x7f800001
	s_mov_b32 s45, exec_lo
	s_delay_alu instid0(VALU_DEP_2) | instskip(NEXT) | instid1(VALU_DEP_1)
	v_and_b32_e32 v36, 0x7f, v0
	v_cmpx_ne_u32_e32 0x7f, v36
	s_cbranch_execz .LBB6_8361
; %bb.8358:                             ;   in Loop: Header=BB6_7947 Depth=3
	v_and_b32_e32 v2, 7, v0
	v_lshrrev_b32_e32 v0, 3, v36
	v_cmp_gt_u32_e32 vcc_lo, 8, v36
	s_delay_alu instid0(VALU_DEP_3)
	v_mov_b64_e32 v[36:37], v[2:3]
	s_and_saveexec_b32 s74, vcc_lo
; %bb.8359:                             ;   in Loop: Header=BB6_7947 Depth=3
	v_clz_i32_u32_e32 v0, v2
	s_delay_alu instid0(VALU_DEP_1) | instskip(NEXT) | instid1(VALU_DEP_1)
	v_min_u32_e32 v0, 32, v0
	v_subrev_nc_u32_e32 v1, 28, v0
	v_sub_nc_u32_e32 v0, 29, v0
	s_delay_alu instid0(VALU_DEP_2) | instskip(NEXT) | instid1(VALU_DEP_1)
	v_lshlrev_b64_e32 v[36:37], v1, v[2:3]
	v_and_b32_e32 v36, 7, v36
; %bb.8360:                             ;   in Loop: Header=BB6_7947 Depth=3
	s_or_b32 exec_lo, exec_lo, s74
	s_delay_alu instid0(VALU_DEP_1) | instskip(SKIP_1) | instid1(VALU_DEP_2)
	v_dual_lshlrev_b32 v1, 16, v39 :: v_dual_lshlrev_b32 v2, 20, v36
	v_lshl_add_u32 v0, v0, 23, 0x3c000000
	v_and_b32_e32 v1, 0x80000000, v1
	s_delay_alu instid0(VALU_DEP_1)
	v_or3_b32 v1, v2, v1, v0
.LBB6_8361:                             ;   in Loop: Header=BB6_7947 Depth=3
	s_or_b32 exec_lo, exec_lo, s45
.LBB6_8362:                             ;   in Loop: Header=BB6_7947 Depth=3
	s_delay_alu instid0(SALU_CYCLE_1)
	s_or_b32 exec_lo, exec_lo, s44
.LBB6_8363:                             ;   in Loop: Header=BB6_7947 Depth=3
	s_delay_alu instid0(SALU_CYCLE_1) | instskip(NEXT) | instid1(VALU_DEP_1)
	s_or_b32 exec_lo, exec_lo, s13
	v_add_f32_e32 v0, v31, v1
                                        ; implicit-def: $vgpr99
	s_mov_b32 s13, exec_lo
	s_delay_alu instid0(VALU_DEP_1) | instskip(SKIP_1) | instid1(VALU_DEP_2)
	v_and_b32_e32 v2, 0x7f800000, v0
	v_lshrrev_b32_e32 v1, 24, v0
	v_cmpx_ne_u64_e32 0x7f800000, v[2:3]
	s_xor_b32 s44, exec_lo, s13
	s_cbranch_execz .LBB6_8377
; %bb.8364:                             ;   in Loop: Header=BB6_7947 Depth=3
	v_and_b32_e32 v2, 0x7fffffff, v0
	v_and_b32_e32 v1, 0x80, v1
                                        ; implicit-def: $vgpr99
	s_mov_b32 s13, exec_lo
	s_delay_alu instid0(VALU_DEP_2)
	v_cmpx_gt_u64_e32 0x43e00001, v[2:3]
	s_xor_b32 s45, exec_lo, s13
	s_cbranch_execz .LBB6_8374
; %bb.8365:                             ;   in Loop: Header=BB6_7947 Depth=3
	v_mov_b32_e32 v99, 0
	s_mov_b32 s74, exec_lo
	v_cmpx_ne_u32_e32 0, v0
	s_cbranch_execz .LBB6_8373
; %bb.8366:                             ;   in Loop: Header=BB6_7947 Depth=3
	v_bfe_u32 v31, v0, 23, 8
	v_and_b32_e32 v2, 0x7fffff, v0
	s_delay_alu instid0(VALU_DEP_2) | instskip(SKIP_2) | instid1(VALU_DEP_4)
	v_cmp_gt_u32_e64 s13, 0x7a, v31
	v_sub_nc_u32_e32 v0, 0x79, v31
	v_cmp_eq_u32_e32 vcc_lo, 0, v31
	v_or_b32_e32 v36, 0x800000, v2
	s_delay_alu instid0(VALU_DEP_1) | instskip(NEXT) | instid1(VALU_DEP_1)
	v_dual_cndmask_b32 v0, 0, v0, s13 :: v_dual_cndmask_b32 v2, v36, v2, vcc_lo
	v_cndmask_b32_e64 v0, v0, 0x78, vcc_lo
	s_delay_alu instid0(VALU_DEP_1) | instskip(NEXT) | instid1(VALU_DEP_1)
	v_dual_add_nc_u32 v36, 20, v0 :: v_dual_add_nc_u32 v48, 19, v0
	v_lshlrev_b64_e64 v[36:37], v36, -1
	s_delay_alu instid0(VALU_DEP_2) | instskip(NEXT) | instid1(VALU_DEP_2)
	v_lshlrev_b64_e64 v[48:49], v48, 1
	v_bfi_b32 v37, v37, 0, 0
	s_delay_alu instid0(VALU_DEP_3) | instskip(NEXT) | instid1(VALU_DEP_1)
	v_bfi_b32 v36, v36, 0, v2
	v_cmp_eq_u64_e64 s13, v[36:37], v[48:49]
	v_lshrrev_b64 v[36:37], v0, v[2:3]
	s_delay_alu instid0(VALU_DEP_1)
	v_mov_b64_e32 v[48:49], v[36:37]
	s_and_saveexec_b32 s75, s13
; %bb.8367:                             ;   in Loop: Header=BB6_7947 Depth=3
	v_bfe_u32 v2, v36, 20, 1
	s_delay_alu instid0(VALU_DEP_1) | instskip(NEXT) | instid1(VALU_DEP_1)
	v_add_nc_u64_e32 v[48:49], v[36:37], v[2:3]
	v_add_nc_u64_e32 v[48:49], -1, v[48:49]
; %bb.8368:                             ;   in Loop: Header=BB6_7947 Depth=3
	s_or_b32 exec_lo, exec_lo, s75
	v_add_nc_u32_e32 v2, 0xffffff81, v31
	v_lshrrev_b32_e32 v31, 23, v36
	s_mov_b32 s13, exec_lo
	s_delay_alu instid0(VALU_DEP_2) | instskip(NEXT) | instid1(VALU_DEP_1)
	v_cndmask_b32_e64 v2, v2, 0xffffff82, vcc_lo
	v_add3_u32 v49, v0, v2, v31
	v_and_b32_e32 v0, 0xfffff, v48
	s_delay_alu instid0(VALU_DEP_1) | instskip(NEXT) | instid1(VALU_DEP_1)
	v_dual_add_nc_u32 v31, 6, v49 :: v_dual_add_nc_u32 v2, v0, v36
                                        ; implicit-def: $vgpr36_vgpr37
                                        ; implicit-def: $vgpr0
	v_cmpx_ne_u32_e32 0, v31
	s_xor_b32 s13, exec_lo, s13
; %bb.8369:                             ;   in Loop: Header=BB6_7947 Depth=3
	s_delay_alu instid0(VALU_DEP_2) | instskip(SKIP_1) | instid1(VALU_DEP_1)
	v_cmp_lt_u64_e32 vcc_lo, 0xffffff, v[2:3]
	v_add_nc_u32_e32 v0, 7, v49
	v_cndmask_b32_e32 v0, v31, v0, vcc_lo
	v_cndmask_b32_e64 v31, 0, 1, vcc_lo
	s_delay_alu instid0(VALU_DEP_1)
	v_lshrrev_b64 v[36:37], v31, v[2:3]
; %bb.8370:                             ;   in Loop: Header=BB6_7947 Depth=3
	s_and_not1_saveexec_b32 s13, s13
; %bb.8371:                             ;   in Loop: Header=BB6_7947 Depth=3
	v_mov_b64_e32 v[36:37], v[2:3]
	v_bfe_u32 v0, v2, 23, 1
; %bb.8372:                             ;   in Loop: Header=BB6_7947 Depth=3
	s_or_b32 exec_lo, exec_lo, s13
	s_delay_alu instid0(VALU_DEP_2) | instskip(NEXT) | instid1(VALU_DEP_2)
	v_lshrrev_b64 v[36:37], 20, v[36:37]
	v_cmp_gt_i32_e32 vcc_lo, 16, v0
	v_min_i32_e32 v2, 15, v0
	v_cmp_eq_u32_e64 s13, 0, v0
	s_delay_alu instid0(VALU_DEP_2) | instskip(SKIP_1) | instid1(VALU_DEP_2)
	v_dual_cndmask_b32 v37, 0, v37 :: v_dual_lshlrev_b32 v2, 3, v2
	v_cndmask_b32_e32 v36, 7, v36, vcc_lo
	v_and_b32_e32 v2, 0xf8, v2
	s_delay_alu instid0(VALU_DEP_2) | instskip(NEXT) | instid1(VALU_DEP_2)
	v_cmp_eq_u64_e32 vcc_lo, 0, v[36:37]
	v_and_or_b32 v0, v36, 7, v2
	s_and_b32 s13, s13, vcc_lo
	s_delay_alu instid0(VALU_DEP_1) | instid1(SALU_CYCLE_1)
	v_cndmask_b32_e64 v0, v0, 0, s13
	s_delay_alu instid0(VALU_DEP_1)
	v_or_b32_e32 v99, v0, v1
.LBB6_8373:                             ;   in Loop: Header=BB6_7947 Depth=3
	s_or_b32 exec_lo, exec_lo, s74
                                        ; implicit-def: $vgpr1
.LBB6_8374:                             ;   in Loop: Header=BB6_7947 Depth=3
	s_and_not1_saveexec_b32 s13, s45
; %bb.8375:                             ;   in Loop: Header=BB6_7947 Depth=3
	v_or_b32_e32 v99, 0x7e, v1
; %bb.8376:                             ;   in Loop: Header=BB6_7947 Depth=3
	s_or_b32 exec_lo, exec_lo, s13
                                        ; implicit-def: $vgpr1
.LBB6_8377:                             ;   in Loop: Header=BB6_7947 Depth=3
	s_and_not1_saveexec_b32 s13, s44
; %bb.8378:                             ;   in Loop: Header=BB6_7947 Depth=3
	v_or_b32_e32 v99, 0x7f, v1
; %bb.8379:                             ;   in Loop: Header=BB6_7947 Depth=3
	s_or_b32 exec_lo, exec_lo, s13
	v_dual_mov_b32 v1, 0 :: v_dual_lshrrev_b32 v0, 16, v51
	v_mov_b32_e32 v31, 0
	s_mov_b32 s13, exec_lo
	s_delay_alu instid0(VALU_DEP_2) | instskip(NEXT) | instid1(VALU_DEP_1)
	v_and_b32_e32 v2, 0xff, v0
	v_cmpx_ne_u16_e32 0, v2
	s_cbranch_execz .LBB6_8387
; %bb.8380:                             ;   in Loop: Header=BB6_7947 Depth=3
	v_bfrev_b32_e32 v31, 1
	s_mov_b32 s44, exec_lo
	v_cmpx_ne_u16_e32 0x80, v2
	s_cbranch_execz .LBB6_8386
; %bb.8381:                             ;   in Loop: Header=BB6_7947 Depth=3
	v_bfe_u32 v36, v51, 16, 7
	v_mov_b32_e32 v31, 0x7f800001
	s_mov_b32 s45, exec_lo
	s_delay_alu instid0(VALU_DEP_2)
	v_cmpx_ne_u32_e32 0x7f, v36
	s_cbranch_execz .LBB6_8385
; %bb.8382:                             ;   in Loop: Header=BB6_7947 Depth=3
	v_and_b32_e32 v2, 7, v0
	v_lshrrev_b32_e32 v31, 3, v36
	v_cmp_gt_u32_e32 vcc_lo, 8, v36
	s_delay_alu instid0(VALU_DEP_3)
	v_mov_b64_e32 v[36:37], v[2:3]
	s_and_saveexec_b32 s74, vcc_lo
; %bb.8383:                             ;   in Loop: Header=BB6_7947 Depth=3
	v_clz_i32_u32_e32 v31, v2
	s_delay_alu instid0(VALU_DEP_1) | instskip(NEXT) | instid1(VALU_DEP_1)
	v_min_u32_e32 v31, 32, v31
	v_subrev_nc_u32_e32 v36, 28, v31
	s_delay_alu instid0(VALU_DEP_1) | instskip(NEXT) | instid1(VALU_DEP_1)
	v_lshlrev_b64_e32 v[36:37], v36, v[2:3]
	v_dual_sub_nc_u32 v31, 29, v31 :: v_dual_bitop2_b32 v36, 7, v36 bitop3:0x40
; %bb.8384:                             ;   in Loop: Header=BB6_7947 Depth=3
	s_or_b32 exec_lo, exec_lo, s74
	v_lshlrev_b32_e32 v0, 24, v0
	s_delay_alu instid0(VALU_DEP_2) | instskip(NEXT) | instid1(VALU_DEP_3)
	v_lshlrev_b32_e32 v2, 20, v36
	v_lshl_add_u32 v31, v31, 23, 0x3c000000
	s_delay_alu instid0(VALU_DEP_3) | instskip(NEXT) | instid1(VALU_DEP_1)
	v_and_b32_e32 v0, 0x80000000, v0
	v_or3_b32 v31, v2, v0, v31
.LBB6_8385:                             ;   in Loop: Header=BB6_7947 Depth=3
	s_or_b32 exec_lo, exec_lo, s45
.LBB6_8386:                             ;   in Loop: Header=BB6_7947 Depth=3
	s_delay_alu instid0(SALU_CYCLE_1)
	s_or_b32 exec_lo, exec_lo, s44
.LBB6_8387:                             ;   in Loop: Header=BB6_7947 Depth=3
	s_delay_alu instid0(SALU_CYCLE_1) | instskip(SKIP_2) | instid1(VALU_DEP_1)
	s_or_b32 exec_lo, exec_lo, s13
	v_lshrrev_b32_e32 v0, 16, v39
	s_mov_b32 s13, exec_lo
	v_and_b32_e32 v2, 0xff, v0
	s_delay_alu instid0(VALU_DEP_1)
	v_cmpx_ne_u16_e32 0, v2
	s_cbranch_execz .LBB6_8395
; %bb.8388:                             ;   in Loop: Header=BB6_7947 Depth=3
	v_bfrev_b32_e32 v1, 1
	s_mov_b32 s44, exec_lo
	v_cmpx_ne_u16_e32 0x80, v2
	s_cbranch_execz .LBB6_8394
; %bb.8389:                             ;   in Loop: Header=BB6_7947 Depth=3
	v_bfe_u32 v36, v39, 16, 7
	v_mov_b32_e32 v1, 0x7f800001
	s_mov_b32 s45, exec_lo
	s_delay_alu instid0(VALU_DEP_2)
	v_cmpx_ne_u32_e32 0x7f, v36
	s_cbranch_execz .LBB6_8393
; %bb.8390:                             ;   in Loop: Header=BB6_7947 Depth=3
	v_and_b32_e32 v2, 7, v0
	v_lshrrev_b32_e32 v0, 3, v36
	v_cmp_gt_u32_e32 vcc_lo, 8, v36
	s_delay_alu instid0(VALU_DEP_3)
	v_mov_b64_e32 v[36:37], v[2:3]
	s_and_saveexec_b32 s74, vcc_lo
; %bb.8391:                             ;   in Loop: Header=BB6_7947 Depth=3
	v_clz_i32_u32_e32 v0, v2
	s_delay_alu instid0(VALU_DEP_1) | instskip(NEXT) | instid1(VALU_DEP_1)
	v_min_u32_e32 v0, 32, v0
	v_subrev_nc_u32_e32 v1, 28, v0
	v_sub_nc_u32_e32 v0, 29, v0
	s_delay_alu instid0(VALU_DEP_2) | instskip(NEXT) | instid1(VALU_DEP_1)
	v_lshlrev_b64_e32 v[36:37], v1, v[2:3]
	v_and_b32_e32 v36, 7, v36
; %bb.8392:                             ;   in Loop: Header=BB6_7947 Depth=3
	s_or_b32 exec_lo, exec_lo, s74
	s_delay_alu instid0(VALU_DEP_1) | instskip(SKIP_1) | instid1(VALU_DEP_2)
	v_dual_lshlrev_b32 v1, 8, v39 :: v_dual_lshlrev_b32 v2, 20, v36
	v_lshl_add_u32 v0, v0, 23, 0x3c000000
	v_and_b32_e32 v1, 0x80000000, v1
	s_delay_alu instid0(VALU_DEP_1)
	v_or3_b32 v1, v2, v1, v0
.LBB6_8393:                             ;   in Loop: Header=BB6_7947 Depth=3
	s_or_b32 exec_lo, exec_lo, s45
.LBB6_8394:                             ;   in Loop: Header=BB6_7947 Depth=3
	s_delay_alu instid0(SALU_CYCLE_1)
	s_or_b32 exec_lo, exec_lo, s44
.LBB6_8395:                             ;   in Loop: Header=BB6_7947 Depth=3
	s_delay_alu instid0(SALU_CYCLE_1) | instskip(NEXT) | instid1(VALU_DEP_1)
	s_or_b32 exec_lo, exec_lo, s13
	v_add_f32_e32 v0, v31, v1
                                        ; implicit-def: $vgpr48
	s_mov_b32 s13, exec_lo
	s_delay_alu instid0(VALU_DEP_1) | instskip(SKIP_1) | instid1(VALU_DEP_2)
	v_and_b32_e32 v2, 0x7f800000, v0
	v_lshrrev_b32_e32 v1, 24, v0
	v_cmpx_ne_u64_e32 0x7f800000, v[2:3]
	s_xor_b32 s44, exec_lo, s13
	s_cbranch_execz .LBB6_8409
; %bb.8396:                             ;   in Loop: Header=BB6_7947 Depth=3
	v_and_b32_e32 v2, 0x7fffffff, v0
	v_and_b32_e32 v1, 0x80, v1
                                        ; implicit-def: $vgpr48
	s_mov_b32 s13, exec_lo
	s_delay_alu instid0(VALU_DEP_2)
	v_cmpx_gt_u64_e32 0x43e00001, v[2:3]
	s_xor_b32 s45, exec_lo, s13
	s_cbranch_execz .LBB6_8406
; %bb.8397:                             ;   in Loop: Header=BB6_7947 Depth=3
	v_mov_b32_e32 v48, 0
	s_mov_b32 s74, exec_lo
	v_cmpx_ne_u32_e32 0, v0
	s_cbranch_execz .LBB6_8405
; %bb.8398:                             ;   in Loop: Header=BB6_7947 Depth=3
	v_bfe_u32 v31, v0, 23, 8
	v_and_b32_e32 v2, 0x7fffff, v0
	s_delay_alu instid0(VALU_DEP_2) | instskip(SKIP_2) | instid1(VALU_DEP_4)
	v_cmp_gt_u32_e64 s13, 0x7a, v31
	v_sub_nc_u32_e32 v0, 0x79, v31
	v_cmp_eq_u32_e32 vcc_lo, 0, v31
	v_or_b32_e32 v36, 0x800000, v2
	s_delay_alu instid0(VALU_DEP_1) | instskip(NEXT) | instid1(VALU_DEP_1)
	v_dual_cndmask_b32 v0, 0, v0, s13 :: v_dual_cndmask_b32 v2, v36, v2, vcc_lo
	v_cndmask_b32_e64 v0, v0, 0x78, vcc_lo
	s_delay_alu instid0(VALU_DEP_1) | instskip(NEXT) | instid1(VALU_DEP_1)
	v_dual_add_nc_u32 v36, 20, v0 :: v_dual_add_nc_u32 v48, 19, v0
	v_lshlrev_b64_e64 v[36:37], v36, -1
	s_delay_alu instid0(VALU_DEP_2) | instskip(NEXT) | instid1(VALU_DEP_2)
	v_lshlrev_b64_e64 v[48:49], v48, 1
	v_bfi_b32 v37, v37, 0, 0
	s_delay_alu instid0(VALU_DEP_3) | instskip(NEXT) | instid1(VALU_DEP_1)
	v_bfi_b32 v36, v36, 0, v2
	v_cmp_eq_u64_e64 s13, v[36:37], v[48:49]
	v_lshrrev_b64 v[36:37], v0, v[2:3]
	s_delay_alu instid0(VALU_DEP_1)
	v_mov_b64_e32 v[48:49], v[36:37]
	s_and_saveexec_b32 s75, s13
; %bb.8399:                             ;   in Loop: Header=BB6_7947 Depth=3
	v_bfe_u32 v2, v36, 20, 1
	s_delay_alu instid0(VALU_DEP_1) | instskip(NEXT) | instid1(VALU_DEP_1)
	v_add_nc_u64_e32 v[48:49], v[36:37], v[2:3]
	v_add_nc_u64_e32 v[48:49], -1, v[48:49]
; %bb.8400:                             ;   in Loop: Header=BB6_7947 Depth=3
	s_or_b32 exec_lo, exec_lo, s75
	v_add_nc_u32_e32 v2, 0xffffff81, v31
	v_lshrrev_b32_e32 v31, 23, v36
	s_mov_b32 s13, exec_lo
	s_delay_alu instid0(VALU_DEP_2) | instskip(NEXT) | instid1(VALU_DEP_1)
	v_cndmask_b32_e64 v2, v2, 0xffffff82, vcc_lo
	v_add3_u32 v49, v0, v2, v31
	v_and_b32_e32 v0, 0xfffff, v48
	s_delay_alu instid0(VALU_DEP_1) | instskip(NEXT) | instid1(VALU_DEP_1)
	v_dual_add_nc_u32 v31, 6, v49 :: v_dual_add_nc_u32 v2, v0, v36
                                        ; implicit-def: $vgpr36_vgpr37
                                        ; implicit-def: $vgpr0
	v_cmpx_ne_u32_e32 0, v31
	s_xor_b32 s13, exec_lo, s13
; %bb.8401:                             ;   in Loop: Header=BB6_7947 Depth=3
	s_delay_alu instid0(VALU_DEP_2) | instskip(SKIP_1) | instid1(VALU_DEP_1)
	v_cmp_lt_u64_e32 vcc_lo, 0xffffff, v[2:3]
	v_add_nc_u32_e32 v0, 7, v49
	v_cndmask_b32_e32 v0, v31, v0, vcc_lo
	v_cndmask_b32_e64 v31, 0, 1, vcc_lo
	s_delay_alu instid0(VALU_DEP_1)
	v_lshrrev_b64 v[36:37], v31, v[2:3]
; %bb.8402:                             ;   in Loop: Header=BB6_7947 Depth=3
	s_and_not1_saveexec_b32 s13, s13
; %bb.8403:                             ;   in Loop: Header=BB6_7947 Depth=3
	v_mov_b64_e32 v[36:37], v[2:3]
	v_bfe_u32 v0, v2, 23, 1
; %bb.8404:                             ;   in Loop: Header=BB6_7947 Depth=3
	s_or_b32 exec_lo, exec_lo, s13
	s_delay_alu instid0(VALU_DEP_2) | instskip(NEXT) | instid1(VALU_DEP_2)
	v_lshrrev_b64 v[36:37], 20, v[36:37]
	v_cmp_gt_i32_e32 vcc_lo, 16, v0
	v_min_i32_e32 v2, 15, v0
	v_cmp_eq_u32_e64 s13, 0, v0
	s_delay_alu instid0(VALU_DEP_2) | instskip(SKIP_1) | instid1(VALU_DEP_2)
	v_dual_cndmask_b32 v37, 0, v37 :: v_dual_lshlrev_b32 v2, 3, v2
	v_cndmask_b32_e32 v36, 7, v36, vcc_lo
	v_and_b32_e32 v2, 0xf8, v2
	s_delay_alu instid0(VALU_DEP_2) | instskip(NEXT) | instid1(VALU_DEP_2)
	v_cmp_eq_u64_e32 vcc_lo, 0, v[36:37]
	v_and_or_b32 v0, v36, 7, v2
	s_and_b32 s13, s13, vcc_lo
	s_delay_alu instid0(VALU_DEP_1) | instid1(SALU_CYCLE_1)
	v_cndmask_b32_e64 v0, v0, 0, s13
	s_delay_alu instid0(VALU_DEP_1)
	v_or_b32_e32 v48, v0, v1
.LBB6_8405:                             ;   in Loop: Header=BB6_7947 Depth=3
	s_or_b32 exec_lo, exec_lo, s74
                                        ; implicit-def: $vgpr1
.LBB6_8406:                             ;   in Loop: Header=BB6_7947 Depth=3
	s_and_not1_saveexec_b32 s13, s45
; %bb.8407:                             ;   in Loop: Header=BB6_7947 Depth=3
	v_or_b32_e32 v48, 0x7e, v1
; %bb.8408:                             ;   in Loop: Header=BB6_7947 Depth=3
	s_or_b32 exec_lo, exec_lo, s13
                                        ; implicit-def: $vgpr1
.LBB6_8409:                             ;   in Loop: Header=BB6_7947 Depth=3
	s_and_not1_saveexec_b32 s13, s44
; %bb.8410:                             ;   in Loop: Header=BB6_7947 Depth=3
	v_or_b32_e32 v48, 0x7f, v1
; %bb.8411:                             ;   in Loop: Header=BB6_7947 Depth=3
	s_or_b32 exec_lo, exec_lo, s13
	v_dual_mov_b32 v1, 0 :: v_dual_mov_b32 v31, 0
	s_mov_b32 s13, exec_lo
	v_cmpx_lt_u64_e64 s[22:23], v[50:51]
	s_cbranch_execz .LBB6_8419
; %bb.8412:                             ;   in Loop: Header=BB6_7947 Depth=3
	v_lshrrev_b32_e32 v0, 24, v51
	v_bfrev_b32_e32 v31, 1
	s_mov_b32 s44, exec_lo
	s_delay_alu instid0(VALU_DEP_2)
	v_cmpx_ne_u32_e32 0x80, v0
	s_cbranch_execz .LBB6_8418
; %bb.8413:                             ;   in Loop: Header=BB6_7947 Depth=3
	v_bfe_u32 v36, v51, 24, 7
	v_mov_b32_e32 v31, 0x7f800001
	s_mov_b32 s45, exec_lo
	s_delay_alu instid0(VALU_DEP_2)
	v_cmpx_ne_u32_e32 0x7f, v36
	s_cbranch_execz .LBB6_8417
; %bb.8414:                             ;   in Loop: Header=BB6_7947 Depth=3
	v_and_b32_e32 v2, 7, v0
	v_lshrrev_b32_e32 v31, 3, v36
	v_cmp_gt_u32_e32 vcc_lo, 8, v36
	s_delay_alu instid0(VALU_DEP_3)
	v_mov_b64_e32 v[36:37], v[2:3]
	s_and_saveexec_b32 s74, vcc_lo
; %bb.8415:                             ;   in Loop: Header=BB6_7947 Depth=3
	v_clz_i32_u32_e32 v31, v2
	s_delay_alu instid0(VALU_DEP_1) | instskip(NEXT) | instid1(VALU_DEP_1)
	v_min_u32_e32 v31, 32, v31
	v_subrev_nc_u32_e32 v36, 28, v31
	s_delay_alu instid0(VALU_DEP_1) | instskip(NEXT) | instid1(VALU_DEP_1)
	v_lshlrev_b64_e32 v[36:37], v36, v[2:3]
	v_dual_sub_nc_u32 v31, 29, v31 :: v_dual_bitop2_b32 v36, 7, v36 bitop3:0x40
; %bb.8416:                             ;   in Loop: Header=BB6_7947 Depth=3
	s_or_b32 exec_lo, exec_lo, s74
	v_lshlrev_b32_e32 v0, 24, v0
	s_delay_alu instid0(VALU_DEP_2) | instskip(NEXT) | instid1(VALU_DEP_3)
	v_lshlrev_b32_e32 v2, 20, v36
	v_lshl_add_u32 v31, v31, 23, 0x3c000000
	s_delay_alu instid0(VALU_DEP_3) | instskip(NEXT) | instid1(VALU_DEP_1)
	v_and_b32_e32 v0, 0x80000000, v0
	v_or3_b32 v31, v2, v0, v31
.LBB6_8417:                             ;   in Loop: Header=BB6_7947 Depth=3
	s_or_b32 exec_lo, exec_lo, s45
.LBB6_8418:                             ;   in Loop: Header=BB6_7947 Depth=3
	s_delay_alu instid0(SALU_CYCLE_1)
	s_or_b32 exec_lo, exec_lo, s44
.LBB6_8419:                             ;   in Loop: Header=BB6_7947 Depth=3
	s_delay_alu instid0(SALU_CYCLE_1) | instskip(NEXT) | instid1(SALU_CYCLE_1)
	s_or_b32 exec_lo, exec_lo, s13
	s_mov_b32 s13, exec_lo
	v_cmpx_lt_u64_e64 s[22:23], v[38:39]
	s_cbranch_execz .LBB6_8427
; %bb.8420:                             ;   in Loop: Header=BB6_7947 Depth=3
	v_lshrrev_b32_e32 v0, 24, v39
	v_bfrev_b32_e32 v1, 1
	s_mov_b32 s44, exec_lo
	s_delay_alu instid0(VALU_DEP_2)
	v_cmpx_ne_u32_e32 0x80, v0
	s_cbranch_execz .LBB6_8426
; %bb.8421:                             ;   in Loop: Header=BB6_7947 Depth=3
	v_bfe_u32 v36, v39, 24, 7
	v_mov_b32_e32 v1, 0x7f800001
	s_mov_b32 s45, exec_lo
	s_delay_alu instid0(VALU_DEP_2)
	v_cmpx_ne_u32_e32 0x7f, v36
	s_cbranch_execz .LBB6_8425
; %bb.8422:                             ;   in Loop: Header=BB6_7947 Depth=3
	v_and_b32_e32 v2, 7, v0
	v_lshrrev_b32_e32 v1, 3, v36
	v_cmp_gt_u32_e32 vcc_lo, 8, v36
	s_delay_alu instid0(VALU_DEP_3)
	v_mov_b64_e32 v[36:37], v[2:3]
	s_and_saveexec_b32 s74, vcc_lo
; %bb.8423:                             ;   in Loop: Header=BB6_7947 Depth=3
	v_clz_i32_u32_e32 v1, v2
	s_delay_alu instid0(VALU_DEP_1) | instskip(NEXT) | instid1(VALU_DEP_1)
	v_min_u32_e32 v1, 32, v1
	v_subrev_nc_u32_e32 v36, 28, v1
	s_delay_alu instid0(VALU_DEP_1) | instskip(NEXT) | instid1(VALU_DEP_1)
	v_lshlrev_b64_e32 v[36:37], v36, v[2:3]
	v_dual_sub_nc_u32 v1, 29, v1 :: v_dual_bitop2_b32 v36, 7, v36 bitop3:0x40
; %bb.8424:                             ;   in Loop: Header=BB6_7947 Depth=3
	s_or_b32 exec_lo, exec_lo, s74
	v_lshlrev_b32_e32 v0, 24, v0
	s_delay_alu instid0(VALU_DEP_2) | instskip(NEXT) | instid1(VALU_DEP_3)
	v_lshlrev_b32_e32 v2, 20, v36
	v_lshl_add_u32 v1, v1, 23, 0x3c000000
	s_delay_alu instid0(VALU_DEP_3) | instskip(NEXT) | instid1(VALU_DEP_1)
	v_and_b32_e32 v0, 0x80000000, v0
	v_or3_b32 v1, v2, v0, v1
.LBB6_8425:                             ;   in Loop: Header=BB6_7947 Depth=3
	s_or_b32 exec_lo, exec_lo, s45
.LBB6_8426:                             ;   in Loop: Header=BB6_7947 Depth=3
	s_delay_alu instid0(SALU_CYCLE_1)
	s_or_b32 exec_lo, exec_lo, s44
.LBB6_8427:                             ;   in Loop: Header=BB6_7947 Depth=3
	s_delay_alu instid0(SALU_CYCLE_1) | instskip(NEXT) | instid1(VALU_DEP_1)
	s_or_b32 exec_lo, exec_lo, s13
	v_add_f32_e32 v0, v31, v1
                                        ; implicit-def: $vgpr49
	s_mov_b32 s13, exec_lo
	s_delay_alu instid0(VALU_DEP_1) | instskip(SKIP_1) | instid1(VALU_DEP_2)
	v_and_b32_e32 v2, 0x7f800000, v0
	v_lshrrev_b32_e32 v1, 24, v0
	v_cmpx_ne_u64_e32 0x7f800000, v[2:3]
	s_xor_b32 s44, exec_lo, s13
	s_cbranch_execz .LBB6_8441
; %bb.8428:                             ;   in Loop: Header=BB6_7947 Depth=3
	v_and_b32_e32 v2, 0x7fffffff, v0
	v_and_b32_e32 v1, 0x80, v1
                                        ; implicit-def: $vgpr49
	s_mov_b32 s13, exec_lo
	s_delay_alu instid0(VALU_DEP_2)
	v_cmpx_gt_u64_e32 0x43e00001, v[2:3]
	s_xor_b32 s45, exec_lo, s13
	s_cbranch_execz .LBB6_8438
; %bb.8429:                             ;   in Loop: Header=BB6_7947 Depth=3
	v_mov_b32_e32 v49, 0
	s_mov_b32 s74, exec_lo
	v_cmpx_ne_u32_e32 0, v0
	s_cbranch_execz .LBB6_8437
; %bb.8430:                             ;   in Loop: Header=BB6_7947 Depth=3
	v_bfe_u32 v31, v0, 23, 8
	v_and_b32_e32 v2, 0x7fffff, v0
	s_delay_alu instid0(VALU_DEP_2) | instskip(SKIP_2) | instid1(VALU_DEP_4)
	v_cmp_gt_u32_e64 s13, 0x7a, v31
	v_sub_nc_u32_e32 v0, 0x79, v31
	v_cmp_eq_u32_e32 vcc_lo, 0, v31
	v_or_b32_e32 v36, 0x800000, v2
	s_delay_alu instid0(VALU_DEP_1) | instskip(NEXT) | instid1(VALU_DEP_1)
	v_dual_cndmask_b32 v0, 0, v0, s13 :: v_dual_cndmask_b32 v2, v36, v2, vcc_lo
	v_cndmask_b32_e64 v0, v0, 0x78, vcc_lo
	s_delay_alu instid0(VALU_DEP_1) | instskip(NEXT) | instid1(VALU_DEP_1)
	v_dual_add_nc_u32 v36, 20, v0 :: v_dual_add_nc_u32 v38, 19, v0
	v_lshlrev_b64_e64 v[36:37], v36, -1
	s_delay_alu instid0(VALU_DEP_2) | instskip(NEXT) | instid1(VALU_DEP_2)
	v_lshlrev_b64_e64 v[38:39], v38, 1
	v_bfi_b32 v37, v37, 0, 0
	s_delay_alu instid0(VALU_DEP_3) | instskip(NEXT) | instid1(VALU_DEP_1)
	v_bfi_b32 v36, v36, 0, v2
	v_cmp_eq_u64_e64 s13, v[36:37], v[38:39]
	v_lshrrev_b64 v[36:37], v0, v[2:3]
	s_delay_alu instid0(VALU_DEP_1)
	v_mov_b64_e32 v[38:39], v[36:37]
	s_and_saveexec_b32 s75, s13
; %bb.8431:                             ;   in Loop: Header=BB6_7947 Depth=3
	v_bfe_u32 v2, v36, 20, 1
	s_delay_alu instid0(VALU_DEP_1) | instskip(NEXT) | instid1(VALU_DEP_1)
	v_add_nc_u64_e32 v[38:39], v[36:37], v[2:3]
	v_add_nc_u64_e32 v[38:39], -1, v[38:39]
; %bb.8432:                             ;   in Loop: Header=BB6_7947 Depth=3
	s_or_b32 exec_lo, exec_lo, s75
	v_add_nc_u32_e32 v2, 0xffffff81, v31
	v_lshrrev_b32_e32 v31, 23, v36
	s_mov_b32 s13, exec_lo
	s_delay_alu instid0(VALU_DEP_2) | instskip(NEXT) | instid1(VALU_DEP_1)
	v_cndmask_b32_e64 v2, v2, 0xffffff82, vcc_lo
	v_add3_u32 v39, v0, v2, v31
	v_and_b32_e32 v0, 0xfffff, v38
	s_delay_alu instid0(VALU_DEP_1) | instskip(NEXT) | instid1(VALU_DEP_1)
	v_dual_add_nc_u32 v31, 6, v39 :: v_dual_add_nc_u32 v2, v0, v36
                                        ; implicit-def: $vgpr36_vgpr37
                                        ; implicit-def: $vgpr0
	v_cmpx_ne_u32_e32 0, v31
	s_xor_b32 s13, exec_lo, s13
; %bb.8433:                             ;   in Loop: Header=BB6_7947 Depth=3
	s_delay_alu instid0(VALU_DEP_2) | instskip(SKIP_1) | instid1(VALU_DEP_1)
	v_cmp_lt_u64_e32 vcc_lo, 0xffffff, v[2:3]
	v_add_nc_u32_e32 v0, 7, v39
	v_cndmask_b32_e32 v0, v31, v0, vcc_lo
	v_cndmask_b32_e64 v31, 0, 1, vcc_lo
	s_delay_alu instid0(VALU_DEP_1)
	v_lshrrev_b64 v[36:37], v31, v[2:3]
; %bb.8434:                             ;   in Loop: Header=BB6_7947 Depth=3
	s_and_not1_saveexec_b32 s13, s13
; %bb.8435:                             ;   in Loop: Header=BB6_7947 Depth=3
	v_mov_b64_e32 v[36:37], v[2:3]
	v_bfe_u32 v0, v2, 23, 1
; %bb.8436:                             ;   in Loop: Header=BB6_7947 Depth=3
	s_or_b32 exec_lo, exec_lo, s13
	s_delay_alu instid0(VALU_DEP_2) | instskip(NEXT) | instid1(VALU_DEP_2)
	v_lshrrev_b64 v[36:37], 20, v[36:37]
	v_cmp_gt_i32_e32 vcc_lo, 16, v0
	v_min_i32_e32 v2, 15, v0
	v_cmp_eq_u32_e64 s13, 0, v0
	s_delay_alu instid0(VALU_DEP_2) | instskip(SKIP_1) | instid1(VALU_DEP_2)
	v_dual_cndmask_b32 v37, 0, v37 :: v_dual_lshlrev_b32 v2, 3, v2
	v_cndmask_b32_e32 v36, 7, v36, vcc_lo
	v_and_b32_e32 v2, 0xf8, v2
	s_delay_alu instid0(VALU_DEP_2) | instskip(NEXT) | instid1(VALU_DEP_2)
	v_cmp_eq_u64_e32 vcc_lo, 0, v[36:37]
	v_and_or_b32 v0, v36, 7, v2
	s_and_b32 s13, s13, vcc_lo
	s_delay_alu instid0(VALU_DEP_1) | instid1(SALU_CYCLE_1)
	v_cndmask_b32_e64 v0, v0, 0, s13
	s_delay_alu instid0(VALU_DEP_1)
	v_or_b32_e32 v49, v0, v1
.LBB6_8437:                             ;   in Loop: Header=BB6_7947 Depth=3
	s_or_b32 exec_lo, exec_lo, s74
                                        ; implicit-def: $vgpr1
.LBB6_8438:                             ;   in Loop: Header=BB6_7947 Depth=3
	s_and_not1_saveexec_b32 s13, s45
; %bb.8439:                             ;   in Loop: Header=BB6_7947 Depth=3
	v_or_b32_e32 v49, 0x7e, v1
; %bb.8440:                             ;   in Loop: Header=BB6_7947 Depth=3
	s_or_b32 exec_lo, exec_lo, s13
                                        ; implicit-def: $vgpr1
.LBB6_8441:                             ;   in Loop: Header=BB6_7947 Depth=3
	s_and_not1_saveexec_b32 s13, s44
; %bb.8442:                             ;   in Loop: Header=BB6_7947 Depth=3
	v_or_b32_e32 v49, 0x7f, v1
; %bb.8443:                             ;   in Loop: Header=BB6_7947 Depth=3
	s_or_b32 exec_lo, exec_lo, s13
	v_and_b32_e32 v0, 0xff, v32
	v_dual_mov_b32 v1, 0 :: v_dual_mov_b32 v2, 0
	s_mov_b32 s13, exec_lo
	s_delay_alu instid0(VALU_DEP_2)
	v_cmpx_ne_u16_e32 0, v0
	s_cbranch_execz .LBB6_8449
; %bb.8444:                             ;   in Loop: Header=BB6_7947 Depth=3
	v_bfrev_b32_e32 v2, 1
	s_mov_b32 s44, exec_lo
	v_cmpx_ne_u16_e32 0x80, v0
	s_cbranch_execz .LBB6_8448
; %bb.8445:                             ;   in Loop: Header=BB6_7947 Depth=3
	v_and_b32_e32 v0, 0x7f, v32
	v_mov_b32_e32 v2, 0x7f800001
	s_mov_b32 s45, exec_lo
	s_delay_alu instid0(VALU_DEP_2)
	v_cmpx_ne_u32_e32 0x7f, v0
	s_cbranch_execz .LBB6_8447
; %bb.8446:                             ;   in Loop: Header=BB6_7947 Depth=3
	v_and_b32_e32 v2, 7, v32
	v_lshrrev_b32_e32 v31, 3, v0
	v_cmp_gt_u32_e32 vcc_lo, 8, v0
	s_delay_alu instid0(VALU_DEP_3) | instskip(NEXT) | instid1(VALU_DEP_1)
	v_clz_i32_u32_e32 v0, v2
	v_min_u32_e32 v0, 32, v0
	s_delay_alu instid0(VALU_DEP_1) | instskip(NEXT) | instid1(VALU_DEP_1)
	v_subrev_nc_u32_e32 v2, 28, v0
	v_dual_sub_nc_u32 v0, 29, v0 :: v_dual_cndmask_b32 v2, 0, v2, vcc_lo
	s_delay_alu instid0(VALU_DEP_1) | instskip(SKIP_1) | instid1(VALU_DEP_3)
	v_cndmask_b32_e32 v0, v31, v0, vcc_lo
	v_lshlrev_b32_e32 v31, 24, v32
	v_lshlrev_b64_e32 v[36:37], v2, v[32:33]
	s_delay_alu instid0(VALU_DEP_3) | instskip(NEXT) | instid1(VALU_DEP_3)
	v_lshl_add_u32 v0, v0, 23, 0x3c000000
	v_and_b32_e32 v31, 0x80000000, v31
	s_delay_alu instid0(VALU_DEP_3) | instskip(NEXT) | instid1(VALU_DEP_1)
	v_lshlrev_b32_e32 v2, 20, v36
	v_and_b32_e32 v2, 0x700000, v2
	s_delay_alu instid0(VALU_DEP_1)
	v_or3_b32 v2, v2, v31, v0
.LBB6_8447:                             ;   in Loop: Header=BB6_7947 Depth=3
	s_or_b32 exec_lo, exec_lo, s45
.LBB6_8448:                             ;   in Loop: Header=BB6_7947 Depth=3
	s_delay_alu instid0(SALU_CYCLE_1)
	s_or_b32 exec_lo, exec_lo, s44
.LBB6_8449:                             ;   in Loop: Header=BB6_7947 Depth=3
	s_delay_alu instid0(SALU_CYCLE_1) | instskip(SKIP_3) | instid1(VALU_DEP_1)
	s_or_b32 exec_lo, exec_lo, s13
	s_wait_loadcnt 0x2
	v_and_b32_e32 v0, 0xff, v24
	s_mov_b32 s13, exec_lo
	v_cmpx_ne_u16_e32 0, v0
	s_cbranch_execz .LBB6_8455
; %bb.8450:                             ;   in Loop: Header=BB6_7947 Depth=3
	v_bfrev_b32_e32 v1, 1
	s_mov_b32 s44, exec_lo
	v_cmpx_ne_u16_e32 0x80, v0
	s_cbranch_execz .LBB6_8454
; %bb.8451:                             ;   in Loop: Header=BB6_7947 Depth=3
	v_and_b32_e32 v0, 0x7f, v24
	v_mov_b32_e32 v1, 0x7f800001
	s_mov_b32 s45, exec_lo
	s_delay_alu instid0(VALU_DEP_2)
	v_cmpx_ne_u32_e32 0x7f, v0
	s_cbranch_execz .LBB6_8453
; %bb.8452:                             ;   in Loop: Header=BB6_7947 Depth=3
	v_and_b32_e32 v1, 7, v24
	v_lshrrev_b32_e32 v31, 3, v0
	v_cmp_gt_u32_e32 vcc_lo, 8, v0
	s_delay_alu instid0(VALU_DEP_3) | instskip(NEXT) | instid1(VALU_DEP_1)
	v_clz_i32_u32_e32 v0, v1
	v_min_u32_e32 v0, 32, v0
	s_delay_alu instid0(VALU_DEP_1) | instskip(SKIP_1) | instid1(VALU_DEP_1)
	v_subrev_nc_u32_e32 v1, 28, v0
	v_sub_nc_u32_e32 v0, 29, v0
	v_dual_cndmask_b32 v31, v31, v0 :: v_dual_cndmask_b32 v0, 0, v1
	s_delay_alu instid0(VALU_DEP_1) | instskip(NEXT) | instid1(VALU_DEP_2)
	v_lshl_add_u32 v31, v31, 23, 0x3c000000
	v_lshlrev_b64_e32 v[0:1], v0, v[24:25]
	v_lshlrev_b32_e32 v1, 24, v24
	s_delay_alu instid0(VALU_DEP_1) | instskip(NEXT) | instid1(VALU_DEP_3)
	v_and_b32_e32 v1, 0x80000000, v1
	v_lshlrev_b32_e32 v0, 20, v0
	s_delay_alu instid0(VALU_DEP_1) | instskip(NEXT) | instid1(VALU_DEP_1)
	v_and_b32_e32 v0, 0x700000, v0
	v_or3_b32 v1, v0, v1, v31
.LBB6_8453:                             ;   in Loop: Header=BB6_7947 Depth=3
	s_or_b32 exec_lo, exec_lo, s45
.LBB6_8454:                             ;   in Loop: Header=BB6_7947 Depth=3
	s_delay_alu instid0(SALU_CYCLE_1)
	s_or_b32 exec_lo, exec_lo, s44
.LBB6_8455:                             ;   in Loop: Header=BB6_7947 Depth=3
	s_delay_alu instid0(SALU_CYCLE_1) | instskip(NEXT) | instid1(VALU_DEP_1)
	s_or_b32 exec_lo, exec_lo, s13
	v_add_f32_e32 v0, v2, v1
                                        ; implicit-def: $vgpr50
	s_mov_b32 s13, exec_lo
	s_delay_alu instid0(VALU_DEP_1) | instskip(SKIP_1) | instid1(VALU_DEP_2)
	v_and_b32_e32 v2, 0x7f800000, v0
	v_lshrrev_b32_e32 v1, 24, v0
	v_cmpx_ne_u64_e32 0x7f800000, v[2:3]
	s_xor_b32 s44, exec_lo, s13
	s_cbranch_execz .LBB6_8469
; %bb.8456:                             ;   in Loop: Header=BB6_7947 Depth=3
	v_and_b32_e32 v2, 0x7fffffff, v0
	v_and_b32_e32 v1, 0x80, v1
                                        ; implicit-def: $vgpr50
	s_mov_b32 s13, exec_lo
	s_delay_alu instid0(VALU_DEP_2)
	v_cmpx_gt_u64_e32 0x43e00001, v[2:3]
	s_xor_b32 s45, exec_lo, s13
	s_cbranch_execz .LBB6_8466
; %bb.8457:                             ;   in Loop: Header=BB6_7947 Depth=3
	v_mov_b32_e32 v50, 0
	s_mov_b32 s74, exec_lo
	v_cmpx_ne_u32_e32 0, v0
	s_cbranch_execz .LBB6_8465
; %bb.8458:                             ;   in Loop: Header=BB6_7947 Depth=3
	v_bfe_u32 v31, v0, 23, 8
	v_and_b32_e32 v2, 0x7fffff, v0
	s_delay_alu instid0(VALU_DEP_2) | instskip(SKIP_2) | instid1(VALU_DEP_4)
	v_cmp_gt_u32_e64 s13, 0x7a, v31
	v_sub_nc_u32_e32 v0, 0x79, v31
	v_cmp_eq_u32_e32 vcc_lo, 0, v31
	v_or_b32_e32 v36, 0x800000, v2
	s_delay_alu instid0(VALU_DEP_1) | instskip(NEXT) | instid1(VALU_DEP_1)
	v_dual_cndmask_b32 v0, 0, v0, s13 :: v_dual_cndmask_b32 v2, v36, v2, vcc_lo
	v_cndmask_b32_e64 v0, v0, 0x78, vcc_lo
	s_delay_alu instid0(VALU_DEP_1) | instskip(NEXT) | instid1(VALU_DEP_1)
	v_dual_add_nc_u32 v36, 20, v0 :: v_dual_add_nc_u32 v38, 19, v0
	v_lshlrev_b64_e64 v[36:37], v36, -1
	s_delay_alu instid0(VALU_DEP_2) | instskip(NEXT) | instid1(VALU_DEP_2)
	v_lshlrev_b64_e64 v[38:39], v38, 1
	v_bfi_b32 v37, v37, 0, 0
	s_delay_alu instid0(VALU_DEP_3) | instskip(NEXT) | instid1(VALU_DEP_1)
	v_bfi_b32 v36, v36, 0, v2
	v_cmp_eq_u64_e64 s13, v[36:37], v[38:39]
	v_lshrrev_b64 v[36:37], v0, v[2:3]
	s_delay_alu instid0(VALU_DEP_1)
	v_mov_b64_e32 v[38:39], v[36:37]
	s_and_saveexec_b32 s75, s13
; %bb.8459:                             ;   in Loop: Header=BB6_7947 Depth=3
	v_bfe_u32 v2, v36, 20, 1
	s_delay_alu instid0(VALU_DEP_1) | instskip(NEXT) | instid1(VALU_DEP_1)
	v_add_nc_u64_e32 v[38:39], v[36:37], v[2:3]
	v_add_nc_u64_e32 v[38:39], -1, v[38:39]
; %bb.8460:                             ;   in Loop: Header=BB6_7947 Depth=3
	s_or_b32 exec_lo, exec_lo, s75
	v_add_nc_u32_e32 v2, 0xffffff81, v31
	v_lshrrev_b32_e32 v31, 23, v36
	s_mov_b32 s13, exec_lo
	s_delay_alu instid0(VALU_DEP_2) | instskip(NEXT) | instid1(VALU_DEP_1)
	v_cndmask_b32_e64 v2, v2, 0xffffff82, vcc_lo
	v_add3_u32 v39, v0, v2, v31
	v_and_b32_e32 v0, 0xfffff, v38
	s_delay_alu instid0(VALU_DEP_1) | instskip(NEXT) | instid1(VALU_DEP_1)
	v_dual_add_nc_u32 v31, 6, v39 :: v_dual_add_nc_u32 v2, v0, v36
                                        ; implicit-def: $vgpr36_vgpr37
                                        ; implicit-def: $vgpr0
	v_cmpx_ne_u32_e32 0, v31
	s_xor_b32 s13, exec_lo, s13
; %bb.8461:                             ;   in Loop: Header=BB6_7947 Depth=3
	s_delay_alu instid0(VALU_DEP_2) | instskip(SKIP_1) | instid1(VALU_DEP_1)
	v_cmp_lt_u64_e32 vcc_lo, 0xffffff, v[2:3]
	v_add_nc_u32_e32 v0, 7, v39
	v_cndmask_b32_e32 v0, v31, v0, vcc_lo
	v_cndmask_b32_e64 v31, 0, 1, vcc_lo
	s_delay_alu instid0(VALU_DEP_1)
	v_lshrrev_b64 v[36:37], v31, v[2:3]
; %bb.8462:                             ;   in Loop: Header=BB6_7947 Depth=3
	s_and_not1_saveexec_b32 s13, s13
; %bb.8463:                             ;   in Loop: Header=BB6_7947 Depth=3
	v_mov_b64_e32 v[36:37], v[2:3]
	v_bfe_u32 v0, v2, 23, 1
; %bb.8464:                             ;   in Loop: Header=BB6_7947 Depth=3
	s_or_b32 exec_lo, exec_lo, s13
	s_delay_alu instid0(VALU_DEP_2) | instskip(NEXT) | instid1(VALU_DEP_2)
	v_lshrrev_b64 v[36:37], 20, v[36:37]
	v_cmp_gt_i32_e32 vcc_lo, 16, v0
	v_min_i32_e32 v2, 15, v0
	v_cmp_eq_u32_e64 s13, 0, v0
	s_delay_alu instid0(VALU_DEP_2) | instskip(SKIP_1) | instid1(VALU_DEP_2)
	v_dual_cndmask_b32 v37, 0, v37 :: v_dual_lshlrev_b32 v2, 3, v2
	v_cndmask_b32_e32 v36, 7, v36, vcc_lo
	v_and_b32_e32 v2, 0xf8, v2
	s_delay_alu instid0(VALU_DEP_2) | instskip(NEXT) | instid1(VALU_DEP_2)
	v_cmp_eq_u64_e32 vcc_lo, 0, v[36:37]
	v_and_or_b32 v0, v36, 7, v2
	s_and_b32 s13, s13, vcc_lo
	s_delay_alu instid0(VALU_DEP_1) | instid1(SALU_CYCLE_1)
	v_cndmask_b32_e64 v0, v0, 0, s13
	s_delay_alu instid0(VALU_DEP_1)
	v_or_b32_e32 v50, v0, v1
.LBB6_8465:                             ;   in Loop: Header=BB6_7947 Depth=3
	s_or_b32 exec_lo, exec_lo, s74
                                        ; implicit-def: $vgpr1
.LBB6_8466:                             ;   in Loop: Header=BB6_7947 Depth=3
	s_and_not1_saveexec_b32 s13, s45
; %bb.8467:                             ;   in Loop: Header=BB6_7947 Depth=3
	v_or_b32_e32 v50, 0x7e, v1
; %bb.8468:                             ;   in Loop: Header=BB6_7947 Depth=3
	s_or_b32 exec_lo, exec_lo, s13
                                        ; implicit-def: $vgpr1
.LBB6_8469:                             ;   in Loop: Header=BB6_7947 Depth=3
	s_and_not1_saveexec_b32 s13, s44
; %bb.8470:                             ;   in Loop: Header=BB6_7947 Depth=3
	v_or_b32_e32 v50, 0x7f, v1
; %bb.8471:                             ;   in Loop: Header=BB6_7947 Depth=3
	s_or_b32 exec_lo, exec_lo, s13
	v_lshrrev_b16 v0, 8, v32
	v_dual_mov_b32 v1, 0 :: v_dual_mov_b32 v31, 0
	s_mov_b32 s13, exec_lo
	s_delay_alu instid0(VALU_DEP_2)
	v_cmpx_ne_u16_e32 0, v0
	s_cbranch_execz .LBB6_8479
; %bb.8472:                             ;   in Loop: Header=BB6_7947 Depth=3
	v_bfrev_b32_e32 v31, 1
	s_mov_b32 s44, exec_lo
	v_cmpx_ne_u16_e32 0x80, v0
	s_cbranch_execz .LBB6_8478
; %bb.8473:                             ;   in Loop: Header=BB6_7947 Depth=3
	v_and_b32_e32 v0, 0xffff, v0
	v_mov_b32_e32 v31, 0x7f800001
	s_mov_b32 s45, exec_lo
	s_delay_alu instid0(VALU_DEP_2) | instskip(NEXT) | instid1(VALU_DEP_1)
	v_and_b32_e32 v36, 0x7f, v0
	v_cmpx_ne_u32_e32 0x7f, v36
	s_cbranch_execz .LBB6_8477
; %bb.8474:                             ;   in Loop: Header=BB6_7947 Depth=3
	v_and_b32_e32 v2, 7, v0
	v_lshrrev_b32_e32 v0, 3, v36
	v_cmp_gt_u32_e32 vcc_lo, 8, v36
	s_delay_alu instid0(VALU_DEP_3)
	v_mov_b64_e32 v[36:37], v[2:3]
	s_and_saveexec_b32 s74, vcc_lo
; %bb.8475:                             ;   in Loop: Header=BB6_7947 Depth=3
	v_clz_i32_u32_e32 v0, v2
	s_delay_alu instid0(VALU_DEP_1) | instskip(NEXT) | instid1(VALU_DEP_1)
	v_min_u32_e32 v0, 32, v0
	v_subrev_nc_u32_e32 v31, 28, v0
	v_sub_nc_u32_e32 v0, 29, v0
	s_delay_alu instid0(VALU_DEP_2) | instskip(NEXT) | instid1(VALU_DEP_1)
	v_lshlrev_b64_e32 v[36:37], v31, v[2:3]
	v_and_b32_e32 v36, 7, v36
; %bb.8476:                             ;   in Loop: Header=BB6_7947 Depth=3
	s_or_b32 exec_lo, exec_lo, s74
	v_lshlrev_b32_e32 v2, 16, v32
	s_delay_alu instid0(VALU_DEP_2) | instskip(SKIP_1) | instid1(VALU_DEP_3)
	v_lshlrev_b32_e32 v31, 20, v36
	v_lshl_add_u32 v0, v0, 23, 0x3c000000
	v_and_b32_e32 v2, 0x80000000, v2
	s_delay_alu instid0(VALU_DEP_1)
	v_or3_b32 v31, v31, v2, v0
.LBB6_8477:                             ;   in Loop: Header=BB6_7947 Depth=3
	s_or_b32 exec_lo, exec_lo, s45
.LBB6_8478:                             ;   in Loop: Header=BB6_7947 Depth=3
	s_delay_alu instid0(SALU_CYCLE_1)
	s_or_b32 exec_lo, exec_lo, s44
.LBB6_8479:                             ;   in Loop: Header=BB6_7947 Depth=3
	s_delay_alu instid0(SALU_CYCLE_1) | instskip(SKIP_2) | instid1(VALU_DEP_1)
	s_or_b32 exec_lo, exec_lo, s13
	v_lshrrev_b16 v0, 8, v24
	s_mov_b32 s13, exec_lo
	v_cmpx_ne_u16_e32 0, v0
	s_cbranch_execz .LBB6_8487
; %bb.8480:                             ;   in Loop: Header=BB6_7947 Depth=3
	v_bfrev_b32_e32 v1, 1
	s_mov_b32 s44, exec_lo
	v_cmpx_ne_u16_e32 0x80, v0
	s_cbranch_execz .LBB6_8486
; %bb.8481:                             ;   in Loop: Header=BB6_7947 Depth=3
	v_and_b32_e32 v0, 0xffff, v0
	v_mov_b32_e32 v1, 0x7f800001
	s_mov_b32 s45, exec_lo
	s_delay_alu instid0(VALU_DEP_2) | instskip(NEXT) | instid1(VALU_DEP_1)
	v_and_b32_e32 v36, 0x7f, v0
	v_cmpx_ne_u32_e32 0x7f, v36
	s_cbranch_execz .LBB6_8485
; %bb.8482:                             ;   in Loop: Header=BB6_7947 Depth=3
	v_and_b32_e32 v2, 7, v0
	v_lshrrev_b32_e32 v0, 3, v36
	v_cmp_gt_u32_e32 vcc_lo, 8, v36
	s_delay_alu instid0(VALU_DEP_3)
	v_mov_b64_e32 v[36:37], v[2:3]
	s_and_saveexec_b32 s74, vcc_lo
; %bb.8483:                             ;   in Loop: Header=BB6_7947 Depth=3
	v_clz_i32_u32_e32 v0, v2
	s_delay_alu instid0(VALU_DEP_1) | instskip(NEXT) | instid1(VALU_DEP_1)
	v_min_u32_e32 v0, 32, v0
	v_subrev_nc_u32_e32 v1, 28, v0
	v_sub_nc_u32_e32 v0, 29, v0
	s_delay_alu instid0(VALU_DEP_2) | instskip(NEXT) | instid1(VALU_DEP_1)
	v_lshlrev_b64_e32 v[36:37], v1, v[2:3]
	v_and_b32_e32 v36, 7, v36
; %bb.8484:                             ;   in Loop: Header=BB6_7947 Depth=3
	s_or_b32 exec_lo, exec_lo, s74
	v_lshlrev_b32_e32 v1, 16, v24
	s_delay_alu instid0(VALU_DEP_2) | instskip(SKIP_1) | instid1(VALU_DEP_3)
	v_lshlrev_b32_e32 v2, 20, v36
	v_lshl_add_u32 v0, v0, 23, 0x3c000000
	v_and_b32_e32 v1, 0x80000000, v1
	s_delay_alu instid0(VALU_DEP_1)
	v_or3_b32 v1, v2, v1, v0
.LBB6_8485:                             ;   in Loop: Header=BB6_7947 Depth=3
	s_or_b32 exec_lo, exec_lo, s45
.LBB6_8486:                             ;   in Loop: Header=BB6_7947 Depth=3
	s_delay_alu instid0(SALU_CYCLE_1)
	s_or_b32 exec_lo, exec_lo, s44
.LBB6_8487:                             ;   in Loop: Header=BB6_7947 Depth=3
	s_delay_alu instid0(SALU_CYCLE_1) | instskip(NEXT) | instid1(VALU_DEP_1)
	s_or_b32 exec_lo, exec_lo, s13
	v_add_f32_e32 v0, v31, v1
                                        ; implicit-def: $vgpr51
	s_mov_b32 s13, exec_lo
	s_delay_alu instid0(VALU_DEP_1) | instskip(SKIP_1) | instid1(VALU_DEP_2)
	v_and_b32_e32 v2, 0x7f800000, v0
	v_lshrrev_b32_e32 v1, 24, v0
	v_cmpx_ne_u64_e32 0x7f800000, v[2:3]
	s_xor_b32 s44, exec_lo, s13
	s_cbranch_execz .LBB6_8501
; %bb.8488:                             ;   in Loop: Header=BB6_7947 Depth=3
	v_and_b32_e32 v2, 0x7fffffff, v0
	v_and_b32_e32 v1, 0x80, v1
                                        ; implicit-def: $vgpr51
	s_mov_b32 s13, exec_lo
	s_delay_alu instid0(VALU_DEP_2)
	v_cmpx_gt_u64_e32 0x43e00001, v[2:3]
	s_xor_b32 s45, exec_lo, s13
	s_cbranch_execz .LBB6_8498
; %bb.8489:                             ;   in Loop: Header=BB6_7947 Depth=3
	v_mov_b32_e32 v51, 0
	s_mov_b32 s74, exec_lo
	v_cmpx_ne_u32_e32 0, v0
	s_cbranch_execz .LBB6_8497
; %bb.8490:                             ;   in Loop: Header=BB6_7947 Depth=3
	v_bfe_u32 v31, v0, 23, 8
	v_and_b32_e32 v2, 0x7fffff, v0
	s_delay_alu instid0(VALU_DEP_2) | instskip(SKIP_2) | instid1(VALU_DEP_4)
	v_cmp_gt_u32_e64 s13, 0x7a, v31
	v_sub_nc_u32_e32 v0, 0x79, v31
	v_cmp_eq_u32_e32 vcc_lo, 0, v31
	v_or_b32_e32 v36, 0x800000, v2
	s_delay_alu instid0(VALU_DEP_1) | instskip(NEXT) | instid1(VALU_DEP_1)
	v_dual_cndmask_b32 v0, 0, v0, s13 :: v_dual_cndmask_b32 v2, v36, v2, vcc_lo
	v_cndmask_b32_e64 v0, v0, 0x78, vcc_lo
	s_delay_alu instid0(VALU_DEP_1) | instskip(NEXT) | instid1(VALU_DEP_1)
	v_dual_add_nc_u32 v36, 20, v0 :: v_dual_add_nc_u32 v38, 19, v0
	v_lshlrev_b64_e64 v[36:37], v36, -1
	s_delay_alu instid0(VALU_DEP_2) | instskip(NEXT) | instid1(VALU_DEP_2)
	v_lshlrev_b64_e64 v[38:39], v38, 1
	v_bfi_b32 v37, v37, 0, 0
	s_delay_alu instid0(VALU_DEP_3) | instskip(NEXT) | instid1(VALU_DEP_1)
	v_bfi_b32 v36, v36, 0, v2
	v_cmp_eq_u64_e64 s13, v[36:37], v[38:39]
	v_lshrrev_b64 v[36:37], v0, v[2:3]
	s_delay_alu instid0(VALU_DEP_1)
	v_mov_b64_e32 v[38:39], v[36:37]
	s_and_saveexec_b32 s75, s13
; %bb.8491:                             ;   in Loop: Header=BB6_7947 Depth=3
	v_bfe_u32 v2, v36, 20, 1
	s_delay_alu instid0(VALU_DEP_1) | instskip(NEXT) | instid1(VALU_DEP_1)
	v_add_nc_u64_e32 v[38:39], v[36:37], v[2:3]
	v_add_nc_u64_e32 v[38:39], -1, v[38:39]
; %bb.8492:                             ;   in Loop: Header=BB6_7947 Depth=3
	s_or_b32 exec_lo, exec_lo, s75
	v_add_nc_u32_e32 v2, 0xffffff81, v31
	v_lshrrev_b32_e32 v31, 23, v36
	s_mov_b32 s13, exec_lo
	s_delay_alu instid0(VALU_DEP_2) | instskip(NEXT) | instid1(VALU_DEP_1)
	v_cndmask_b32_e64 v2, v2, 0xffffff82, vcc_lo
	v_add3_u32 v39, v0, v2, v31
	v_and_b32_e32 v0, 0xfffff, v38
	s_delay_alu instid0(VALU_DEP_1) | instskip(NEXT) | instid1(VALU_DEP_1)
	v_dual_add_nc_u32 v31, 6, v39 :: v_dual_add_nc_u32 v2, v0, v36
                                        ; implicit-def: $vgpr36_vgpr37
                                        ; implicit-def: $vgpr0
	v_cmpx_ne_u32_e32 0, v31
	s_xor_b32 s13, exec_lo, s13
; %bb.8493:                             ;   in Loop: Header=BB6_7947 Depth=3
	s_delay_alu instid0(VALU_DEP_2) | instskip(SKIP_1) | instid1(VALU_DEP_1)
	v_cmp_lt_u64_e32 vcc_lo, 0xffffff, v[2:3]
	v_add_nc_u32_e32 v0, 7, v39
	v_cndmask_b32_e32 v0, v31, v0, vcc_lo
	v_cndmask_b32_e64 v31, 0, 1, vcc_lo
	s_delay_alu instid0(VALU_DEP_1)
	v_lshrrev_b64 v[36:37], v31, v[2:3]
; %bb.8494:                             ;   in Loop: Header=BB6_7947 Depth=3
	s_and_not1_saveexec_b32 s13, s13
; %bb.8495:                             ;   in Loop: Header=BB6_7947 Depth=3
	v_mov_b64_e32 v[36:37], v[2:3]
	v_bfe_u32 v0, v2, 23, 1
; %bb.8496:                             ;   in Loop: Header=BB6_7947 Depth=3
	s_or_b32 exec_lo, exec_lo, s13
	s_delay_alu instid0(VALU_DEP_2) | instskip(NEXT) | instid1(VALU_DEP_2)
	v_lshrrev_b64 v[36:37], 20, v[36:37]
	v_cmp_gt_i32_e32 vcc_lo, 16, v0
	v_min_i32_e32 v2, 15, v0
	v_cmp_eq_u32_e64 s13, 0, v0
	s_delay_alu instid0(VALU_DEP_2) | instskip(SKIP_1) | instid1(VALU_DEP_2)
	v_dual_cndmask_b32 v37, 0, v37 :: v_dual_lshlrev_b32 v2, 3, v2
	v_cndmask_b32_e32 v36, 7, v36, vcc_lo
	v_and_b32_e32 v2, 0xf8, v2
	s_delay_alu instid0(VALU_DEP_2) | instskip(NEXT) | instid1(VALU_DEP_2)
	v_cmp_eq_u64_e32 vcc_lo, 0, v[36:37]
	v_and_or_b32 v0, v36, 7, v2
	s_and_b32 s13, s13, vcc_lo
	s_delay_alu instid0(VALU_DEP_1) | instid1(SALU_CYCLE_1)
	v_cndmask_b32_e64 v0, v0, 0, s13
	s_delay_alu instid0(VALU_DEP_1)
	v_or_b32_e32 v51, v0, v1
.LBB6_8497:                             ;   in Loop: Header=BB6_7947 Depth=3
	s_or_b32 exec_lo, exec_lo, s74
                                        ; implicit-def: $vgpr1
.LBB6_8498:                             ;   in Loop: Header=BB6_7947 Depth=3
	s_and_not1_saveexec_b32 s13, s45
; %bb.8499:                             ;   in Loop: Header=BB6_7947 Depth=3
	v_or_b32_e32 v51, 0x7e, v1
; %bb.8500:                             ;   in Loop: Header=BB6_7947 Depth=3
	s_or_b32 exec_lo, exec_lo, s13
                                        ; implicit-def: $vgpr1
.LBB6_8501:                             ;   in Loop: Header=BB6_7947 Depth=3
	s_and_not1_saveexec_b32 s13, s44
; %bb.8502:                             ;   in Loop: Header=BB6_7947 Depth=3
	v_or_b32_e32 v51, 0x7f, v1
; %bb.8503:                             ;   in Loop: Header=BB6_7947 Depth=3
	s_or_b32 exec_lo, exec_lo, s13
	v_dual_mov_b32 v1, 0 :: v_dual_lshrrev_b32 v0, 16, v32
	v_mov_b32_e32 v31, 0
	s_mov_b32 s13, exec_lo
	s_delay_alu instid0(VALU_DEP_2) | instskip(NEXT) | instid1(VALU_DEP_1)
	v_and_b32_e32 v2, 0xff, v0
	v_cmpx_ne_u16_e32 0, v2
	s_cbranch_execz .LBB6_8511
; %bb.8504:                             ;   in Loop: Header=BB6_7947 Depth=3
	v_bfrev_b32_e32 v31, 1
	s_mov_b32 s44, exec_lo
	v_cmpx_ne_u16_e32 0x80, v2
	s_cbranch_execz .LBB6_8510
; %bb.8505:                             ;   in Loop: Header=BB6_7947 Depth=3
	v_bfe_u32 v36, v32, 16, 7
	v_mov_b32_e32 v31, 0x7f800001
	s_mov_b32 s45, exec_lo
	s_delay_alu instid0(VALU_DEP_2)
	v_cmpx_ne_u32_e32 0x7f, v36
	s_cbranch_execz .LBB6_8509
; %bb.8506:                             ;   in Loop: Header=BB6_7947 Depth=3
	v_and_b32_e32 v2, 7, v0
	v_lshrrev_b32_e32 v31, 3, v36
	v_cmp_gt_u32_e32 vcc_lo, 8, v36
	s_delay_alu instid0(VALU_DEP_3)
	v_mov_b64_e32 v[36:37], v[2:3]
	s_and_saveexec_b32 s74, vcc_lo
; %bb.8507:                             ;   in Loop: Header=BB6_7947 Depth=3
	v_clz_i32_u32_e32 v31, v2
	s_delay_alu instid0(VALU_DEP_1) | instskip(NEXT) | instid1(VALU_DEP_1)
	v_min_u32_e32 v31, 32, v31
	v_subrev_nc_u32_e32 v36, 28, v31
	s_delay_alu instid0(VALU_DEP_1) | instskip(NEXT) | instid1(VALU_DEP_1)
	v_lshlrev_b64_e32 v[36:37], v36, v[2:3]
	v_dual_sub_nc_u32 v31, 29, v31 :: v_dual_bitop2_b32 v36, 7, v36 bitop3:0x40
; %bb.8508:                             ;   in Loop: Header=BB6_7947 Depth=3
	s_or_b32 exec_lo, exec_lo, s74
	v_lshlrev_b32_e32 v0, 24, v0
	s_delay_alu instid0(VALU_DEP_2) | instskip(NEXT) | instid1(VALU_DEP_3)
	v_lshlrev_b32_e32 v2, 20, v36
	v_lshl_add_u32 v31, v31, 23, 0x3c000000
	s_delay_alu instid0(VALU_DEP_3) | instskip(NEXT) | instid1(VALU_DEP_1)
	v_and_b32_e32 v0, 0x80000000, v0
	v_or3_b32 v31, v2, v0, v31
.LBB6_8509:                             ;   in Loop: Header=BB6_7947 Depth=3
	s_or_b32 exec_lo, exec_lo, s45
.LBB6_8510:                             ;   in Loop: Header=BB6_7947 Depth=3
	s_delay_alu instid0(SALU_CYCLE_1)
	s_or_b32 exec_lo, exec_lo, s44
.LBB6_8511:                             ;   in Loop: Header=BB6_7947 Depth=3
	s_delay_alu instid0(SALU_CYCLE_1) | instskip(SKIP_2) | instid1(VALU_DEP_1)
	s_or_b32 exec_lo, exec_lo, s13
	v_lshrrev_b32_e32 v0, 16, v24
	s_mov_b32 s13, exec_lo
	v_and_b32_e32 v2, 0xff, v0
	s_delay_alu instid0(VALU_DEP_1)
	v_cmpx_ne_u16_e32 0, v2
	s_cbranch_execz .LBB6_8519
; %bb.8512:                             ;   in Loop: Header=BB6_7947 Depth=3
	v_bfrev_b32_e32 v1, 1
	s_mov_b32 s44, exec_lo
	v_cmpx_ne_u16_e32 0x80, v2
	s_cbranch_execz .LBB6_8518
; %bb.8513:                             ;   in Loop: Header=BB6_7947 Depth=3
	v_bfe_u32 v36, v24, 16, 7
	v_mov_b32_e32 v1, 0x7f800001
	s_mov_b32 s45, exec_lo
	s_delay_alu instid0(VALU_DEP_2)
	v_cmpx_ne_u32_e32 0x7f, v36
	s_cbranch_execz .LBB6_8517
; %bb.8514:                             ;   in Loop: Header=BB6_7947 Depth=3
	v_and_b32_e32 v2, 7, v0
	v_lshrrev_b32_e32 v0, 3, v36
	v_cmp_gt_u32_e32 vcc_lo, 8, v36
	s_delay_alu instid0(VALU_DEP_3)
	v_mov_b64_e32 v[36:37], v[2:3]
	s_and_saveexec_b32 s74, vcc_lo
; %bb.8515:                             ;   in Loop: Header=BB6_7947 Depth=3
	v_clz_i32_u32_e32 v0, v2
	s_delay_alu instid0(VALU_DEP_1) | instskip(NEXT) | instid1(VALU_DEP_1)
	v_min_u32_e32 v0, 32, v0
	v_subrev_nc_u32_e32 v1, 28, v0
	v_sub_nc_u32_e32 v0, 29, v0
	s_delay_alu instid0(VALU_DEP_2) | instskip(NEXT) | instid1(VALU_DEP_1)
	v_lshlrev_b64_e32 v[36:37], v1, v[2:3]
	v_and_b32_e32 v36, 7, v36
; %bb.8516:                             ;   in Loop: Header=BB6_7947 Depth=3
	s_or_b32 exec_lo, exec_lo, s74
	v_lshlrev_b32_e32 v1, 8, v24
	s_delay_alu instid0(VALU_DEP_2) | instskip(SKIP_1) | instid1(VALU_DEP_3)
	v_lshlrev_b32_e32 v2, 20, v36
	v_lshl_add_u32 v0, v0, 23, 0x3c000000
	v_and_b32_e32 v1, 0x80000000, v1
	s_delay_alu instid0(VALU_DEP_1)
	v_or3_b32 v1, v2, v1, v0
.LBB6_8517:                             ;   in Loop: Header=BB6_7947 Depth=3
	s_or_b32 exec_lo, exec_lo, s45
.LBB6_8518:                             ;   in Loop: Header=BB6_7947 Depth=3
	s_delay_alu instid0(SALU_CYCLE_1)
	s_or_b32 exec_lo, exec_lo, s44
.LBB6_8519:                             ;   in Loop: Header=BB6_7947 Depth=3
	s_delay_alu instid0(SALU_CYCLE_1) | instskip(NEXT) | instid1(VALU_DEP_1)
	s_or_b32 exec_lo, exec_lo, s13
	v_add_f32_e32 v0, v31, v1
                                        ; implicit-def: $vgpr62
	s_mov_b32 s13, exec_lo
	s_delay_alu instid0(VALU_DEP_1) | instskip(SKIP_1) | instid1(VALU_DEP_2)
	v_and_b32_e32 v2, 0x7f800000, v0
	v_lshrrev_b32_e32 v1, 24, v0
	v_cmpx_ne_u64_e32 0x7f800000, v[2:3]
	s_xor_b32 s44, exec_lo, s13
	s_cbranch_execz .LBB6_8533
; %bb.8520:                             ;   in Loop: Header=BB6_7947 Depth=3
	v_and_b32_e32 v2, 0x7fffffff, v0
	v_and_b32_e32 v1, 0x80, v1
                                        ; implicit-def: $vgpr62
	s_mov_b32 s13, exec_lo
	s_delay_alu instid0(VALU_DEP_2)
	v_cmpx_gt_u64_e32 0x43e00001, v[2:3]
	s_xor_b32 s45, exec_lo, s13
	s_cbranch_execz .LBB6_8530
; %bb.8521:                             ;   in Loop: Header=BB6_7947 Depth=3
	v_mov_b32_e32 v62, 0
	s_mov_b32 s74, exec_lo
	v_cmpx_ne_u32_e32 0, v0
	s_cbranch_execz .LBB6_8529
; %bb.8522:                             ;   in Loop: Header=BB6_7947 Depth=3
	v_bfe_u32 v31, v0, 23, 8
	v_and_b32_e32 v2, 0x7fffff, v0
	s_delay_alu instid0(VALU_DEP_2) | instskip(SKIP_2) | instid1(VALU_DEP_4)
	v_cmp_gt_u32_e64 s13, 0x7a, v31
	v_sub_nc_u32_e32 v0, 0x79, v31
	v_cmp_eq_u32_e32 vcc_lo, 0, v31
	v_or_b32_e32 v36, 0x800000, v2
	s_delay_alu instid0(VALU_DEP_1) | instskip(NEXT) | instid1(VALU_DEP_1)
	v_dual_cndmask_b32 v0, 0, v0, s13 :: v_dual_cndmask_b32 v2, v36, v2, vcc_lo
	v_cndmask_b32_e64 v0, v0, 0x78, vcc_lo
	s_delay_alu instid0(VALU_DEP_1) | instskip(NEXT) | instid1(VALU_DEP_1)
	v_dual_add_nc_u32 v36, 20, v0 :: v_dual_add_nc_u32 v38, 19, v0
	v_lshlrev_b64_e64 v[36:37], v36, -1
	s_delay_alu instid0(VALU_DEP_2) | instskip(NEXT) | instid1(VALU_DEP_2)
	v_lshlrev_b64_e64 v[38:39], v38, 1
	v_bfi_b32 v37, v37, 0, 0
	s_delay_alu instid0(VALU_DEP_3) | instskip(NEXT) | instid1(VALU_DEP_1)
	v_bfi_b32 v36, v36, 0, v2
	v_cmp_eq_u64_e64 s13, v[36:37], v[38:39]
	v_lshrrev_b64 v[36:37], v0, v[2:3]
	s_delay_alu instid0(VALU_DEP_1)
	v_mov_b64_e32 v[38:39], v[36:37]
	s_and_saveexec_b32 s75, s13
; %bb.8523:                             ;   in Loop: Header=BB6_7947 Depth=3
	v_bfe_u32 v2, v36, 20, 1
	s_delay_alu instid0(VALU_DEP_1) | instskip(NEXT) | instid1(VALU_DEP_1)
	v_add_nc_u64_e32 v[38:39], v[36:37], v[2:3]
	v_add_nc_u64_e32 v[38:39], -1, v[38:39]
; %bb.8524:                             ;   in Loop: Header=BB6_7947 Depth=3
	s_or_b32 exec_lo, exec_lo, s75
	v_add_nc_u32_e32 v2, 0xffffff81, v31
	v_lshrrev_b32_e32 v31, 23, v36
	s_mov_b32 s13, exec_lo
	s_delay_alu instid0(VALU_DEP_2) | instskip(NEXT) | instid1(VALU_DEP_1)
	v_cndmask_b32_e64 v2, v2, 0xffffff82, vcc_lo
	v_add3_u32 v39, v0, v2, v31
	v_and_b32_e32 v0, 0xfffff, v38
	s_delay_alu instid0(VALU_DEP_1) | instskip(NEXT) | instid1(VALU_DEP_1)
	v_dual_add_nc_u32 v31, 6, v39 :: v_dual_add_nc_u32 v2, v0, v36
                                        ; implicit-def: $vgpr36_vgpr37
                                        ; implicit-def: $vgpr0
	v_cmpx_ne_u32_e32 0, v31
	s_xor_b32 s13, exec_lo, s13
; %bb.8525:                             ;   in Loop: Header=BB6_7947 Depth=3
	s_delay_alu instid0(VALU_DEP_2) | instskip(SKIP_1) | instid1(VALU_DEP_1)
	v_cmp_lt_u64_e32 vcc_lo, 0xffffff, v[2:3]
	v_add_nc_u32_e32 v0, 7, v39
	v_cndmask_b32_e32 v0, v31, v0, vcc_lo
	v_cndmask_b32_e64 v31, 0, 1, vcc_lo
	s_delay_alu instid0(VALU_DEP_1)
	v_lshrrev_b64 v[36:37], v31, v[2:3]
; %bb.8526:                             ;   in Loop: Header=BB6_7947 Depth=3
	s_and_not1_saveexec_b32 s13, s13
; %bb.8527:                             ;   in Loop: Header=BB6_7947 Depth=3
	v_mov_b64_e32 v[36:37], v[2:3]
	v_bfe_u32 v0, v2, 23, 1
; %bb.8528:                             ;   in Loop: Header=BB6_7947 Depth=3
	s_or_b32 exec_lo, exec_lo, s13
	s_delay_alu instid0(VALU_DEP_2) | instskip(NEXT) | instid1(VALU_DEP_2)
	v_lshrrev_b64 v[36:37], 20, v[36:37]
	v_cmp_gt_i32_e32 vcc_lo, 16, v0
	v_min_i32_e32 v2, 15, v0
	v_cmp_eq_u32_e64 s13, 0, v0
	s_delay_alu instid0(VALU_DEP_2) | instskip(SKIP_1) | instid1(VALU_DEP_2)
	v_dual_cndmask_b32 v37, 0, v37 :: v_dual_lshlrev_b32 v2, 3, v2
	v_cndmask_b32_e32 v36, 7, v36, vcc_lo
	v_and_b32_e32 v2, 0xf8, v2
	s_delay_alu instid0(VALU_DEP_2) | instskip(NEXT) | instid1(VALU_DEP_2)
	v_cmp_eq_u64_e32 vcc_lo, 0, v[36:37]
	v_and_or_b32 v0, v36, 7, v2
	s_and_b32 s13, s13, vcc_lo
	s_delay_alu instid0(VALU_DEP_1) | instid1(SALU_CYCLE_1)
	v_cndmask_b32_e64 v0, v0, 0, s13
	s_delay_alu instid0(VALU_DEP_1)
	v_or_b32_e32 v62, v0, v1
.LBB6_8529:                             ;   in Loop: Header=BB6_7947 Depth=3
	s_or_b32 exec_lo, exec_lo, s74
                                        ; implicit-def: $vgpr1
.LBB6_8530:                             ;   in Loop: Header=BB6_7947 Depth=3
	s_and_not1_saveexec_b32 s13, s45
; %bb.8531:                             ;   in Loop: Header=BB6_7947 Depth=3
	v_or_b32_e32 v62, 0x7e, v1
; %bb.8532:                             ;   in Loop: Header=BB6_7947 Depth=3
	s_or_b32 exec_lo, exec_lo, s13
                                        ; implicit-def: $vgpr1
.LBB6_8533:                             ;   in Loop: Header=BB6_7947 Depth=3
	s_and_not1_saveexec_b32 s13, s44
; %bb.8534:                             ;   in Loop: Header=BB6_7947 Depth=3
	v_or_b32_e32 v62, 0x7f, v1
; %bb.8535:                             ;   in Loop: Header=BB6_7947 Depth=3
	s_or_b32 exec_lo, exec_lo, s13
	v_dual_mov_b32 v1, 0 :: v_dual_mov_b32 v31, 0
	s_mov_b32 s13, exec_lo
	v_cmpx_lt_u32_e32 0xffffff, v32
	s_cbranch_execz .LBB6_8543
; %bb.8536:                             ;   in Loop: Header=BB6_7947 Depth=3
	v_lshrrev_b32_e32 v0, 24, v32
	v_bfrev_b32_e32 v31, 1
	s_mov_b32 s44, exec_lo
	s_delay_alu instid0(VALU_DEP_2)
	v_cmpx_ne_u32_e32 0x80, v0
	s_cbranch_execz .LBB6_8542
; %bb.8537:                             ;   in Loop: Header=BB6_7947 Depth=3
	v_bfe_u32 v36, v32, 24, 7
	v_mov_b32_e32 v31, 0x7f800001
	s_mov_b32 s45, exec_lo
	s_delay_alu instid0(VALU_DEP_2)
	v_cmpx_ne_u32_e32 0x7f, v36
	s_cbranch_execz .LBB6_8541
; %bb.8538:                             ;   in Loop: Header=BB6_7947 Depth=3
	v_and_b32_e32 v2, 7, v0
	v_lshrrev_b32_e32 v31, 3, v36
	v_cmp_gt_u32_e32 vcc_lo, 8, v36
	s_delay_alu instid0(VALU_DEP_3)
	v_mov_b64_e32 v[36:37], v[2:3]
	s_and_saveexec_b32 s74, vcc_lo
; %bb.8539:                             ;   in Loop: Header=BB6_7947 Depth=3
	v_clz_i32_u32_e32 v31, v2
	s_delay_alu instid0(VALU_DEP_1) | instskip(NEXT) | instid1(VALU_DEP_1)
	v_min_u32_e32 v31, 32, v31
	v_subrev_nc_u32_e32 v36, 28, v31
	s_delay_alu instid0(VALU_DEP_1) | instskip(NEXT) | instid1(VALU_DEP_1)
	v_lshlrev_b64_e32 v[36:37], v36, v[2:3]
	v_dual_sub_nc_u32 v31, 29, v31 :: v_dual_bitop2_b32 v36, 7, v36 bitop3:0x40
; %bb.8540:                             ;   in Loop: Header=BB6_7947 Depth=3
	s_or_b32 exec_lo, exec_lo, s74
	v_lshlrev_b32_e32 v0, 24, v0
	s_delay_alu instid0(VALU_DEP_2) | instskip(NEXT) | instid1(VALU_DEP_3)
	v_lshlrev_b32_e32 v2, 20, v36
	v_lshl_add_u32 v31, v31, 23, 0x3c000000
	s_delay_alu instid0(VALU_DEP_3) | instskip(NEXT) | instid1(VALU_DEP_1)
	v_and_b32_e32 v0, 0x80000000, v0
	v_or3_b32 v31, v2, v0, v31
.LBB6_8541:                             ;   in Loop: Header=BB6_7947 Depth=3
	s_or_b32 exec_lo, exec_lo, s45
.LBB6_8542:                             ;   in Loop: Header=BB6_7947 Depth=3
	s_delay_alu instid0(SALU_CYCLE_1)
	s_or_b32 exec_lo, exec_lo, s44
.LBB6_8543:                             ;   in Loop: Header=BB6_7947 Depth=3
	s_delay_alu instid0(SALU_CYCLE_1) | instskip(NEXT) | instid1(SALU_CYCLE_1)
	s_or_b32 exec_lo, exec_lo, s13
	s_mov_b32 s13, exec_lo
	v_cmpx_lt_u32_e32 0xffffff, v24
	s_cbranch_execz .LBB6_8551
; %bb.8544:                             ;   in Loop: Header=BB6_7947 Depth=3
	v_lshrrev_b32_e32 v0, 24, v24
	v_bfrev_b32_e32 v1, 1
	s_mov_b32 s44, exec_lo
	s_delay_alu instid0(VALU_DEP_2)
	v_cmpx_ne_u32_e32 0x80, v0
	s_cbranch_execz .LBB6_8550
; %bb.8545:                             ;   in Loop: Header=BB6_7947 Depth=3
	v_bfe_u32 v36, v24, 24, 7
	v_mov_b32_e32 v1, 0x7f800001
	s_mov_b32 s45, exec_lo
	s_delay_alu instid0(VALU_DEP_2)
	v_cmpx_ne_u32_e32 0x7f, v36
	s_cbranch_execz .LBB6_8549
; %bb.8546:                             ;   in Loop: Header=BB6_7947 Depth=3
	v_and_b32_e32 v2, 7, v0
	v_lshrrev_b32_e32 v1, 3, v36
	v_cmp_gt_u32_e32 vcc_lo, 8, v36
	s_delay_alu instid0(VALU_DEP_3)
	v_mov_b64_e32 v[36:37], v[2:3]
	s_and_saveexec_b32 s74, vcc_lo
; %bb.8547:                             ;   in Loop: Header=BB6_7947 Depth=3
	v_clz_i32_u32_e32 v1, v2
	s_delay_alu instid0(VALU_DEP_1) | instskip(NEXT) | instid1(VALU_DEP_1)
	v_min_u32_e32 v1, 32, v1
	v_subrev_nc_u32_e32 v36, 28, v1
	s_delay_alu instid0(VALU_DEP_1) | instskip(NEXT) | instid1(VALU_DEP_1)
	v_lshlrev_b64_e32 v[36:37], v36, v[2:3]
	v_dual_sub_nc_u32 v1, 29, v1 :: v_dual_bitop2_b32 v36, 7, v36 bitop3:0x40
; %bb.8548:                             ;   in Loop: Header=BB6_7947 Depth=3
	s_or_b32 exec_lo, exec_lo, s74
	v_lshlrev_b32_e32 v0, 24, v0
	s_delay_alu instid0(VALU_DEP_2) | instskip(NEXT) | instid1(VALU_DEP_3)
	v_lshlrev_b32_e32 v2, 20, v36
	v_lshl_add_u32 v1, v1, 23, 0x3c000000
	s_delay_alu instid0(VALU_DEP_3) | instskip(NEXT) | instid1(VALU_DEP_1)
	v_and_b32_e32 v0, 0x80000000, v0
	v_or3_b32 v1, v2, v0, v1
.LBB6_8549:                             ;   in Loop: Header=BB6_7947 Depth=3
	s_or_b32 exec_lo, exec_lo, s45
.LBB6_8550:                             ;   in Loop: Header=BB6_7947 Depth=3
	s_delay_alu instid0(SALU_CYCLE_1)
	s_or_b32 exec_lo, exec_lo, s44
.LBB6_8551:                             ;   in Loop: Header=BB6_7947 Depth=3
	s_delay_alu instid0(SALU_CYCLE_1) | instskip(NEXT) | instid1(VALU_DEP_1)
	s_or_b32 exec_lo, exec_lo, s13
	v_add_f32_e32 v0, v31, v1
                                        ; implicit-def: $vgpr63
	s_mov_b32 s13, exec_lo
	s_delay_alu instid0(VALU_DEP_1) | instskip(SKIP_1) | instid1(VALU_DEP_2)
	v_and_b32_e32 v2, 0x7f800000, v0
	v_lshrrev_b32_e32 v1, 24, v0
	v_cmpx_ne_u64_e32 0x7f800000, v[2:3]
	s_xor_b32 s44, exec_lo, s13
	s_cbranch_execz .LBB6_8565
; %bb.8552:                             ;   in Loop: Header=BB6_7947 Depth=3
	v_and_b32_e32 v2, 0x7fffffff, v0
	v_and_b32_e32 v1, 0x80, v1
                                        ; implicit-def: $vgpr63
	s_mov_b32 s13, exec_lo
	s_delay_alu instid0(VALU_DEP_2)
	v_cmpx_gt_u64_e32 0x43e00001, v[2:3]
	s_xor_b32 s45, exec_lo, s13
	s_cbranch_execz .LBB6_8562
; %bb.8553:                             ;   in Loop: Header=BB6_7947 Depth=3
	v_mov_b32_e32 v63, 0
	s_mov_b32 s74, exec_lo
	v_cmpx_ne_u32_e32 0, v0
	s_cbranch_execz .LBB6_8561
; %bb.8554:                             ;   in Loop: Header=BB6_7947 Depth=3
	v_bfe_u32 v31, v0, 23, 8
	v_and_b32_e32 v2, 0x7fffff, v0
	s_delay_alu instid0(VALU_DEP_2) | instskip(SKIP_2) | instid1(VALU_DEP_4)
	v_cmp_gt_u32_e64 s13, 0x7a, v31
	v_sub_nc_u32_e32 v0, 0x79, v31
	v_cmp_eq_u32_e32 vcc_lo, 0, v31
	v_or_b32_e32 v36, 0x800000, v2
	s_delay_alu instid0(VALU_DEP_1) | instskip(NEXT) | instid1(VALU_DEP_1)
	v_dual_cndmask_b32 v0, 0, v0, s13 :: v_dual_cndmask_b32 v2, v36, v2, vcc_lo
	v_cndmask_b32_e64 v0, v0, 0x78, vcc_lo
	s_delay_alu instid0(VALU_DEP_1) | instskip(NEXT) | instid1(VALU_DEP_1)
	v_dual_add_nc_u32 v36, 20, v0 :: v_dual_add_nc_u32 v38, 19, v0
	v_lshlrev_b64_e64 v[36:37], v36, -1
	s_delay_alu instid0(VALU_DEP_2) | instskip(NEXT) | instid1(VALU_DEP_2)
	v_lshlrev_b64_e64 v[38:39], v38, 1
	v_bfi_b32 v37, v37, 0, 0
	s_delay_alu instid0(VALU_DEP_3) | instskip(NEXT) | instid1(VALU_DEP_1)
	v_bfi_b32 v36, v36, 0, v2
	v_cmp_eq_u64_e64 s13, v[36:37], v[38:39]
	v_lshrrev_b64 v[36:37], v0, v[2:3]
	s_delay_alu instid0(VALU_DEP_1)
	v_mov_b64_e32 v[38:39], v[36:37]
	s_and_saveexec_b32 s75, s13
; %bb.8555:                             ;   in Loop: Header=BB6_7947 Depth=3
	v_bfe_u32 v2, v36, 20, 1
	s_delay_alu instid0(VALU_DEP_1) | instskip(NEXT) | instid1(VALU_DEP_1)
	v_add_nc_u64_e32 v[38:39], v[36:37], v[2:3]
	v_add_nc_u64_e32 v[38:39], -1, v[38:39]
; %bb.8556:                             ;   in Loop: Header=BB6_7947 Depth=3
	s_or_b32 exec_lo, exec_lo, s75
	v_add_nc_u32_e32 v2, 0xffffff81, v31
	v_lshrrev_b32_e32 v31, 23, v36
	s_mov_b32 s13, exec_lo
	s_delay_alu instid0(VALU_DEP_2) | instskip(NEXT) | instid1(VALU_DEP_1)
	v_cndmask_b32_e64 v2, v2, 0xffffff82, vcc_lo
	v_add3_u32 v39, v0, v2, v31
	v_and_b32_e32 v0, 0xfffff, v38
	s_delay_alu instid0(VALU_DEP_1) | instskip(NEXT) | instid1(VALU_DEP_1)
	v_dual_add_nc_u32 v31, 6, v39 :: v_dual_add_nc_u32 v2, v0, v36
                                        ; implicit-def: $vgpr36_vgpr37
                                        ; implicit-def: $vgpr0
	v_cmpx_ne_u32_e32 0, v31
	s_xor_b32 s13, exec_lo, s13
; %bb.8557:                             ;   in Loop: Header=BB6_7947 Depth=3
	s_delay_alu instid0(VALU_DEP_2) | instskip(SKIP_1) | instid1(VALU_DEP_1)
	v_cmp_lt_u64_e32 vcc_lo, 0xffffff, v[2:3]
	v_add_nc_u32_e32 v0, 7, v39
	v_cndmask_b32_e32 v0, v31, v0, vcc_lo
	v_cndmask_b32_e64 v31, 0, 1, vcc_lo
	s_delay_alu instid0(VALU_DEP_1)
	v_lshrrev_b64 v[36:37], v31, v[2:3]
; %bb.8558:                             ;   in Loop: Header=BB6_7947 Depth=3
	s_and_not1_saveexec_b32 s13, s13
; %bb.8559:                             ;   in Loop: Header=BB6_7947 Depth=3
	v_mov_b64_e32 v[36:37], v[2:3]
	v_bfe_u32 v0, v2, 23, 1
; %bb.8560:                             ;   in Loop: Header=BB6_7947 Depth=3
	s_or_b32 exec_lo, exec_lo, s13
	s_delay_alu instid0(VALU_DEP_2) | instskip(NEXT) | instid1(VALU_DEP_2)
	v_lshrrev_b64 v[36:37], 20, v[36:37]
	v_cmp_gt_i32_e32 vcc_lo, 16, v0
	v_min_i32_e32 v2, 15, v0
	v_cmp_eq_u32_e64 s13, 0, v0
	s_delay_alu instid0(VALU_DEP_2) | instskip(SKIP_1) | instid1(VALU_DEP_2)
	v_dual_cndmask_b32 v37, 0, v37 :: v_dual_lshlrev_b32 v2, 3, v2
	v_cndmask_b32_e32 v36, 7, v36, vcc_lo
	v_and_b32_e32 v2, 0xf8, v2
	s_delay_alu instid0(VALU_DEP_2) | instskip(NEXT) | instid1(VALU_DEP_2)
	v_cmp_eq_u64_e32 vcc_lo, 0, v[36:37]
	v_and_or_b32 v0, v36, 7, v2
	s_and_b32 s13, s13, vcc_lo
	s_delay_alu instid0(VALU_DEP_1) | instid1(SALU_CYCLE_1)
	v_cndmask_b32_e64 v0, v0, 0, s13
	s_delay_alu instid0(VALU_DEP_1)
	v_or_b32_e32 v63, v0, v1
.LBB6_8561:                             ;   in Loop: Header=BB6_7947 Depth=3
	s_or_b32 exec_lo, exec_lo, s74
                                        ; implicit-def: $vgpr1
.LBB6_8562:                             ;   in Loop: Header=BB6_7947 Depth=3
	s_and_not1_saveexec_b32 s13, s45
; %bb.8563:                             ;   in Loop: Header=BB6_7947 Depth=3
	v_or_b32_e32 v63, 0x7e, v1
; %bb.8564:                             ;   in Loop: Header=BB6_7947 Depth=3
	s_or_b32 exec_lo, exec_lo, s13
                                        ; implicit-def: $vgpr1
.LBB6_8565:                             ;   in Loop: Header=BB6_7947 Depth=3
	s_and_not1_saveexec_b32 s13, s44
; %bb.8566:                             ;   in Loop: Header=BB6_7947 Depth=3
	v_or_b32_e32 v63, 0x7f, v1
; %bb.8567:                             ;   in Loop: Header=BB6_7947 Depth=3
	s_or_b32 exec_lo, exec_lo, s13
	v_and_b32_e32 v0, 0xff, v33
	v_dual_mov_b32 v2, v33 :: v_dual_mov_b32 v1, 0
	v_mov_b32_e32 v31, 0
	s_mov_b32 s13, exec_lo
	s_delay_alu instid0(VALU_DEP_3)
	v_cmpx_ne_u16_e32 0, v0
	s_cbranch_execz .LBB6_8573
; %bb.8568:                             ;   in Loop: Header=BB6_7947 Depth=3
	v_bfrev_b32_e32 v31, 1
	s_mov_b32 s44, exec_lo
	v_cmpx_ne_u16_e32 0x80, v0
	s_cbranch_execz .LBB6_8572
; %bb.8569:                             ;   in Loop: Header=BB6_7947 Depth=3
	v_and_b32_e32 v0, 0x7f, v33
	v_mov_b32_e32 v31, 0x7f800001
	s_mov_b32 s45, exec_lo
	s_delay_alu instid0(VALU_DEP_2)
	v_cmpx_ne_u32_e32 0x7f, v0
	s_cbranch_execz .LBB6_8571
; %bb.8570:                             ;   in Loop: Header=BB6_7947 Depth=3
	v_dual_lshrrev_b32 v36, 3, v0 :: v_dual_bitop2_b32 v31, 7, v33 bitop3:0x40
	v_cmp_gt_u32_e32 vcc_lo, 8, v0
	s_delay_alu instid0(VALU_DEP_2) | instskip(NEXT) | instid1(VALU_DEP_1)
	v_clz_i32_u32_e32 v0, v31
	v_min_u32_e32 v0, 32, v0
	s_delay_alu instid0(VALU_DEP_1) | instskip(NEXT) | instid1(VALU_DEP_1)
	v_subrev_nc_u32_e32 v31, 28, v0
	v_dual_cndmask_b32 v31, 0, v31 :: v_dual_sub_nc_u32 v0, 29, v0
	s_delay_alu instid0(VALU_DEP_1) | instskip(NEXT) | instid1(VALU_DEP_2)
	v_cndmask_b32_e32 v0, v36, v0, vcc_lo
	v_lshlrev_b64_e32 v[36:37], v31, v[2:3]
	s_delay_alu instid0(VALU_DEP_1) | instskip(NEXT) | instid1(VALU_DEP_3)
	v_dual_lshlrev_b32 v31, 20, v36 :: v_dual_lshlrev_b32 v36, 24, v2
	v_lshl_add_u32 v0, v0, 23, 0x3c000000
	s_delay_alu instid0(VALU_DEP_2) | instskip(NEXT) | instid1(VALU_DEP_3)
	v_and_b32_e32 v31, 0x700000, v31
	v_and_b32_e32 v36, 0x80000000, v36
	s_delay_alu instid0(VALU_DEP_1)
	v_or3_b32 v31, v31, v36, v0
.LBB6_8571:                             ;   in Loop: Header=BB6_7947 Depth=3
	s_or_b32 exec_lo, exec_lo, s45
.LBB6_8572:                             ;   in Loop: Header=BB6_7947 Depth=3
	s_delay_alu instid0(SALU_CYCLE_1)
	s_or_b32 exec_lo, exec_lo, s44
.LBB6_8573:                             ;   in Loop: Header=BB6_7947 Depth=3
	s_delay_alu instid0(SALU_CYCLE_1) | instskip(SKIP_2) | instid1(VALU_DEP_1)
	s_or_b32 exec_lo, exec_lo, s13
	v_and_b32_e32 v0, 0xff, v25
	s_mov_b32 s13, exec_lo
	v_cmpx_ne_u16_e32 0, v0
	s_cbranch_execz .LBB6_8579
; %bb.8574:                             ;   in Loop: Header=BB6_7947 Depth=3
	v_bfrev_b32_e32 v1, 1
	s_mov_b32 s44, exec_lo
	v_cmpx_ne_u16_e32 0x80, v0
	s_cbranch_execz .LBB6_8578
; %bb.8575:                             ;   in Loop: Header=BB6_7947 Depth=3
	v_and_b32_e32 v0, 0x7f, v25
	v_mov_b32_e32 v1, 0x7f800001
	s_mov_b32 s45, exec_lo
	s_delay_alu instid0(VALU_DEP_2)
	v_cmpx_ne_u32_e32 0x7f, v0
	s_cbranch_execz .LBB6_8577
; %bb.8576:                             ;   in Loop: Header=BB6_7947 Depth=3
	v_dual_lshrrev_b32 v36, 3, v0 :: v_dual_bitop2_b32 v1, 7, v25 bitop3:0x40
	v_cmp_gt_u32_e32 vcc_lo, 8, v0
	v_mov_b32_e32 v0, v25
	s_delay_alu instid0(VALU_DEP_3) | instskip(NEXT) | instid1(VALU_DEP_1)
	v_clz_i32_u32_e32 v1, v1
	v_min_u32_e32 v1, 32, v1
	s_delay_alu instid0(VALU_DEP_1) | instskip(SKIP_1) | instid1(VALU_DEP_2)
	v_sub_nc_u32_e32 v37, 29, v1
	v_subrev_nc_u32_e32 v38, 28, v1
	v_dual_mov_b32 v1, v3 :: v_dual_cndmask_b32 v39, v36, v37, vcc_lo
	s_delay_alu instid0(VALU_DEP_2) | instskip(NEXT) | instid1(VALU_DEP_1)
	v_cndmask_b32_e32 v36, 0, v38, vcc_lo
	v_lshlrev_b64_e32 v[36:37], v36, v[0:1]
	v_lshlrev_b32_e32 v0, 24, v0
	s_delay_alu instid0(VALU_DEP_1) | instskip(NEXT) | instid1(VALU_DEP_3)
	v_and_b32_e32 v0, 0x80000000, v0
	v_lshlrev_b32_e32 v1, 20, v36
	v_lshl_add_u32 v36, v39, 23, 0x3c000000
	s_delay_alu instid0(VALU_DEP_2) | instskip(NEXT) | instid1(VALU_DEP_1)
	v_and_b32_e32 v1, 0x700000, v1
	v_or3_b32 v1, v1, v0, v36
.LBB6_8577:                             ;   in Loop: Header=BB6_7947 Depth=3
	s_or_b32 exec_lo, exec_lo, s45
.LBB6_8578:                             ;   in Loop: Header=BB6_7947 Depth=3
	s_delay_alu instid0(SALU_CYCLE_1)
	s_or_b32 exec_lo, exec_lo, s44
.LBB6_8579:                             ;   in Loop: Header=BB6_7947 Depth=3
	s_delay_alu instid0(SALU_CYCLE_1) | instskip(NEXT) | instid1(VALU_DEP_1)
	s_or_b32 exec_lo, exec_lo, s13
	v_add_f32_e32 v0, v31, v1
	v_mov_b32_e32 v37, v3
                                        ; implicit-def: $vgpr31
	s_mov_b32 s13, exec_lo
	s_delay_alu instid0(VALU_DEP_2) | instskip(SKIP_1) | instid1(VALU_DEP_2)
	v_and_b32_e32 v36, 0x7f800000, v0
	v_lshrrev_b32_e32 v1, 24, v0
	v_cmpx_ne_u64_e32 0x7f800000, v[36:37]
	s_xor_b32 s44, exec_lo, s13
	s_cbranch_execz .LBB6_8593
; %bb.8580:                             ;   in Loop: Header=BB6_7947 Depth=3
	v_and_b32_e32 v36, 0x7fffffff, v0
	v_mov_b32_e32 v37, v3
	v_and_b32_e32 v1, 0x80, v1
                                        ; implicit-def: $vgpr31
	s_mov_b32 s13, exec_lo
	s_delay_alu instid0(VALU_DEP_2)
	v_cmpx_gt_u64_e32 0x43e00001, v[36:37]
	s_xor_b32 s45, exec_lo, s13
	s_cbranch_execz .LBB6_8590
; %bb.8581:                             ;   in Loop: Header=BB6_7947 Depth=3
	v_mov_b32_e32 v31, 0
	s_mov_b32 s74, exec_lo
	v_cmpx_ne_u32_e32 0, v0
	s_cbranch_execz .LBB6_8589
; %bb.8582:                             ;   in Loop: Header=BB6_7947 Depth=3
	v_and_b32_e32 v36, 0x7fffff, v0
	v_bfe_u32 v31, v0, 23, 8
	s_delay_alu instid0(VALU_DEP_2) | instskip(NEXT) | instid1(VALU_DEP_2)
	v_or_b32_e32 v37, 0x800000, v36
	v_cmp_eq_u32_e32 vcc_lo, 0, v31
	v_cmp_gt_u32_e64 s13, 0x7a, v31
	v_sub_nc_u32_e32 v0, 0x79, v31
	s_delay_alu instid0(VALU_DEP_4) | instskip(NEXT) | instid1(VALU_DEP_2)
	v_dual_cndmask_b32 v36, v37, v36 :: v_dual_mov_b32 v37, v3
	v_cndmask_b32_e64 v0, 0, v0, s13
	s_delay_alu instid0(VALU_DEP_1) | instskip(NEXT) | instid1(VALU_DEP_1)
	v_cndmask_b32_e64 v0, v0, 0x78, vcc_lo
	v_dual_add_nc_u32 v38, 20, v0 :: v_dual_add_nc_u32 v52, 19, v0
	s_delay_alu instid0(VALU_DEP_1) | instskip(NEXT) | instid1(VALU_DEP_2)
	v_lshlrev_b64_e64 v[38:39], v38, -1
	v_lshlrev_b64_e64 v[52:53], v52, 1
	s_delay_alu instid0(VALU_DEP_2) | instskip(SKIP_1) | instid1(VALU_DEP_4)
	v_bfi_b32 v38, v38, 0, v36
	v_lshrrev_b64 v[36:37], v0, v[36:37]
	v_bfi_b32 v39, v39, 0, 0
	s_delay_alu instid0(VALU_DEP_1) | instskip(NEXT) | instid1(VALU_DEP_3)
	v_cmp_eq_u64_e64 s13, v[38:39], v[52:53]
	v_mov_b64_e32 v[38:39], v[36:37]
	s_and_saveexec_b32 s75, s13
; %bb.8583:                             ;   in Loop: Header=BB6_7947 Depth=3
	v_bfe_u32 v38, v36, 20, 1
	v_mov_b32_e32 v39, v3
	s_delay_alu instid0(VALU_DEP_1) | instskip(NEXT) | instid1(VALU_DEP_1)
	v_add_nc_u64_e32 v[38:39], v[36:37], v[38:39]
	v_add_nc_u64_e32 v[38:39], -1, v[38:39]
; %bb.8584:                             ;   in Loop: Header=BB6_7947 Depth=3
	s_or_b32 exec_lo, exec_lo, s75
	v_add_nc_u32_e32 v31, 0xffffff81, v31
	v_lshrrev_b32_e32 v37, 23, v36
	s_mov_b32 s13, exec_lo
	s_delay_alu instid0(VALU_DEP_2) | instskip(NEXT) | instid1(VALU_DEP_1)
	v_cndmask_b32_e64 v31, v31, 0xffffff82, vcc_lo
	v_add3_u32 v39, v0, v31, v37
	v_and_b32_e32 v0, 0xfffff, v38
	s_delay_alu instid0(VALU_DEP_2) | instskip(NEXT) | instid1(VALU_DEP_2)
	v_dual_mov_b32 v37, v3 :: v_dual_add_nc_u32 v31, 6, v39
	v_add_nc_u32_e32 v36, v0, v36
                                        ; implicit-def: $vgpr0
	s_delay_alu instid0(VALU_DEP_2)
	v_cmpx_ne_u32_e32 0, v31
	s_xor_b32 s13, exec_lo, s13
; %bb.8585:                             ;   in Loop: Header=BB6_7947 Depth=3
	s_delay_alu instid0(VALU_DEP_2) | instskip(SKIP_1) | instid1(VALU_DEP_1)
	v_cmp_lt_u64_e32 vcc_lo, 0xffffff, v[36:37]
	v_add_nc_u32_e32 v0, 7, v39
	v_cndmask_b32_e32 v0, v31, v0, vcc_lo
	v_cndmask_b32_e64 v31, 0, 1, vcc_lo
	s_delay_alu instid0(VALU_DEP_1)
	v_lshrrev_b64 v[36:37], v31, v[36:37]
; %bb.8586:                             ;   in Loop: Header=BB6_7947 Depth=3
	s_and_not1_saveexec_b32 s13, s13
; %bb.8587:                             ;   in Loop: Header=BB6_7947 Depth=3
	s_delay_alu instid0(VALU_DEP_1)
	v_bfe_u32 v0, v36, 23, 1
; %bb.8588:                             ;   in Loop: Header=BB6_7947 Depth=3
	s_or_b32 exec_lo, exec_lo, s13
	s_delay_alu instid0(VALU_DEP_2) | instskip(NEXT) | instid1(VALU_DEP_2)
	v_lshrrev_b64 v[36:37], 20, v[36:37]
	v_cmp_gt_i32_e32 vcc_lo, 16, v0
	v_min_i32_e32 v31, 15, v0
	v_cmp_eq_u32_e64 s13, 0, v0
	s_delay_alu instid0(VALU_DEP_2) | instskip(SKIP_1) | instid1(VALU_DEP_2)
	v_dual_cndmask_b32 v37, 0, v37, vcc_lo :: v_dual_lshlrev_b32 v31, 3, v31
	v_cndmask_b32_e32 v36, 7, v36, vcc_lo
	v_and_b32_e32 v31, 0xf8, v31
	s_delay_alu instid0(VALU_DEP_2) | instskip(NEXT) | instid1(VALU_DEP_2)
	v_cmp_eq_u64_e32 vcc_lo, 0, v[36:37]
	v_and_or_b32 v0, v36, 7, v31
	s_and_b32 s13, s13, vcc_lo
	s_delay_alu instid0(VALU_DEP_1) | instid1(SALU_CYCLE_1)
	v_cndmask_b32_e64 v0, v0, 0, s13
	s_delay_alu instid0(VALU_DEP_1)
	v_or_b32_e32 v31, v0, v1
.LBB6_8589:                             ;   in Loop: Header=BB6_7947 Depth=3
	s_or_b32 exec_lo, exec_lo, s74
                                        ; implicit-def: $vgpr1
.LBB6_8590:                             ;   in Loop: Header=BB6_7947 Depth=3
	s_and_not1_saveexec_b32 s13, s45
; %bb.8591:                             ;   in Loop: Header=BB6_7947 Depth=3
	v_or_b32_e32 v31, 0x7e, v1
; %bb.8592:                             ;   in Loop: Header=BB6_7947 Depth=3
	s_or_b32 exec_lo, exec_lo, s13
                                        ; implicit-def: $vgpr1
.LBB6_8593:                             ;   in Loop: Header=BB6_7947 Depth=3
	s_and_not1_saveexec_b32 s13, s44
; %bb.8594:                             ;   in Loop: Header=BB6_7947 Depth=3
	v_or_b32_e32 v31, 0x7f, v1
; %bb.8595:                             ;   in Loop: Header=BB6_7947 Depth=3
	s_or_b32 exec_lo, exec_lo, s13
	v_lshrrev_b16 v0, 8, v2
	v_dual_mov_b32 v1, 0 :: v_dual_mov_b32 v38, 0
	s_mov_b32 s13, exec_lo
	s_delay_alu instid0(VALU_DEP_2)
	v_cmpx_ne_u16_e32 0, v0
	s_cbranch_execz .LBB6_8603
; %bb.8596:                             ;   in Loop: Header=BB6_7947 Depth=3
	v_bfrev_b32_e32 v38, 1
	s_mov_b32 s44, exec_lo
	v_cmpx_ne_u16_e32 0x80, v0
	s_cbranch_execz .LBB6_8602
; %bb.8597:                             ;   in Loop: Header=BB6_7947 Depth=3
	v_and_b32_e32 v0, 0xffff, v0
	v_mov_b32_e32 v38, 0x7f800001
	s_mov_b32 s45, exec_lo
	s_delay_alu instid0(VALU_DEP_2) | instskip(NEXT) | instid1(VALU_DEP_1)
	v_and_b32_e32 v39, 0x7f, v0
	v_cmpx_ne_u32_e32 0x7f, v39
	s_cbranch_execz .LBB6_8601
; %bb.8598:                             ;   in Loop: Header=BB6_7947 Depth=3
	v_dual_mov_b32 v37, v3 :: v_dual_bitop2_b32 v36, 7, v0 bitop3:0x40
	v_lshrrev_b32_e32 v0, 3, v39
	s_mov_b32 s74, exec_lo
	v_cmpx_gt_u32_e32 8, v39
; %bb.8599:                             ;   in Loop: Header=BB6_7947 Depth=3
	s_delay_alu instid0(VALU_DEP_3) | instskip(NEXT) | instid1(VALU_DEP_1)
	v_clz_i32_u32_e32 v0, v36
	v_min_u32_e32 v0, 32, v0
	s_delay_alu instid0(VALU_DEP_1) | instskip(SKIP_1) | instid1(VALU_DEP_2)
	v_subrev_nc_u32_e32 v38, 28, v0
	v_sub_nc_u32_e32 v0, 29, v0
	v_lshlrev_b64_e32 v[36:37], v38, v[36:37]
	s_delay_alu instid0(VALU_DEP_1)
	v_and_b32_e32 v36, 7, v36
; %bb.8600:                             ;   in Loop: Header=BB6_7947 Depth=3
	s_or_b32 exec_lo, exec_lo, s74
	s_delay_alu instid0(VALU_DEP_1) | instskip(SKIP_1) | instid1(VALU_DEP_2)
	v_dual_lshlrev_b32 v2, 16, v2 :: v_dual_lshlrev_b32 v36, 20, v36
	v_lshl_add_u32 v0, v0, 23, 0x3c000000
	v_and_b32_e32 v2, 0x80000000, v2
	s_delay_alu instid0(VALU_DEP_1)
	v_or3_b32 v38, v36, v2, v0
.LBB6_8601:                             ;   in Loop: Header=BB6_7947 Depth=3
	s_or_b32 exec_lo, exec_lo, s45
.LBB6_8602:                             ;   in Loop: Header=BB6_7947 Depth=3
	s_delay_alu instid0(SALU_CYCLE_1)
	s_or_b32 exec_lo, exec_lo, s44
.LBB6_8603:                             ;   in Loop: Header=BB6_7947 Depth=3
	s_delay_alu instid0(SALU_CYCLE_1) | instskip(SKIP_2) | instid1(VALU_DEP_1)
	s_or_b32 exec_lo, exec_lo, s13
	v_lshrrev_b16 v0, 8, v25
	s_mov_b32 s13, exec_lo
	v_cmpx_ne_u16_e32 0, v0
	s_cbranch_execz .LBB6_8611
; %bb.8604:                             ;   in Loop: Header=BB6_7947 Depth=3
	v_bfrev_b32_e32 v1, 1
	s_mov_b32 s44, exec_lo
	v_cmpx_ne_u16_e32 0x80, v0
	s_cbranch_execz .LBB6_8610
; %bb.8605:                             ;   in Loop: Header=BB6_7947 Depth=3
	v_and_b32_e32 v0, 0xffff, v0
	v_mov_b32_e32 v1, 0x7f800001
	s_mov_b32 s45, exec_lo
	s_delay_alu instid0(VALU_DEP_2) | instskip(NEXT) | instid1(VALU_DEP_1)
	v_and_b32_e32 v36, 0x7f, v0
	v_cmpx_ne_u32_e32 0x7f, v36
	s_cbranch_execz .LBB6_8609
; %bb.8606:                             ;   in Loop: Header=BB6_7947 Depth=3
	v_and_b32_e32 v2, 7, v0
	v_lshrrev_b32_e32 v0, 3, v36
	v_cmp_gt_u32_e32 vcc_lo, 8, v36
	s_delay_alu instid0(VALU_DEP_3)
	v_mov_b64_e32 v[36:37], v[2:3]
	s_and_saveexec_b32 s74, vcc_lo
; %bb.8607:                             ;   in Loop: Header=BB6_7947 Depth=3
	v_clz_i32_u32_e32 v0, v2
	s_delay_alu instid0(VALU_DEP_1) | instskip(NEXT) | instid1(VALU_DEP_1)
	v_min_u32_e32 v0, 32, v0
	v_subrev_nc_u32_e32 v1, 28, v0
	v_sub_nc_u32_e32 v0, 29, v0
	s_delay_alu instid0(VALU_DEP_2) | instskip(NEXT) | instid1(VALU_DEP_1)
	v_lshlrev_b64_e32 v[36:37], v1, v[2:3]
	v_and_b32_e32 v36, 7, v36
; %bb.8608:                             ;   in Loop: Header=BB6_7947 Depth=3
	s_or_b32 exec_lo, exec_lo, s74
	s_delay_alu instid0(VALU_DEP_1) | instskip(SKIP_1) | instid1(VALU_DEP_2)
	v_dual_lshlrev_b32 v1, 16, v25 :: v_dual_lshlrev_b32 v2, 20, v36
	v_lshl_add_u32 v0, v0, 23, 0x3c000000
	v_and_b32_e32 v1, 0x80000000, v1
	s_delay_alu instid0(VALU_DEP_1)
	v_or3_b32 v1, v2, v1, v0
.LBB6_8609:                             ;   in Loop: Header=BB6_7947 Depth=3
	s_or_b32 exec_lo, exec_lo, s45
.LBB6_8610:                             ;   in Loop: Header=BB6_7947 Depth=3
	s_delay_alu instid0(SALU_CYCLE_1)
	s_or_b32 exec_lo, exec_lo, s44
.LBB6_8611:                             ;   in Loop: Header=BB6_7947 Depth=3
	s_delay_alu instid0(SALU_CYCLE_1) | instskip(NEXT) | instid1(VALU_DEP_1)
	s_or_b32 exec_lo, exec_lo, s13
	v_add_f32_e32 v0, v38, v1
                                        ; implicit-def: $vgpr1
	s_mov_b32 s13, exec_lo
	s_delay_alu instid0(VALU_DEP_1) | instskip(SKIP_1) | instid1(VALU_DEP_2)
	v_and_b32_e32 v2, 0x7f800000, v0
	v_lshrrev_b32_e32 v36, 24, v0
	v_cmpx_ne_u64_e32 0x7f800000, v[2:3]
	s_xor_b32 s44, exec_lo, s13
	s_cbranch_execz .LBB6_8625
; %bb.8612:                             ;   in Loop: Header=BB6_7947 Depth=3
	v_and_b32_e32 v2, 0x7fffffff, v0
	v_and_b32_e32 v53, 0x80, v36
                                        ; implicit-def: $vgpr1
	s_mov_b32 s13, exec_lo
	s_delay_alu instid0(VALU_DEP_2)
	v_cmpx_gt_u64_e32 0x43e00001, v[2:3]
	s_xor_b32 s45, exec_lo, s13
	s_cbranch_execz .LBB6_8622
; %bb.8613:                             ;   in Loop: Header=BB6_7947 Depth=3
	v_mov_b32_e32 v1, 0
	s_mov_b32 s74, exec_lo
	v_cmpx_ne_u32_e32 0, v0
	s_cbranch_execz .LBB6_8621
; %bb.8614:                             ;   in Loop: Header=BB6_7947 Depth=3
	v_bfe_u32 v1, v0, 23, 8
	v_and_b32_e32 v2, 0x7fffff, v0
	s_delay_alu instid0(VALU_DEP_2) | instskip(SKIP_2) | instid1(VALU_DEP_4)
	v_cmp_gt_u32_e64 s13, 0x7a, v1
	v_sub_nc_u32_e32 v0, 0x79, v1
	v_cmp_eq_u32_e32 vcc_lo, 0, v1
	v_or_b32_e32 v36, 0x800000, v2
	s_delay_alu instid0(VALU_DEP_1) | instskip(NEXT) | instid1(VALU_DEP_1)
	v_dual_cndmask_b32 v0, 0, v0, s13 :: v_dual_cndmask_b32 v2, v36, v2, vcc_lo
	v_cndmask_b32_e64 v0, v0, 0x78, vcc_lo
	s_delay_alu instid0(VALU_DEP_1) | instskip(NEXT) | instid1(VALU_DEP_1)
	v_dual_add_nc_u32 v36, 20, v0 :: v_dual_add_nc_u32 v38, 19, v0
	v_lshlrev_b64_e64 v[36:37], v36, -1
	s_delay_alu instid0(VALU_DEP_2) | instskip(NEXT) | instid1(VALU_DEP_2)
	v_lshlrev_b64_e64 v[38:39], v38, 1
	v_bfi_b32 v37, v37, 0, 0
	s_delay_alu instid0(VALU_DEP_3) | instskip(NEXT) | instid1(VALU_DEP_1)
	v_bfi_b32 v36, v36, 0, v2
	v_cmp_eq_u64_e64 s13, v[36:37], v[38:39]
	v_lshrrev_b64 v[36:37], v0, v[2:3]
	s_delay_alu instid0(VALU_DEP_1)
	v_mov_b64_e32 v[38:39], v[36:37]
	s_and_saveexec_b32 s75, s13
; %bb.8615:                             ;   in Loop: Header=BB6_7947 Depth=3
	v_bfe_u32 v2, v36, 20, 1
	s_delay_alu instid0(VALU_DEP_1) | instskip(NEXT) | instid1(VALU_DEP_1)
	v_add_nc_u64_e32 v[38:39], v[36:37], v[2:3]
	v_add_nc_u64_e32 v[38:39], -1, v[38:39]
; %bb.8616:                             ;   in Loop: Header=BB6_7947 Depth=3
	s_or_b32 exec_lo, exec_lo, s75
	v_add_nc_u32_e32 v1, 0xffffff81, v1
	v_lshrrev_b32_e32 v2, 23, v36
	s_mov_b32 s13, exec_lo
	s_delay_alu instid0(VALU_DEP_2) | instskip(NEXT) | instid1(VALU_DEP_1)
	v_cndmask_b32_e64 v1, v1, 0xffffff82, vcc_lo
	v_add3_u32 v39, v0, v1, v2
	v_and_b32_e32 v0, 0xfffff, v38
	s_delay_alu instid0(VALU_DEP_1) | instskip(NEXT) | instid1(VALU_DEP_1)
	v_dual_add_nc_u32 v1, 6, v39 :: v_dual_add_nc_u32 v2, v0, v36
                                        ; implicit-def: $vgpr36_vgpr37
                                        ; implicit-def: $vgpr0
	v_cmpx_ne_u32_e32 0, v1
	s_xor_b32 s13, exec_lo, s13
; %bb.8617:                             ;   in Loop: Header=BB6_7947 Depth=3
	s_delay_alu instid0(VALU_DEP_2) | instskip(SKIP_1) | instid1(VALU_DEP_1)
	v_cmp_lt_u64_e32 vcc_lo, 0xffffff, v[2:3]
	v_add_nc_u32_e32 v0, 7, v39
	v_cndmask_b32_e32 v0, v1, v0, vcc_lo
	v_cndmask_b32_e64 v1, 0, 1, vcc_lo
	s_delay_alu instid0(VALU_DEP_1)
	v_lshrrev_b64 v[36:37], v1, v[2:3]
; %bb.8618:                             ;   in Loop: Header=BB6_7947 Depth=3
	s_and_not1_saveexec_b32 s13, s13
; %bb.8619:                             ;   in Loop: Header=BB6_7947 Depth=3
	v_mov_b64_e32 v[36:37], v[2:3]
	v_bfe_u32 v0, v2, 23, 1
; %bb.8620:                             ;   in Loop: Header=BB6_7947 Depth=3
	s_or_b32 exec_lo, exec_lo, s13
	s_delay_alu instid0(VALU_DEP_2) | instskip(NEXT) | instid1(VALU_DEP_2)
	v_lshrrev_b64 v[36:37], 20, v[36:37]
	v_cmp_gt_i32_e32 vcc_lo, 16, v0
	v_min_i32_e32 v1, 15, v0
	v_cmp_eq_u32_e64 s13, 0, v0
	s_delay_alu instid0(VALU_DEP_4) | instskip(NEXT) | instid1(VALU_DEP_3)
	v_cndmask_b32_e32 v37, 0, v37, vcc_lo
	v_dual_cndmask_b32 v36, 7, v36 :: v_dual_lshlrev_b32 v1, 3, v1
	s_delay_alu instid0(VALU_DEP_1) | instskip(NEXT) | instid1(VALU_DEP_2)
	v_and_b32_e32 v1, 0xf8, v1
	v_cmp_eq_u64_e32 vcc_lo, 0, v[36:37]
	s_delay_alu instid0(VALU_DEP_2)
	v_and_or_b32 v0, v36, 7, v1
	s_and_b32 s13, s13, vcc_lo
	s_delay_alu instid0(VALU_DEP_1) | instid1(SALU_CYCLE_1)
	v_cndmask_b32_e64 v0, v0, 0, s13
	s_delay_alu instid0(VALU_DEP_1)
	v_or_b32_e32 v1, v0, v53
.LBB6_8621:                             ;   in Loop: Header=BB6_7947 Depth=3
	s_or_b32 exec_lo, exec_lo, s74
                                        ; implicit-def: $vgpr53
.LBB6_8622:                             ;   in Loop: Header=BB6_7947 Depth=3
	s_and_not1_saveexec_b32 s13, s45
; %bb.8623:                             ;   in Loop: Header=BB6_7947 Depth=3
	v_or_b32_e32 v1, 0x7e, v53
; %bb.8624:                             ;   in Loop: Header=BB6_7947 Depth=3
	s_or_b32 exec_lo, exec_lo, s13
                                        ; implicit-def: $vgpr36
.LBB6_8625:                             ;   in Loop: Header=BB6_7947 Depth=3
	s_and_not1_saveexec_b32 s13, s44
; %bb.8626:                             ;   in Loop: Header=BB6_7947 Depth=3
	v_or_b32_e32 v1, 0x7f, v36
; %bb.8627:                             ;   in Loop: Header=BB6_7947 Depth=3
	s_or_b32 exec_lo, exec_lo, s13
	v_dual_lshrrev_b32 v0, 16, v33 :: v_dual_mov_b32 v38, 0
	v_mov_b32_e32 v39, 0
	s_mov_b32 s13, exec_lo
	s_delay_alu instid0(VALU_DEP_2) | instskip(NEXT) | instid1(VALU_DEP_1)
	v_and_b32_e32 v2, 0xff, v0
	v_cmpx_ne_u16_e32 0, v2
	s_cbranch_execz .LBB6_8635
; %bb.8628:                             ;   in Loop: Header=BB6_7947 Depth=3
	v_bfrev_b32_e32 v39, 1
	s_mov_b32 s44, exec_lo
	v_cmpx_ne_u16_e32 0x80, v2
	s_cbranch_execz .LBB6_8634
; %bb.8629:                             ;   in Loop: Header=BB6_7947 Depth=3
	v_bfe_u32 v36, v33, 16, 7
	v_mov_b32_e32 v39, 0x7f800001
	s_mov_b32 s45, exec_lo
	s_delay_alu instid0(VALU_DEP_2)
	v_cmpx_ne_u32_e32 0x7f, v36
	s_cbranch_execz .LBB6_8633
; %bb.8630:                             ;   in Loop: Header=BB6_7947 Depth=3
	v_and_b32_e32 v2, 7, v0
	v_lshrrev_b32_e32 v39, 3, v36
	v_cmp_gt_u32_e32 vcc_lo, 8, v36
	s_delay_alu instid0(VALU_DEP_3)
	v_mov_b64_e32 v[36:37], v[2:3]
	s_and_saveexec_b32 s74, vcc_lo
; %bb.8631:                             ;   in Loop: Header=BB6_7947 Depth=3
	v_clz_i32_u32_e32 v36, v2
	s_delay_alu instid0(VALU_DEP_1) | instskip(NEXT) | instid1(VALU_DEP_1)
	v_min_u32_e32 v39, 32, v36
	v_subrev_nc_u32_e32 v36, 28, v39
	s_delay_alu instid0(VALU_DEP_1) | instskip(NEXT) | instid1(VALU_DEP_1)
	v_lshlrev_b64_e32 v[36:37], v36, v[2:3]
	v_dual_sub_nc_u32 v39, 29, v39 :: v_dual_bitop2_b32 v36, 7, v36 bitop3:0x40
; %bb.8632:                             ;   in Loop: Header=BB6_7947 Depth=3
	s_or_b32 exec_lo, exec_lo, s74
	v_lshlrev_b32_e32 v0, 24, v0
	s_delay_alu instid0(VALU_DEP_2) | instskip(NEXT) | instid1(VALU_DEP_3)
	v_lshlrev_b32_e32 v2, 20, v36
	v_lshl_add_u32 v36, v39, 23, 0x3c000000
	s_delay_alu instid0(VALU_DEP_3) | instskip(NEXT) | instid1(VALU_DEP_1)
	v_and_b32_e32 v0, 0x80000000, v0
	v_or3_b32 v39, v2, v0, v36
.LBB6_8633:                             ;   in Loop: Header=BB6_7947 Depth=3
	s_or_b32 exec_lo, exec_lo, s45
.LBB6_8634:                             ;   in Loop: Header=BB6_7947 Depth=3
	s_delay_alu instid0(SALU_CYCLE_1)
	s_or_b32 exec_lo, exec_lo, s44
.LBB6_8635:                             ;   in Loop: Header=BB6_7947 Depth=3
	s_delay_alu instid0(SALU_CYCLE_1) | instskip(SKIP_2) | instid1(VALU_DEP_1)
	s_or_b32 exec_lo, exec_lo, s13
	v_lshrrev_b32_e32 v0, 16, v25
	s_mov_b32 s13, exec_lo
	v_and_b32_e32 v2, 0xff, v0
	s_delay_alu instid0(VALU_DEP_1)
	v_cmpx_ne_u16_e32 0, v2
	s_cbranch_execz .LBB6_8643
; %bb.8636:                             ;   in Loop: Header=BB6_7947 Depth=3
	v_bfrev_b32_e32 v38, 1
	s_mov_b32 s44, exec_lo
	v_cmpx_ne_u16_e32 0x80, v2
	s_cbranch_execz .LBB6_8642
; %bb.8637:                             ;   in Loop: Header=BB6_7947 Depth=3
	v_bfe_u32 v36, v25, 16, 7
	v_mov_b32_e32 v38, 0x7f800001
	s_mov_b32 s45, exec_lo
	s_delay_alu instid0(VALU_DEP_2)
	v_cmpx_ne_u32_e32 0x7f, v36
	s_cbranch_execz .LBB6_8641
; %bb.8638:                             ;   in Loop: Header=BB6_7947 Depth=3
	v_and_b32_e32 v2, 7, v0
	v_lshrrev_b32_e32 v0, 3, v36
	v_cmp_gt_u32_e32 vcc_lo, 8, v36
	s_delay_alu instid0(VALU_DEP_3)
	v_mov_b64_e32 v[36:37], v[2:3]
	s_and_saveexec_b32 s74, vcc_lo
; %bb.8639:                             ;   in Loop: Header=BB6_7947 Depth=3
	v_clz_i32_u32_e32 v0, v2
	s_delay_alu instid0(VALU_DEP_1) | instskip(NEXT) | instid1(VALU_DEP_1)
	v_min_u32_e32 v0, 32, v0
	v_subrev_nc_u32_e32 v36, 28, v0
	v_sub_nc_u32_e32 v0, 29, v0
	s_delay_alu instid0(VALU_DEP_2) | instskip(NEXT) | instid1(VALU_DEP_1)
	v_lshlrev_b64_e32 v[36:37], v36, v[2:3]
	v_and_b32_e32 v36, 7, v36
; %bb.8640:                             ;   in Loop: Header=BB6_7947 Depth=3
	s_or_b32 exec_lo, exec_lo, s74
	s_delay_alu instid0(VALU_DEP_1) | instskip(SKIP_1) | instid1(VALU_DEP_2)
	v_dual_lshlrev_b32 v2, 8, v25 :: v_dual_lshlrev_b32 v36, 20, v36
	v_lshl_add_u32 v0, v0, 23, 0x3c000000
	v_and_b32_e32 v2, 0x80000000, v2
	s_delay_alu instid0(VALU_DEP_1)
	v_or3_b32 v38, v36, v2, v0
.LBB6_8641:                             ;   in Loop: Header=BB6_7947 Depth=3
	s_or_b32 exec_lo, exec_lo, s45
.LBB6_8642:                             ;   in Loop: Header=BB6_7947 Depth=3
	s_delay_alu instid0(SALU_CYCLE_1)
	s_or_b32 exec_lo, exec_lo, s44
.LBB6_8643:                             ;   in Loop: Header=BB6_7947 Depth=3
	s_delay_alu instid0(SALU_CYCLE_1) | instskip(NEXT) | instid1(VALU_DEP_1)
	s_or_b32 exec_lo, exec_lo, s13
	v_add_f32_e32 v0, v39, v38
                                        ; implicit-def: $vgpr36
	s_mov_b32 s13, exec_lo
	s_delay_alu instid0(VALU_DEP_1) | instskip(SKIP_1) | instid1(VALU_DEP_2)
	v_and_b32_e32 v2, 0x7f800000, v0
	v_lshrrev_b32_e32 v37, 24, v0
	v_cmpx_ne_u64_e32 0x7f800000, v[2:3]
	s_xor_b32 s44, exec_lo, s13
	s_cbranch_execz .LBB6_8657
; %bb.8644:                             ;   in Loop: Header=BB6_7947 Depth=3
	v_and_b32_e32 v2, 0x7fffffff, v0
	v_and_b32_e32 v53, 0x80, v37
                                        ; implicit-def: $vgpr36
	s_mov_b32 s13, exec_lo
	s_delay_alu instid0(VALU_DEP_2)
	v_cmpx_gt_u64_e32 0x43e00001, v[2:3]
	s_xor_b32 s45, exec_lo, s13
	s_cbranch_execz .LBB6_8654
; %bb.8645:                             ;   in Loop: Header=BB6_7947 Depth=3
	v_mov_b32_e32 v36, 0
	s_mov_b32 s74, exec_lo
	v_cmpx_ne_u32_e32 0, v0
	s_cbranch_execz .LBB6_8653
; %bb.8646:                             ;   in Loop: Header=BB6_7947 Depth=3
	v_bfe_u32 v66, v0, 23, 8
	v_and_b32_e32 v2, 0x7fffff, v0
	s_delay_alu instid0(VALU_DEP_2) | instskip(SKIP_2) | instid1(VALU_DEP_4)
	v_cmp_gt_u32_e64 s13, 0x7a, v66
	v_sub_nc_u32_e32 v0, 0x79, v66
	v_cmp_eq_u32_e32 vcc_lo, 0, v66
	v_or_b32_e32 v36, 0x800000, v2
	s_delay_alu instid0(VALU_DEP_1) | instskip(NEXT) | instid1(VALU_DEP_1)
	v_dual_cndmask_b32 v0, 0, v0, s13 :: v_dual_cndmask_b32 v2, v36, v2, vcc_lo
	v_cndmask_b32_e64 v0, v0, 0x78, vcc_lo
	s_delay_alu instid0(VALU_DEP_1) | instskip(NEXT) | instid1(VALU_DEP_1)
	v_dual_add_nc_u32 v36, 20, v0 :: v_dual_add_nc_u32 v38, 19, v0
	v_lshlrev_b64_e64 v[36:37], v36, -1
	s_delay_alu instid0(VALU_DEP_2) | instskip(NEXT) | instid1(VALU_DEP_2)
	v_lshlrev_b64_e64 v[38:39], v38, 1
	v_bfi_b32 v37, v37, 0, 0
	s_delay_alu instid0(VALU_DEP_3) | instskip(NEXT) | instid1(VALU_DEP_1)
	v_bfi_b32 v36, v36, 0, v2
	v_cmp_eq_u64_e64 s13, v[36:37], v[38:39]
	v_lshrrev_b64 v[36:37], v0, v[2:3]
	s_delay_alu instid0(VALU_DEP_1)
	v_mov_b64_e32 v[38:39], v[36:37]
	s_and_saveexec_b32 s75, s13
; %bb.8647:                             ;   in Loop: Header=BB6_7947 Depth=3
	v_bfe_u32 v2, v36, 20, 1
	s_delay_alu instid0(VALU_DEP_1) | instskip(NEXT) | instid1(VALU_DEP_1)
	v_add_nc_u64_e32 v[38:39], v[36:37], v[2:3]
	v_add_nc_u64_e32 v[38:39], -1, v[38:39]
; %bb.8648:                             ;   in Loop: Header=BB6_7947 Depth=3
	s_or_b32 exec_lo, exec_lo, s75
	v_add_nc_u32_e32 v2, 0xffffff81, v66
	v_lshrrev_b32_e32 v37, 23, v36
	s_mov_b32 s13, exec_lo
	s_delay_alu instid0(VALU_DEP_2) | instskip(NEXT) | instid1(VALU_DEP_1)
	v_cndmask_b32_e64 v2, v2, 0xffffff82, vcc_lo
	v_add3_u32 v39, v0, v2, v37
	v_and_b32_e32 v0, 0xfffff, v38
	s_delay_alu instid0(VALU_DEP_1) | instskip(NEXT) | instid1(VALU_DEP_1)
	v_dual_add_nc_u32 v38, 6, v39 :: v_dual_add_nc_u32 v2, v0, v36
                                        ; implicit-def: $vgpr36_vgpr37
                                        ; implicit-def: $vgpr0
	v_cmpx_ne_u32_e32 0, v38
	s_xor_b32 s13, exec_lo, s13
; %bb.8649:                             ;   in Loop: Header=BB6_7947 Depth=3
	s_delay_alu instid0(VALU_DEP_2) | instskip(SKIP_2) | instid1(VALU_DEP_2)
	v_cmp_lt_u64_e32 vcc_lo, 0xffffff, v[2:3]
	v_add_nc_u32_e32 v0, 7, v39
	v_cndmask_b32_e64 v36, 0, 1, vcc_lo
	v_cndmask_b32_e32 v0, v38, v0, vcc_lo
	s_delay_alu instid0(VALU_DEP_2)
	v_lshrrev_b64 v[36:37], v36, v[2:3]
; %bb.8650:                             ;   in Loop: Header=BB6_7947 Depth=3
	s_and_not1_saveexec_b32 s13, s13
; %bb.8651:                             ;   in Loop: Header=BB6_7947 Depth=3
	v_mov_b64_e32 v[36:37], v[2:3]
	v_bfe_u32 v0, v2, 23, 1
; %bb.8652:                             ;   in Loop: Header=BB6_7947 Depth=3
	s_or_b32 exec_lo, exec_lo, s13
	s_delay_alu instid0(VALU_DEP_2) | instskip(NEXT) | instid1(VALU_DEP_2)
	v_lshrrev_b64 v[36:37], 20, v[36:37]
	v_cmp_gt_i32_e32 vcc_lo, 16, v0
	v_min_i32_e32 v2, 15, v0
	v_cmp_eq_u32_e64 s13, 0, v0
	s_delay_alu instid0(VALU_DEP_2) | instskip(SKIP_1) | instid1(VALU_DEP_2)
	v_dual_cndmask_b32 v37, 0, v37 :: v_dual_lshlrev_b32 v2, 3, v2
	v_cndmask_b32_e32 v36, 7, v36, vcc_lo
	v_and_b32_e32 v2, 0xf8, v2
	s_delay_alu instid0(VALU_DEP_2) | instskip(NEXT) | instid1(VALU_DEP_2)
	v_cmp_eq_u64_e32 vcc_lo, 0, v[36:37]
	v_and_or_b32 v0, v36, 7, v2
	s_and_b32 s13, s13, vcc_lo
	s_delay_alu instid0(VALU_DEP_1) | instid1(SALU_CYCLE_1)
	v_cndmask_b32_e64 v0, v0, 0, s13
	s_delay_alu instid0(VALU_DEP_1)
	v_or_b32_e32 v36, v0, v53
.LBB6_8653:                             ;   in Loop: Header=BB6_7947 Depth=3
	s_or_b32 exec_lo, exec_lo, s74
                                        ; implicit-def: $vgpr53
.LBB6_8654:                             ;   in Loop: Header=BB6_7947 Depth=3
	s_and_not1_saveexec_b32 s13, s45
; %bb.8655:                             ;   in Loop: Header=BB6_7947 Depth=3
	v_or_b32_e32 v36, 0x7e, v53
; %bb.8656:                             ;   in Loop: Header=BB6_7947 Depth=3
	s_or_b32 exec_lo, exec_lo, s13
                                        ; implicit-def: $vgpr37
.LBB6_8657:                             ;   in Loop: Header=BB6_7947 Depth=3
	s_and_not1_saveexec_b32 s13, s44
; %bb.8658:                             ;   in Loop: Header=BB6_7947 Depth=3
	v_or_b32_e32 v36, 0x7f, v37
; %bb.8659:                             ;   in Loop: Header=BB6_7947 Depth=3
	s_or_b32 exec_lo, exec_lo, s13
	v_cmp_lt_u64_e32 vcc_lo, s[22:23], v[32:33]
	v_dual_mov_b32 v37, 0 :: v_dual_mov_b32 v32, 0
	s_and_saveexec_b32 s13, vcc_lo
	s_cbranch_execz .LBB6_8667
; %bb.8660:                             ;   in Loop: Header=BB6_7947 Depth=3
	v_lshrrev_b32_e32 v0, 24, v33
	v_bfrev_b32_e32 v32, 1
	s_mov_b32 s44, exec_lo
	s_delay_alu instid0(VALU_DEP_2)
	v_cmpx_ne_u32_e32 0x80, v0
	s_cbranch_execz .LBB6_8666
; %bb.8661:                             ;   in Loop: Header=BB6_7947 Depth=3
	v_bfe_u32 v33, v33, 24, 7
	v_mov_b32_e32 v32, 0x7f800001
	s_mov_b32 s45, exec_lo
	s_delay_alu instid0(VALU_DEP_2)
	v_cmpx_ne_u32_e32 0x7f, v33
	s_cbranch_execz .LBB6_8665
; %bb.8662:                             ;   in Loop: Header=BB6_7947 Depth=3
	v_dual_lshrrev_b32 v38, 3, v33 :: v_dual_bitop2_b32 v2, 7, v0 bitop3:0x40
	v_cmp_gt_u32_e32 vcc_lo, 8, v33
	s_delay_alu instid0(VALU_DEP_2)
	v_mov_b64_e32 v[32:33], v[2:3]
	s_and_saveexec_b32 s74, vcc_lo
; %bb.8663:                             ;   in Loop: Header=BB6_7947 Depth=3
	v_clz_i32_u32_e32 v32, v2
	s_delay_alu instid0(VALU_DEP_1) | instskip(NEXT) | instid1(VALU_DEP_1)
	v_min_u32_e32 v38, 32, v32
	v_subrev_nc_u32_e32 v32, 28, v38
	s_delay_alu instid0(VALU_DEP_1) | instskip(NEXT) | instid1(VALU_DEP_1)
	v_lshlrev_b64_e32 v[32:33], v32, v[2:3]
	v_dual_sub_nc_u32 v38, 29, v38 :: v_dual_bitop2_b32 v32, 7, v32 bitop3:0x40
; %bb.8664:                             ;   in Loop: Header=BB6_7947 Depth=3
	s_or_b32 exec_lo, exec_lo, s74
	v_lshlrev_b32_e32 v0, 24, v0
	s_delay_alu instid0(VALU_DEP_2) | instskip(NEXT) | instid1(VALU_DEP_3)
	v_lshlrev_b32_e32 v2, 20, v32
	v_lshl_add_u32 v32, v38, 23, 0x3c000000
	s_delay_alu instid0(VALU_DEP_3) | instskip(NEXT) | instid1(VALU_DEP_1)
	v_and_b32_e32 v0, 0x80000000, v0
	v_or3_b32 v32, v2, v0, v32
.LBB6_8665:                             ;   in Loop: Header=BB6_7947 Depth=3
	s_or_b32 exec_lo, exec_lo, s45
.LBB6_8666:                             ;   in Loop: Header=BB6_7947 Depth=3
	s_delay_alu instid0(SALU_CYCLE_1)
	s_or_b32 exec_lo, exec_lo, s44
.LBB6_8667:                             ;   in Loop: Header=BB6_7947 Depth=3
	s_delay_alu instid0(SALU_CYCLE_1) | instskip(NEXT) | instid1(SALU_CYCLE_1)
	s_or_b32 exec_lo, exec_lo, s13
	s_mov_b32 s13, exec_lo
	v_cmpx_lt_u64_e64 s[22:23], v[24:25]
	s_cbranch_execz .LBB6_8675
; %bb.8668:                             ;   in Loop: Header=BB6_7947 Depth=3
	v_lshrrev_b32_e32 v0, 24, v25
	v_bfrev_b32_e32 v37, 1
	s_mov_b32 s44, exec_lo
	s_delay_alu instid0(VALU_DEP_2)
	v_cmpx_ne_u32_e32 0x80, v0
	s_cbranch_execz .LBB6_8674
; %bb.8669:                             ;   in Loop: Header=BB6_7947 Depth=3
	v_bfe_u32 v24, v25, 24, 7
	v_mov_b32_e32 v37, 0x7f800001
	s_mov_b32 s45, exec_lo
	s_delay_alu instid0(VALU_DEP_2)
	v_cmpx_ne_u32_e32 0x7f, v24
	s_cbranch_execz .LBB6_8673
; %bb.8670:                             ;   in Loop: Header=BB6_7947 Depth=3
	v_and_b32_e32 v2, 7, v0
	v_lshrrev_b32_e32 v33, 3, v24
	v_cmp_gt_u32_e32 vcc_lo, 8, v24
	s_delay_alu instid0(VALU_DEP_3)
	v_mov_b64_e32 v[24:25], v[2:3]
	s_and_saveexec_b32 s74, vcc_lo
; %bb.8671:                             ;   in Loop: Header=BB6_7947 Depth=3
	v_clz_i32_u32_e32 v24, v2
	s_delay_alu instid0(VALU_DEP_1) | instskip(NEXT) | instid1(VALU_DEP_1)
	v_min_u32_e32 v33, 32, v24
	v_subrev_nc_u32_e32 v24, 28, v33
	s_delay_alu instid0(VALU_DEP_1) | instskip(NEXT) | instid1(VALU_DEP_1)
	v_lshlrev_b64_e32 v[24:25], v24, v[2:3]
	v_dual_sub_nc_u32 v33, 29, v33 :: v_dual_bitop2_b32 v24, 7, v24 bitop3:0x40
; %bb.8672:                             ;   in Loop: Header=BB6_7947 Depth=3
	s_or_b32 exec_lo, exec_lo, s74
	v_lshlrev_b32_e32 v0, 24, v0
	s_delay_alu instid0(VALU_DEP_2) | instskip(NEXT) | instid1(VALU_DEP_3)
	v_lshlrev_b32_e32 v2, 20, v24
	v_lshl_add_u32 v24, v33, 23, 0x3c000000
	s_delay_alu instid0(VALU_DEP_3) | instskip(NEXT) | instid1(VALU_DEP_1)
	v_and_b32_e32 v0, 0x80000000, v0
	v_or3_b32 v37, v2, v0, v24
.LBB6_8673:                             ;   in Loop: Header=BB6_7947 Depth=3
	s_or_b32 exec_lo, exec_lo, s45
.LBB6_8674:                             ;   in Loop: Header=BB6_7947 Depth=3
	s_delay_alu instid0(SALU_CYCLE_1)
	s_or_b32 exec_lo, exec_lo, s44
.LBB6_8675:                             ;   in Loop: Header=BB6_7947 Depth=3
	s_delay_alu instid0(SALU_CYCLE_1) | instskip(NEXT) | instid1(VALU_DEP_1)
	s_or_b32 exec_lo, exec_lo, s13
	v_add_f32_e32 v0, v32, v37
                                        ; implicit-def: $vgpr37
	s_mov_b32 s13, exec_lo
	s_delay_alu instid0(VALU_DEP_1) | instskip(SKIP_1) | instid1(VALU_DEP_2)
	v_and_b32_e32 v2, 0x7f800000, v0
	v_lshrrev_b32_e32 v24, 24, v0
	v_cmpx_ne_u64_e32 0x7f800000, v[2:3]
	s_xor_b32 s44, exec_lo, s13
	s_cbranch_execz .LBB6_8689
; %bb.8676:                             ;   in Loop: Header=BB6_7947 Depth=3
	v_and_b32_e32 v2, 0x7fffffff, v0
	v_and_b32_e32 v38, 0x80, v24
                                        ; implicit-def: $vgpr37
	s_mov_b32 s13, exec_lo
	s_delay_alu instid0(VALU_DEP_2)
	v_cmpx_gt_u64_e32 0x43e00001, v[2:3]
	s_xor_b32 s45, exec_lo, s13
	s_cbranch_execz .LBB6_8686
; %bb.8677:                             ;   in Loop: Header=BB6_7947 Depth=3
	v_mov_b32_e32 v37, 0
	s_mov_b32 s74, exec_lo
	v_cmpx_ne_u32_e32 0, v0
	s_cbranch_execz .LBB6_8685
; %bb.8678:                             ;   in Loop: Header=BB6_7947 Depth=3
	v_bfe_u32 v37, v0, 23, 8
	v_and_b32_e32 v2, 0x7fffff, v0
	s_delay_alu instid0(VALU_DEP_2) | instskip(SKIP_2) | instid1(VALU_DEP_4)
	v_cmp_gt_u32_e64 s13, 0x7a, v37
	v_sub_nc_u32_e32 v0, 0x79, v37
	v_cmp_eq_u32_e32 vcc_lo, 0, v37
	v_or_b32_e32 v24, 0x800000, v2
	s_delay_alu instid0(VALU_DEP_1) | instskip(NEXT) | instid1(VALU_DEP_1)
	v_dual_cndmask_b32 v0, 0, v0, s13 :: v_dual_cndmask_b32 v2, v24, v2, vcc_lo
	v_cndmask_b32_e64 v0, v0, 0x78, vcc_lo
	s_delay_alu instid0(VALU_DEP_1) | instskip(NEXT) | instid1(VALU_DEP_1)
	v_dual_add_nc_u32 v24, 20, v0 :: v_dual_add_nc_u32 v32, 19, v0
	v_lshlrev_b64_e64 v[24:25], v24, -1
	s_delay_alu instid0(VALU_DEP_2) | instskip(NEXT) | instid1(VALU_DEP_2)
	v_lshlrev_b64_e64 v[32:33], v32, 1
	v_bfi_b32 v25, v25, 0, 0
	s_delay_alu instid0(VALU_DEP_3) | instskip(NEXT) | instid1(VALU_DEP_1)
	v_bfi_b32 v24, v24, 0, v2
	v_cmp_eq_u64_e64 s13, v[24:25], v[32:33]
	v_lshrrev_b64 v[24:25], v0, v[2:3]
	s_delay_alu instid0(VALU_DEP_1)
	v_mov_b64_e32 v[32:33], v[24:25]
	s_and_saveexec_b32 s75, s13
; %bb.8679:                             ;   in Loop: Header=BB6_7947 Depth=3
	v_bfe_u32 v2, v24, 20, 1
	s_delay_alu instid0(VALU_DEP_1) | instskip(NEXT) | instid1(VALU_DEP_1)
	v_add_nc_u64_e32 v[32:33], v[24:25], v[2:3]
	v_add_nc_u64_e32 v[32:33], -1, v[32:33]
; %bb.8680:                             ;   in Loop: Header=BB6_7947 Depth=3
	s_or_b32 exec_lo, exec_lo, s75
	v_add_nc_u32_e32 v2, 0xffffff81, v37
	v_lshrrev_b32_e32 v25, 23, v24
	s_mov_b32 s13, exec_lo
	s_delay_alu instid0(VALU_DEP_2) | instskip(NEXT) | instid1(VALU_DEP_1)
	v_cndmask_b32_e64 v2, v2, 0xffffff82, vcc_lo
	v_add3_u32 v33, v0, v2, v25
	v_and_b32_e32 v0, 0xfffff, v32
	s_delay_alu instid0(VALU_DEP_1) | instskip(NEXT) | instid1(VALU_DEP_1)
	v_dual_add_nc_u32 v32, 6, v33 :: v_dual_add_nc_u32 v2, v0, v24
                                        ; implicit-def: $vgpr24_vgpr25
                                        ; implicit-def: $vgpr0
	v_cmpx_ne_u32_e32 0, v32
	s_xor_b32 s13, exec_lo, s13
; %bb.8681:                             ;   in Loop: Header=BB6_7947 Depth=3
	s_delay_alu instid0(VALU_DEP_2) | instskip(SKIP_2) | instid1(VALU_DEP_2)
	v_cmp_lt_u64_e32 vcc_lo, 0xffffff, v[2:3]
	v_add_nc_u32_e32 v0, 7, v33
	v_cndmask_b32_e64 v24, 0, 1, vcc_lo
	v_cndmask_b32_e32 v0, v32, v0, vcc_lo
	s_delay_alu instid0(VALU_DEP_2)
	v_lshrrev_b64 v[24:25], v24, v[2:3]
; %bb.8682:                             ;   in Loop: Header=BB6_7947 Depth=3
	s_and_not1_saveexec_b32 s13, s13
; %bb.8683:                             ;   in Loop: Header=BB6_7947 Depth=3
	v_mov_b64_e32 v[24:25], v[2:3]
	v_bfe_u32 v0, v2, 23, 1
; %bb.8684:                             ;   in Loop: Header=BB6_7947 Depth=3
	s_or_b32 exec_lo, exec_lo, s13
	s_delay_alu instid0(VALU_DEP_2) | instskip(NEXT) | instid1(VALU_DEP_2)
	v_lshrrev_b64 v[24:25], 20, v[24:25]
	v_cmp_gt_i32_e32 vcc_lo, 16, v0
	v_min_i32_e32 v2, 15, v0
	v_cmp_eq_u32_e64 s13, 0, v0
	s_delay_alu instid0(VALU_DEP_2) | instskip(SKIP_1) | instid1(VALU_DEP_2)
	v_dual_cndmask_b32 v25, 0, v25 :: v_dual_lshlrev_b32 v2, 3, v2
	v_cndmask_b32_e32 v24, 7, v24, vcc_lo
	v_and_b32_e32 v2, 0xf8, v2
	s_delay_alu instid0(VALU_DEP_2) | instskip(NEXT) | instid1(VALU_DEP_2)
	v_cmp_eq_u64_e32 vcc_lo, 0, v[24:25]
	v_and_or_b32 v0, v24, 7, v2
	s_and_b32 s13, s13, vcc_lo
	s_delay_alu instid0(VALU_DEP_1) | instid1(SALU_CYCLE_1)
	v_cndmask_b32_e64 v0, v0, 0, s13
	s_delay_alu instid0(VALU_DEP_1)
	v_or_b32_e32 v37, v0, v38
.LBB6_8685:                             ;   in Loop: Header=BB6_7947 Depth=3
	s_or_b32 exec_lo, exec_lo, s74
                                        ; implicit-def: $vgpr38
.LBB6_8686:                             ;   in Loop: Header=BB6_7947 Depth=3
	s_and_not1_saveexec_b32 s13, s45
; %bb.8687:                             ;   in Loop: Header=BB6_7947 Depth=3
	v_or_b32_e32 v37, 0x7e, v38
; %bb.8688:                             ;   in Loop: Header=BB6_7947 Depth=3
	s_or_b32 exec_lo, exec_lo, s13
                                        ; implicit-def: $vgpr24
.LBB6_8689:                             ;   in Loop: Header=BB6_7947 Depth=3
	s_and_not1_saveexec_b32 s13, s44
; %bb.8690:                             ;   in Loop: Header=BB6_7947 Depth=3
	v_or_b32_e32 v37, 0x7f, v24
; %bb.8691:                             ;   in Loop: Header=BB6_7947 Depth=3
	s_or_b32 exec_lo, exec_lo, s13
	v_and_b32_e32 v0, 0xff, v34
	v_dual_mov_b32 v2, 0 :: v_dual_mov_b32 v24, 0
	s_mov_b32 s13, exec_lo
	s_delay_alu instid0(VALU_DEP_2)
	v_cmpx_ne_u16_e32 0, v0
	s_cbranch_execz .LBB6_8697
; %bb.8692:                             ;   in Loop: Header=BB6_7947 Depth=3
	v_bfrev_b32_e32 v24, 1
	s_mov_b32 s44, exec_lo
	v_cmpx_ne_u16_e32 0x80, v0
	s_cbranch_execz .LBB6_8696
; %bb.8693:                             ;   in Loop: Header=BB6_7947 Depth=3
	v_and_b32_e32 v0, 0x7f, v34
	v_mov_b32_e32 v24, 0x7f800001
	s_mov_b32 s45, exec_lo
	s_delay_alu instid0(VALU_DEP_2)
	v_cmpx_ne_u32_e32 0x7f, v0
	s_cbranch_execz .LBB6_8695
; %bb.8694:                             ;   in Loop: Header=BB6_7947 Depth=3
	v_dual_lshrrev_b32 v25, 3, v0 :: v_dual_bitop2_b32 v24, 7, v34 bitop3:0x40
	v_cmp_gt_u32_e32 vcc_lo, 8, v0
	s_delay_alu instid0(VALU_DEP_2) | instskip(NEXT) | instid1(VALU_DEP_1)
	v_clz_i32_u32_e32 v0, v24
	v_min_u32_e32 v0, 32, v0
	s_delay_alu instid0(VALU_DEP_1) | instskip(SKIP_1) | instid1(VALU_DEP_2)
	v_subrev_nc_u32_e32 v24, 28, v0
	v_sub_nc_u32_e32 v0, 29, v0
	v_cndmask_b32_e32 v24, 0, v24, vcc_lo
	s_delay_alu instid0(VALU_DEP_2) | instskip(NEXT) | instid1(VALU_DEP_2)
	v_cndmask_b32_e32 v0, v25, v0, vcc_lo
	v_lshlrev_b64_e32 v[24:25], v24, v[34:35]
	v_lshlrev_b32_e32 v25, 24, v34
	s_delay_alu instid0(VALU_DEP_3) | instskip(NEXT) | instid1(VALU_DEP_2)
	v_lshl_add_u32 v0, v0, 23, 0x3c000000
	v_and_b32_e32 v25, 0x80000000, v25
	s_delay_alu instid0(VALU_DEP_4) | instskip(NEXT) | instid1(VALU_DEP_1)
	v_lshlrev_b32_e32 v24, 20, v24
	v_and_b32_e32 v24, 0x700000, v24
	s_delay_alu instid0(VALU_DEP_1)
	v_or3_b32 v24, v24, v25, v0
.LBB6_8695:                             ;   in Loop: Header=BB6_7947 Depth=3
	s_or_b32 exec_lo, exec_lo, s45
.LBB6_8696:                             ;   in Loop: Header=BB6_7947 Depth=3
	s_delay_alu instid0(SALU_CYCLE_1)
	s_or_b32 exec_lo, exec_lo, s44
.LBB6_8697:                             ;   in Loop: Header=BB6_7947 Depth=3
	s_delay_alu instid0(SALU_CYCLE_1) | instskip(SKIP_2) | instid1(VALU_DEP_1)
	s_or_b32 exec_lo, exec_lo, s13
	v_and_b32_e32 v0, 0xff, v26
	s_mov_b32 s13, exec_lo
	v_cmpx_ne_u16_e32 0, v0
	s_cbranch_execz .LBB6_8703
; %bb.8698:                             ;   in Loop: Header=BB6_7947 Depth=3
	v_bfrev_b32_e32 v2, 1
	s_mov_b32 s44, exec_lo
	v_cmpx_ne_u16_e32 0x80, v0
	s_cbranch_execz .LBB6_8702
; %bb.8699:                             ;   in Loop: Header=BB6_7947 Depth=3
	v_and_b32_e32 v0, 0x7f, v26
	v_mov_b32_e32 v2, 0x7f800001
	s_mov_b32 s45, exec_lo
	s_delay_alu instid0(VALU_DEP_2)
	v_cmpx_ne_u32_e32 0x7f, v0
	s_cbranch_execz .LBB6_8701
; %bb.8700:                             ;   in Loop: Header=BB6_7947 Depth=3
	v_dual_lshrrev_b32 v25, 3, v0 :: v_dual_bitop2_b32 v2, 7, v26 bitop3:0x40
	v_cmp_gt_u32_e32 vcc_lo, 8, v0
	s_delay_alu instid0(VALU_DEP_2) | instskip(NEXT) | instid1(VALU_DEP_1)
	v_clz_i32_u32_e32 v0, v2
	v_min_u32_e32 v0, 32, v0
	s_delay_alu instid0(VALU_DEP_1) | instskip(NEXT) | instid1(VALU_DEP_1)
	v_subrev_nc_u32_e32 v2, 28, v0
	v_dual_sub_nc_u32 v0, 29, v0 :: v_dual_cndmask_b32 v2, 0, v2, vcc_lo
	s_delay_alu instid0(VALU_DEP_1) | instskip(NEXT) | instid1(VALU_DEP_2)
	v_dual_cndmask_b32 v0, v25, v0 :: v_dual_lshlrev_b32 v25, 24, v26
	v_lshlrev_b64_e32 v[32:33], v2, v[26:27]
	s_delay_alu instid0(VALU_DEP_2) | instskip(NEXT) | instid1(VALU_DEP_3)
	v_lshl_add_u32 v0, v0, 23, 0x3c000000
	v_and_b32_e32 v25, 0x80000000, v25
	s_delay_alu instid0(VALU_DEP_3) | instskip(NEXT) | instid1(VALU_DEP_1)
	v_lshlrev_b32_e32 v2, 20, v32
	v_and_b32_e32 v2, 0x700000, v2
	s_delay_alu instid0(VALU_DEP_1)
	v_or3_b32 v2, v2, v25, v0
.LBB6_8701:                             ;   in Loop: Header=BB6_7947 Depth=3
	s_or_b32 exec_lo, exec_lo, s45
.LBB6_8702:                             ;   in Loop: Header=BB6_7947 Depth=3
	s_delay_alu instid0(SALU_CYCLE_1)
	s_or_b32 exec_lo, exec_lo, s44
.LBB6_8703:                             ;   in Loop: Header=BB6_7947 Depth=3
	s_delay_alu instid0(SALU_CYCLE_1) | instskip(NEXT) | instid1(VALU_DEP_1)
	s_or_b32 exec_lo, exec_lo, s13
	v_add_f32_e32 v0, v24, v2
                                        ; implicit-def: $vgpr38
	s_mov_b32 s13, exec_lo
	s_delay_alu instid0(VALU_DEP_1) | instskip(SKIP_1) | instid1(VALU_DEP_2)
	v_and_b32_e32 v2, 0x7f800000, v0
	v_lshrrev_b32_e32 v24, 24, v0
	v_cmpx_ne_u64_e32 0x7f800000, v[2:3]
	s_xor_b32 s44, exec_lo, s13
	s_cbranch_execz .LBB6_8717
; %bb.8704:                             ;   in Loop: Header=BB6_7947 Depth=3
	v_and_b32_e32 v2, 0x7fffffff, v0
	v_and_b32_e32 v39, 0x80, v24
                                        ; implicit-def: $vgpr38
	s_mov_b32 s13, exec_lo
	s_delay_alu instid0(VALU_DEP_2)
	v_cmpx_gt_u64_e32 0x43e00001, v[2:3]
	s_xor_b32 s45, exec_lo, s13
	s_cbranch_execz .LBB6_8714
; %bb.8705:                             ;   in Loop: Header=BB6_7947 Depth=3
	v_mov_b32_e32 v38, 0
	s_mov_b32 s74, exec_lo
	v_cmpx_ne_u32_e32 0, v0
	s_cbranch_execz .LBB6_8713
; %bb.8706:                             ;   in Loop: Header=BB6_7947 Depth=3
	v_bfe_u32 v38, v0, 23, 8
	v_and_b32_e32 v2, 0x7fffff, v0
	s_delay_alu instid0(VALU_DEP_2) | instskip(SKIP_2) | instid1(VALU_DEP_4)
	v_cmp_gt_u32_e64 s13, 0x7a, v38
	v_sub_nc_u32_e32 v0, 0x79, v38
	v_cmp_eq_u32_e32 vcc_lo, 0, v38
	v_or_b32_e32 v24, 0x800000, v2
	s_delay_alu instid0(VALU_DEP_1) | instskip(NEXT) | instid1(VALU_DEP_1)
	v_dual_cndmask_b32 v0, 0, v0, s13 :: v_dual_cndmask_b32 v2, v24, v2, vcc_lo
	v_cndmask_b32_e64 v0, v0, 0x78, vcc_lo
	s_delay_alu instid0(VALU_DEP_1) | instskip(NEXT) | instid1(VALU_DEP_1)
	v_dual_add_nc_u32 v24, 20, v0 :: v_dual_add_nc_u32 v32, 19, v0
	v_lshlrev_b64_e64 v[24:25], v24, -1
	s_delay_alu instid0(VALU_DEP_2) | instskip(NEXT) | instid1(VALU_DEP_2)
	v_lshlrev_b64_e64 v[32:33], v32, 1
	v_bfi_b32 v25, v25, 0, 0
	s_delay_alu instid0(VALU_DEP_3) | instskip(NEXT) | instid1(VALU_DEP_1)
	v_bfi_b32 v24, v24, 0, v2
	v_cmp_eq_u64_e64 s13, v[24:25], v[32:33]
	v_lshrrev_b64 v[24:25], v0, v[2:3]
	s_delay_alu instid0(VALU_DEP_1)
	v_mov_b64_e32 v[32:33], v[24:25]
	s_and_saveexec_b32 s75, s13
; %bb.8707:                             ;   in Loop: Header=BB6_7947 Depth=3
	v_bfe_u32 v2, v24, 20, 1
	s_delay_alu instid0(VALU_DEP_1) | instskip(NEXT) | instid1(VALU_DEP_1)
	v_add_nc_u64_e32 v[32:33], v[24:25], v[2:3]
	v_add_nc_u64_e32 v[32:33], -1, v[32:33]
; %bb.8708:                             ;   in Loop: Header=BB6_7947 Depth=3
	s_or_b32 exec_lo, exec_lo, s75
	v_add_nc_u32_e32 v2, 0xffffff81, v38
	v_lshrrev_b32_e32 v25, 23, v24
	s_mov_b32 s13, exec_lo
	s_delay_alu instid0(VALU_DEP_2) | instskip(NEXT) | instid1(VALU_DEP_1)
	v_cndmask_b32_e64 v2, v2, 0xffffff82, vcc_lo
	v_add3_u32 v33, v0, v2, v25
	v_and_b32_e32 v0, 0xfffff, v32
	s_delay_alu instid0(VALU_DEP_1) | instskip(NEXT) | instid1(VALU_DEP_1)
	v_dual_add_nc_u32 v32, 6, v33 :: v_dual_add_nc_u32 v2, v0, v24
                                        ; implicit-def: $vgpr24_vgpr25
                                        ; implicit-def: $vgpr0
	v_cmpx_ne_u32_e32 0, v32
	s_xor_b32 s13, exec_lo, s13
; %bb.8709:                             ;   in Loop: Header=BB6_7947 Depth=3
	s_delay_alu instid0(VALU_DEP_2) | instskip(SKIP_2) | instid1(VALU_DEP_2)
	v_cmp_lt_u64_e32 vcc_lo, 0xffffff, v[2:3]
	v_add_nc_u32_e32 v0, 7, v33
	v_cndmask_b32_e64 v24, 0, 1, vcc_lo
	v_cndmask_b32_e32 v0, v32, v0, vcc_lo
	s_delay_alu instid0(VALU_DEP_2)
	v_lshrrev_b64 v[24:25], v24, v[2:3]
; %bb.8710:                             ;   in Loop: Header=BB6_7947 Depth=3
	s_and_not1_saveexec_b32 s13, s13
; %bb.8711:                             ;   in Loop: Header=BB6_7947 Depth=3
	v_mov_b64_e32 v[24:25], v[2:3]
	v_bfe_u32 v0, v2, 23, 1
; %bb.8712:                             ;   in Loop: Header=BB6_7947 Depth=3
	s_or_b32 exec_lo, exec_lo, s13
	s_delay_alu instid0(VALU_DEP_2) | instskip(NEXT) | instid1(VALU_DEP_2)
	v_lshrrev_b64 v[24:25], 20, v[24:25]
	v_cmp_gt_i32_e32 vcc_lo, 16, v0
	v_min_i32_e32 v2, 15, v0
	v_cmp_eq_u32_e64 s13, 0, v0
	s_delay_alu instid0(VALU_DEP_2) | instskip(SKIP_1) | instid1(VALU_DEP_2)
	v_dual_cndmask_b32 v25, 0, v25 :: v_dual_lshlrev_b32 v2, 3, v2
	v_cndmask_b32_e32 v24, 7, v24, vcc_lo
	v_and_b32_e32 v2, 0xf8, v2
	s_delay_alu instid0(VALU_DEP_2) | instskip(NEXT) | instid1(VALU_DEP_2)
	v_cmp_eq_u64_e32 vcc_lo, 0, v[24:25]
	v_and_or_b32 v0, v24, 7, v2
	s_and_b32 s13, s13, vcc_lo
	s_delay_alu instid0(VALU_DEP_1) | instid1(SALU_CYCLE_1)
	v_cndmask_b32_e64 v0, v0, 0, s13
	s_delay_alu instid0(VALU_DEP_1)
	v_or_b32_e32 v38, v0, v39
.LBB6_8713:                             ;   in Loop: Header=BB6_7947 Depth=3
	s_or_b32 exec_lo, exec_lo, s74
                                        ; implicit-def: $vgpr39
.LBB6_8714:                             ;   in Loop: Header=BB6_7947 Depth=3
	s_and_not1_saveexec_b32 s13, s45
; %bb.8715:                             ;   in Loop: Header=BB6_7947 Depth=3
	v_or_b32_e32 v38, 0x7e, v39
; %bb.8716:                             ;   in Loop: Header=BB6_7947 Depth=3
	s_or_b32 exec_lo, exec_lo, s13
                                        ; implicit-def: $vgpr24
.LBB6_8717:                             ;   in Loop: Header=BB6_7947 Depth=3
	s_and_not1_saveexec_b32 s13, s44
; %bb.8718:                             ;   in Loop: Header=BB6_7947 Depth=3
	v_or_b32_e32 v38, 0x7f, v24
; %bb.8719:                             ;   in Loop: Header=BB6_7947 Depth=3
	s_or_b32 exec_lo, exec_lo, s13
	v_lshrrev_b16 v0, 8, v34
	v_dual_mov_b32 v32, 0 :: v_dual_mov_b32 v33, 0
	s_mov_b32 s13, exec_lo
	s_delay_alu instid0(VALU_DEP_2)
	v_cmpx_ne_u16_e32 0, v0
	s_cbranch_execz .LBB6_8727
; %bb.8720:                             ;   in Loop: Header=BB6_7947 Depth=3
	v_bfrev_b32_e32 v33, 1
	s_mov_b32 s44, exec_lo
	v_cmpx_ne_u16_e32 0x80, v0
	s_cbranch_execz .LBB6_8726
; %bb.8721:                             ;   in Loop: Header=BB6_7947 Depth=3
	v_and_b32_e32 v0, 0xffff, v0
	v_mov_b32_e32 v33, 0x7f800001
	s_mov_b32 s45, exec_lo
	s_delay_alu instid0(VALU_DEP_2) | instskip(NEXT) | instid1(VALU_DEP_1)
	v_and_b32_e32 v24, 0x7f, v0
	v_cmpx_ne_u32_e32 0x7f, v24
	s_cbranch_execz .LBB6_8725
; %bb.8722:                             ;   in Loop: Header=BB6_7947 Depth=3
	v_and_b32_e32 v2, 7, v0
	v_lshrrev_b32_e32 v0, 3, v24
	v_cmp_gt_u32_e32 vcc_lo, 8, v24
	s_delay_alu instid0(VALU_DEP_3)
	v_mov_b64_e32 v[24:25], v[2:3]
	s_and_saveexec_b32 s74, vcc_lo
; %bb.8723:                             ;   in Loop: Header=BB6_7947 Depth=3
	v_clz_i32_u32_e32 v0, v2
	s_delay_alu instid0(VALU_DEP_1) | instskip(NEXT) | instid1(VALU_DEP_1)
	v_min_u32_e32 v0, 32, v0
	v_subrev_nc_u32_e32 v24, 28, v0
	v_sub_nc_u32_e32 v0, 29, v0
	s_delay_alu instid0(VALU_DEP_2) | instskip(NEXT) | instid1(VALU_DEP_1)
	v_lshlrev_b64_e32 v[24:25], v24, v[2:3]
	v_and_b32_e32 v24, 7, v24
; %bb.8724:                             ;   in Loop: Header=BB6_7947 Depth=3
	s_or_b32 exec_lo, exec_lo, s74
	s_delay_alu instid0(VALU_DEP_1) | instskip(SKIP_1) | instid1(VALU_DEP_2)
	v_dual_lshlrev_b32 v2, 16, v34 :: v_dual_lshlrev_b32 v24, 20, v24
	v_lshl_add_u32 v0, v0, 23, 0x3c000000
	v_and_b32_e32 v2, 0x80000000, v2
	s_delay_alu instid0(VALU_DEP_1)
	v_or3_b32 v33, v24, v2, v0
.LBB6_8725:                             ;   in Loop: Header=BB6_7947 Depth=3
	s_or_b32 exec_lo, exec_lo, s45
.LBB6_8726:                             ;   in Loop: Header=BB6_7947 Depth=3
	s_delay_alu instid0(SALU_CYCLE_1)
	s_or_b32 exec_lo, exec_lo, s44
.LBB6_8727:                             ;   in Loop: Header=BB6_7947 Depth=3
	s_delay_alu instid0(SALU_CYCLE_1) | instskip(SKIP_2) | instid1(VALU_DEP_1)
	s_or_b32 exec_lo, exec_lo, s13
	v_lshrrev_b16 v0, 8, v26
	s_mov_b32 s13, exec_lo
	v_cmpx_ne_u16_e32 0, v0
	s_cbranch_execz .LBB6_8735
; %bb.8728:                             ;   in Loop: Header=BB6_7947 Depth=3
	v_bfrev_b32_e32 v32, 1
	s_mov_b32 s44, exec_lo
	v_cmpx_ne_u16_e32 0x80, v0
	s_cbranch_execz .LBB6_8734
; %bb.8729:                             ;   in Loop: Header=BB6_7947 Depth=3
	v_and_b32_e32 v0, 0xffff, v0
	v_mov_b32_e32 v32, 0x7f800001
	s_mov_b32 s45, exec_lo
	s_delay_alu instid0(VALU_DEP_2) | instskip(NEXT) | instid1(VALU_DEP_1)
	v_and_b32_e32 v24, 0x7f, v0
	v_cmpx_ne_u32_e32 0x7f, v24
	s_cbranch_execz .LBB6_8733
; %bb.8730:                             ;   in Loop: Header=BB6_7947 Depth=3
	v_and_b32_e32 v2, 7, v0
	v_lshrrev_b32_e32 v0, 3, v24
	v_cmp_gt_u32_e32 vcc_lo, 8, v24
	s_delay_alu instid0(VALU_DEP_3)
	v_mov_b64_e32 v[24:25], v[2:3]
	s_and_saveexec_b32 s74, vcc_lo
; %bb.8731:                             ;   in Loop: Header=BB6_7947 Depth=3
	v_clz_i32_u32_e32 v0, v2
	s_delay_alu instid0(VALU_DEP_1) | instskip(NEXT) | instid1(VALU_DEP_1)
	v_min_u32_e32 v0, 32, v0
	v_subrev_nc_u32_e32 v24, 28, v0
	v_sub_nc_u32_e32 v0, 29, v0
	s_delay_alu instid0(VALU_DEP_2) | instskip(NEXT) | instid1(VALU_DEP_1)
	v_lshlrev_b64_e32 v[24:25], v24, v[2:3]
	v_and_b32_e32 v24, 7, v24
; %bb.8732:                             ;   in Loop: Header=BB6_7947 Depth=3
	s_or_b32 exec_lo, exec_lo, s74
	s_delay_alu instid0(VALU_DEP_1) | instskip(SKIP_1) | instid1(VALU_DEP_2)
	v_dual_lshlrev_b32 v2, 16, v26 :: v_dual_lshlrev_b32 v24, 20, v24
	v_lshl_add_u32 v0, v0, 23, 0x3c000000
	v_and_b32_e32 v2, 0x80000000, v2
	s_delay_alu instid0(VALU_DEP_1)
	v_or3_b32 v32, v24, v2, v0
.LBB6_8733:                             ;   in Loop: Header=BB6_7947 Depth=3
	s_or_b32 exec_lo, exec_lo, s45
.LBB6_8734:                             ;   in Loop: Header=BB6_7947 Depth=3
	s_delay_alu instid0(SALU_CYCLE_1)
	s_or_b32 exec_lo, exec_lo, s44
.LBB6_8735:                             ;   in Loop: Header=BB6_7947 Depth=3
	s_delay_alu instid0(SALU_CYCLE_1) | instskip(NEXT) | instid1(VALU_DEP_1)
	s_or_b32 exec_lo, exec_lo, s13
	v_add_f32_e32 v0, v33, v32
                                        ; implicit-def: $vgpr39
	s_mov_b32 s13, exec_lo
	s_delay_alu instid0(VALU_DEP_1) | instskip(SKIP_1) | instid1(VALU_DEP_2)
	v_and_b32_e32 v2, 0x7f800000, v0
	v_lshrrev_b32_e32 v24, 24, v0
	v_cmpx_ne_u64_e32 0x7f800000, v[2:3]
	s_xor_b32 s44, exec_lo, s13
	s_cbranch_execz .LBB6_8749
; %bb.8736:                             ;   in Loop: Header=BB6_7947 Depth=3
	v_and_b32_e32 v2, 0x7fffffff, v0
	v_and_b32_e32 v53, 0x80, v24
                                        ; implicit-def: $vgpr39
	s_mov_b32 s13, exec_lo
	s_delay_alu instid0(VALU_DEP_2)
	v_cmpx_gt_u64_e32 0x43e00001, v[2:3]
	s_xor_b32 s45, exec_lo, s13
	s_cbranch_execz .LBB6_8746
; %bb.8737:                             ;   in Loop: Header=BB6_7947 Depth=3
	v_mov_b32_e32 v39, 0
	s_mov_b32 s74, exec_lo
	v_cmpx_ne_u32_e32 0, v0
	s_cbranch_execz .LBB6_8745
; %bb.8738:                             ;   in Loop: Header=BB6_7947 Depth=3
	v_bfe_u32 v39, v0, 23, 8
	v_and_b32_e32 v2, 0x7fffff, v0
	s_delay_alu instid0(VALU_DEP_2) | instskip(SKIP_2) | instid1(VALU_DEP_4)
	v_cmp_gt_u32_e64 s13, 0x7a, v39
	v_sub_nc_u32_e32 v0, 0x79, v39
	v_cmp_eq_u32_e32 vcc_lo, 0, v39
	v_or_b32_e32 v24, 0x800000, v2
	s_delay_alu instid0(VALU_DEP_1) | instskip(NEXT) | instid1(VALU_DEP_1)
	v_dual_cndmask_b32 v0, 0, v0, s13 :: v_dual_cndmask_b32 v2, v24, v2, vcc_lo
	v_cndmask_b32_e64 v0, v0, 0x78, vcc_lo
	s_delay_alu instid0(VALU_DEP_1) | instskip(NEXT) | instid1(VALU_DEP_1)
	v_dual_add_nc_u32 v24, 20, v0 :: v_dual_add_nc_u32 v32, 19, v0
	v_lshlrev_b64_e64 v[24:25], v24, -1
	s_delay_alu instid0(VALU_DEP_2) | instskip(NEXT) | instid1(VALU_DEP_2)
	v_lshlrev_b64_e64 v[32:33], v32, 1
	v_bfi_b32 v25, v25, 0, 0
	s_delay_alu instid0(VALU_DEP_3) | instskip(NEXT) | instid1(VALU_DEP_1)
	v_bfi_b32 v24, v24, 0, v2
	v_cmp_eq_u64_e64 s13, v[24:25], v[32:33]
	v_lshrrev_b64 v[24:25], v0, v[2:3]
	s_delay_alu instid0(VALU_DEP_1)
	v_mov_b64_e32 v[32:33], v[24:25]
	s_and_saveexec_b32 s75, s13
; %bb.8739:                             ;   in Loop: Header=BB6_7947 Depth=3
	v_bfe_u32 v2, v24, 20, 1
	s_delay_alu instid0(VALU_DEP_1) | instskip(NEXT) | instid1(VALU_DEP_1)
	v_add_nc_u64_e32 v[32:33], v[24:25], v[2:3]
	v_add_nc_u64_e32 v[32:33], -1, v[32:33]
; %bb.8740:                             ;   in Loop: Header=BB6_7947 Depth=3
	s_or_b32 exec_lo, exec_lo, s75
	v_add_nc_u32_e32 v2, 0xffffff81, v39
	v_lshrrev_b32_e32 v25, 23, v24
	s_mov_b32 s13, exec_lo
	s_delay_alu instid0(VALU_DEP_2) | instskip(NEXT) | instid1(VALU_DEP_1)
	v_cndmask_b32_e64 v2, v2, 0xffffff82, vcc_lo
	v_add3_u32 v33, v0, v2, v25
	v_and_b32_e32 v0, 0xfffff, v32
	s_delay_alu instid0(VALU_DEP_1) | instskip(NEXT) | instid1(VALU_DEP_1)
	v_dual_add_nc_u32 v32, 6, v33 :: v_dual_add_nc_u32 v2, v0, v24
                                        ; implicit-def: $vgpr24_vgpr25
                                        ; implicit-def: $vgpr0
	v_cmpx_ne_u32_e32 0, v32
	s_xor_b32 s13, exec_lo, s13
; %bb.8741:                             ;   in Loop: Header=BB6_7947 Depth=3
	s_delay_alu instid0(VALU_DEP_2) | instskip(SKIP_2) | instid1(VALU_DEP_2)
	v_cmp_lt_u64_e32 vcc_lo, 0xffffff, v[2:3]
	v_add_nc_u32_e32 v0, 7, v33
	v_cndmask_b32_e64 v24, 0, 1, vcc_lo
	v_cndmask_b32_e32 v0, v32, v0, vcc_lo
	s_delay_alu instid0(VALU_DEP_2)
	v_lshrrev_b64 v[24:25], v24, v[2:3]
; %bb.8742:                             ;   in Loop: Header=BB6_7947 Depth=3
	s_and_not1_saveexec_b32 s13, s13
; %bb.8743:                             ;   in Loop: Header=BB6_7947 Depth=3
	v_mov_b64_e32 v[24:25], v[2:3]
	v_bfe_u32 v0, v2, 23, 1
; %bb.8744:                             ;   in Loop: Header=BB6_7947 Depth=3
	s_or_b32 exec_lo, exec_lo, s13
	s_delay_alu instid0(VALU_DEP_2) | instskip(NEXT) | instid1(VALU_DEP_2)
	v_lshrrev_b64 v[24:25], 20, v[24:25]
	v_cmp_gt_i32_e32 vcc_lo, 16, v0
	v_min_i32_e32 v2, 15, v0
	v_cmp_eq_u32_e64 s13, 0, v0
	s_delay_alu instid0(VALU_DEP_2) | instskip(SKIP_1) | instid1(VALU_DEP_2)
	v_dual_cndmask_b32 v25, 0, v25 :: v_dual_lshlrev_b32 v2, 3, v2
	v_cndmask_b32_e32 v24, 7, v24, vcc_lo
	v_and_b32_e32 v2, 0xf8, v2
	s_delay_alu instid0(VALU_DEP_2) | instskip(NEXT) | instid1(VALU_DEP_2)
	v_cmp_eq_u64_e32 vcc_lo, 0, v[24:25]
	v_and_or_b32 v0, v24, 7, v2
	s_and_b32 s13, s13, vcc_lo
	s_delay_alu instid0(VALU_DEP_1) | instid1(SALU_CYCLE_1)
	v_cndmask_b32_e64 v0, v0, 0, s13
	s_delay_alu instid0(VALU_DEP_1)
	v_or_b32_e32 v39, v0, v53
.LBB6_8745:                             ;   in Loop: Header=BB6_7947 Depth=3
	s_or_b32 exec_lo, exec_lo, s74
                                        ; implicit-def: $vgpr53
.LBB6_8746:                             ;   in Loop: Header=BB6_7947 Depth=3
	s_and_not1_saveexec_b32 s13, s45
; %bb.8747:                             ;   in Loop: Header=BB6_7947 Depth=3
	v_or_b32_e32 v39, 0x7e, v53
; %bb.8748:                             ;   in Loop: Header=BB6_7947 Depth=3
	s_or_b32 exec_lo, exec_lo, s13
                                        ; implicit-def: $vgpr24
.LBB6_8749:                             ;   in Loop: Header=BB6_7947 Depth=3
	s_and_not1_saveexec_b32 s13, s44
; %bb.8750:                             ;   in Loop: Header=BB6_7947 Depth=3
	v_or_b32_e32 v39, 0x7f, v24
; %bb.8751:                             ;   in Loop: Header=BB6_7947 Depth=3
	s_or_b32 exec_lo, exec_lo, s13
	v_dual_lshrrev_b32 v0, 16, v34 :: v_dual_mov_b32 v32, 0
	v_mov_b32_e32 v33, 0
	s_mov_b32 s13, exec_lo
	s_delay_alu instid0(VALU_DEP_2) | instskip(NEXT) | instid1(VALU_DEP_1)
	v_and_b32_e32 v2, 0xff, v0
	v_cmpx_ne_u16_e32 0, v2
	s_cbranch_execz .LBB6_8759
; %bb.8752:                             ;   in Loop: Header=BB6_7947 Depth=3
	v_bfrev_b32_e32 v33, 1
	s_mov_b32 s44, exec_lo
	v_cmpx_ne_u16_e32 0x80, v2
	s_cbranch_execz .LBB6_8758
; %bb.8753:                             ;   in Loop: Header=BB6_7947 Depth=3
	v_bfe_u32 v24, v34, 16, 7
	v_mov_b32_e32 v33, 0x7f800001
	s_mov_b32 s45, exec_lo
	s_delay_alu instid0(VALU_DEP_2)
	v_cmpx_ne_u32_e32 0x7f, v24
	s_cbranch_execz .LBB6_8757
; %bb.8754:                             ;   in Loop: Header=BB6_7947 Depth=3
	v_and_b32_e32 v2, 7, v0
	v_lshrrev_b32_e32 v33, 3, v24
	v_cmp_gt_u32_e32 vcc_lo, 8, v24
	s_delay_alu instid0(VALU_DEP_3)
	v_mov_b64_e32 v[24:25], v[2:3]
	s_and_saveexec_b32 s74, vcc_lo
; %bb.8755:                             ;   in Loop: Header=BB6_7947 Depth=3
	v_clz_i32_u32_e32 v24, v2
	s_delay_alu instid0(VALU_DEP_1) | instskip(NEXT) | instid1(VALU_DEP_1)
	v_min_u32_e32 v33, 32, v24
	v_subrev_nc_u32_e32 v24, 28, v33
	s_delay_alu instid0(VALU_DEP_1) | instskip(NEXT) | instid1(VALU_DEP_1)
	v_lshlrev_b64_e32 v[24:25], v24, v[2:3]
	v_dual_sub_nc_u32 v33, 29, v33 :: v_dual_bitop2_b32 v24, 7, v24 bitop3:0x40
; %bb.8756:                             ;   in Loop: Header=BB6_7947 Depth=3
	s_or_b32 exec_lo, exec_lo, s74
	v_lshlrev_b32_e32 v0, 24, v0
	s_delay_alu instid0(VALU_DEP_2) | instskip(NEXT) | instid1(VALU_DEP_3)
	v_lshlrev_b32_e32 v2, 20, v24
	v_lshl_add_u32 v24, v33, 23, 0x3c000000
	s_delay_alu instid0(VALU_DEP_3) | instskip(NEXT) | instid1(VALU_DEP_1)
	v_and_b32_e32 v0, 0x80000000, v0
	v_or3_b32 v33, v2, v0, v24
.LBB6_8757:                             ;   in Loop: Header=BB6_7947 Depth=3
	s_or_b32 exec_lo, exec_lo, s45
.LBB6_8758:                             ;   in Loop: Header=BB6_7947 Depth=3
	s_delay_alu instid0(SALU_CYCLE_1)
	s_or_b32 exec_lo, exec_lo, s44
.LBB6_8759:                             ;   in Loop: Header=BB6_7947 Depth=3
	s_delay_alu instid0(SALU_CYCLE_1) | instskip(SKIP_2) | instid1(VALU_DEP_1)
	s_or_b32 exec_lo, exec_lo, s13
	v_lshrrev_b32_e32 v0, 16, v26
	s_mov_b32 s13, exec_lo
	v_and_b32_e32 v2, 0xff, v0
	s_delay_alu instid0(VALU_DEP_1)
	v_cmpx_ne_u16_e32 0, v2
	s_cbranch_execz .LBB6_8767
; %bb.8760:                             ;   in Loop: Header=BB6_7947 Depth=3
	v_bfrev_b32_e32 v32, 1
	s_mov_b32 s44, exec_lo
	v_cmpx_ne_u16_e32 0x80, v2
	s_cbranch_execz .LBB6_8766
; %bb.8761:                             ;   in Loop: Header=BB6_7947 Depth=3
	v_bfe_u32 v24, v26, 16, 7
	v_mov_b32_e32 v32, 0x7f800001
	s_mov_b32 s45, exec_lo
	s_delay_alu instid0(VALU_DEP_2)
	v_cmpx_ne_u32_e32 0x7f, v24
	s_cbranch_execz .LBB6_8765
; %bb.8762:                             ;   in Loop: Header=BB6_7947 Depth=3
	v_and_b32_e32 v2, 7, v0
	v_lshrrev_b32_e32 v0, 3, v24
	v_cmp_gt_u32_e32 vcc_lo, 8, v24
	s_delay_alu instid0(VALU_DEP_3)
	v_mov_b64_e32 v[24:25], v[2:3]
	s_and_saveexec_b32 s74, vcc_lo
; %bb.8763:                             ;   in Loop: Header=BB6_7947 Depth=3
	v_clz_i32_u32_e32 v0, v2
	s_delay_alu instid0(VALU_DEP_1) | instskip(NEXT) | instid1(VALU_DEP_1)
	v_min_u32_e32 v0, 32, v0
	v_subrev_nc_u32_e32 v24, 28, v0
	v_sub_nc_u32_e32 v0, 29, v0
	s_delay_alu instid0(VALU_DEP_2) | instskip(NEXT) | instid1(VALU_DEP_1)
	v_lshlrev_b64_e32 v[24:25], v24, v[2:3]
	v_and_b32_e32 v24, 7, v24
; %bb.8764:                             ;   in Loop: Header=BB6_7947 Depth=3
	s_or_b32 exec_lo, exec_lo, s74
	s_delay_alu instid0(VALU_DEP_1) | instskip(SKIP_1) | instid1(VALU_DEP_2)
	v_dual_lshlrev_b32 v2, 8, v26 :: v_dual_lshlrev_b32 v24, 20, v24
	v_lshl_add_u32 v0, v0, 23, 0x3c000000
	v_and_b32_e32 v2, 0x80000000, v2
	s_delay_alu instid0(VALU_DEP_1)
	v_or3_b32 v32, v24, v2, v0
.LBB6_8765:                             ;   in Loop: Header=BB6_7947 Depth=3
	s_or_b32 exec_lo, exec_lo, s45
.LBB6_8766:                             ;   in Loop: Header=BB6_7947 Depth=3
	s_delay_alu instid0(SALU_CYCLE_1)
	s_or_b32 exec_lo, exec_lo, s44
.LBB6_8767:                             ;   in Loop: Header=BB6_7947 Depth=3
	s_delay_alu instid0(SALU_CYCLE_1) | instskip(NEXT) | instid1(VALU_DEP_1)
	s_or_b32 exec_lo, exec_lo, s13
	v_add_f32_e32 v0, v33, v32
                                        ; implicit-def: $vgpr111
	s_mov_b32 s13, exec_lo
	s_delay_alu instid0(VALU_DEP_1) | instskip(SKIP_1) | instid1(VALU_DEP_2)
	v_and_b32_e32 v2, 0x7f800000, v0
	v_lshrrev_b32_e32 v24, 24, v0
	v_cmpx_ne_u64_e32 0x7f800000, v[2:3]
	s_xor_b32 s44, exec_lo, s13
	s_cbranch_execz .LBB6_8781
; %bb.8768:                             ;   in Loop: Header=BB6_7947 Depth=3
	v_and_b32_e32 v2, 0x7fffffff, v0
	v_and_b32_e32 v53, 0x80, v24
                                        ; implicit-def: $vgpr111
	s_mov_b32 s13, exec_lo
	s_delay_alu instid0(VALU_DEP_2)
	v_cmpx_gt_u64_e32 0x43e00001, v[2:3]
	s_xor_b32 s45, exec_lo, s13
	s_cbranch_execz .LBB6_8778
; %bb.8769:                             ;   in Loop: Header=BB6_7947 Depth=3
	v_mov_b32_e32 v111, 0
	s_mov_b32 s74, exec_lo
	v_cmpx_ne_u32_e32 0, v0
	s_cbranch_execz .LBB6_8777
; %bb.8770:                             ;   in Loop: Header=BB6_7947 Depth=3
	v_bfe_u32 v66, v0, 23, 8
	v_and_b32_e32 v2, 0x7fffff, v0
	s_delay_alu instid0(VALU_DEP_2) | instskip(SKIP_2) | instid1(VALU_DEP_4)
	v_cmp_gt_u32_e64 s13, 0x7a, v66
	v_sub_nc_u32_e32 v0, 0x79, v66
	v_cmp_eq_u32_e32 vcc_lo, 0, v66
	v_or_b32_e32 v24, 0x800000, v2
	s_delay_alu instid0(VALU_DEP_1) | instskip(NEXT) | instid1(VALU_DEP_1)
	v_dual_cndmask_b32 v0, 0, v0, s13 :: v_dual_cndmask_b32 v2, v24, v2, vcc_lo
	v_cndmask_b32_e64 v0, v0, 0x78, vcc_lo
	s_delay_alu instid0(VALU_DEP_1) | instskip(NEXT) | instid1(VALU_DEP_1)
	v_dual_add_nc_u32 v24, 20, v0 :: v_dual_add_nc_u32 v32, 19, v0
	v_lshlrev_b64_e64 v[24:25], v24, -1
	s_delay_alu instid0(VALU_DEP_2) | instskip(NEXT) | instid1(VALU_DEP_2)
	v_lshlrev_b64_e64 v[32:33], v32, 1
	v_bfi_b32 v25, v25, 0, 0
	s_delay_alu instid0(VALU_DEP_3) | instskip(NEXT) | instid1(VALU_DEP_1)
	v_bfi_b32 v24, v24, 0, v2
	v_cmp_eq_u64_e64 s13, v[24:25], v[32:33]
	v_lshrrev_b64 v[24:25], v0, v[2:3]
	s_delay_alu instid0(VALU_DEP_1)
	v_mov_b64_e32 v[32:33], v[24:25]
	s_and_saveexec_b32 s75, s13
; %bb.8771:                             ;   in Loop: Header=BB6_7947 Depth=3
	v_bfe_u32 v2, v24, 20, 1
	s_delay_alu instid0(VALU_DEP_1) | instskip(NEXT) | instid1(VALU_DEP_1)
	v_add_nc_u64_e32 v[32:33], v[24:25], v[2:3]
	v_add_nc_u64_e32 v[32:33], -1, v[32:33]
; %bb.8772:                             ;   in Loop: Header=BB6_7947 Depth=3
	s_or_b32 exec_lo, exec_lo, s75
	v_add_nc_u32_e32 v2, 0xffffff81, v66
	v_lshrrev_b32_e32 v25, 23, v24
	s_mov_b32 s13, exec_lo
	s_delay_alu instid0(VALU_DEP_2) | instskip(NEXT) | instid1(VALU_DEP_1)
	v_cndmask_b32_e64 v2, v2, 0xffffff82, vcc_lo
	v_add3_u32 v33, v0, v2, v25
	v_and_b32_e32 v0, 0xfffff, v32
	s_delay_alu instid0(VALU_DEP_1) | instskip(NEXT) | instid1(VALU_DEP_1)
	v_dual_add_nc_u32 v32, 6, v33 :: v_dual_add_nc_u32 v2, v0, v24
                                        ; implicit-def: $vgpr24_vgpr25
                                        ; implicit-def: $vgpr0
	v_cmpx_ne_u32_e32 0, v32
	s_xor_b32 s13, exec_lo, s13
; %bb.8773:                             ;   in Loop: Header=BB6_7947 Depth=3
	s_delay_alu instid0(VALU_DEP_2) | instskip(SKIP_2) | instid1(VALU_DEP_2)
	v_cmp_lt_u64_e32 vcc_lo, 0xffffff, v[2:3]
	v_add_nc_u32_e32 v0, 7, v33
	v_cndmask_b32_e64 v24, 0, 1, vcc_lo
	v_cndmask_b32_e32 v0, v32, v0, vcc_lo
	s_delay_alu instid0(VALU_DEP_2)
	v_lshrrev_b64 v[24:25], v24, v[2:3]
; %bb.8774:                             ;   in Loop: Header=BB6_7947 Depth=3
	s_and_not1_saveexec_b32 s13, s13
; %bb.8775:                             ;   in Loop: Header=BB6_7947 Depth=3
	v_mov_b64_e32 v[24:25], v[2:3]
	v_bfe_u32 v0, v2, 23, 1
; %bb.8776:                             ;   in Loop: Header=BB6_7947 Depth=3
	s_or_b32 exec_lo, exec_lo, s13
	s_delay_alu instid0(VALU_DEP_2) | instskip(NEXT) | instid1(VALU_DEP_2)
	v_lshrrev_b64 v[24:25], 20, v[24:25]
	v_cmp_gt_i32_e32 vcc_lo, 16, v0
	v_min_i32_e32 v2, 15, v0
	v_cmp_eq_u32_e64 s13, 0, v0
	s_delay_alu instid0(VALU_DEP_2) | instskip(SKIP_1) | instid1(VALU_DEP_2)
	v_dual_cndmask_b32 v25, 0, v25 :: v_dual_lshlrev_b32 v2, 3, v2
	v_cndmask_b32_e32 v24, 7, v24, vcc_lo
	v_and_b32_e32 v2, 0xf8, v2
	s_delay_alu instid0(VALU_DEP_2) | instskip(NEXT) | instid1(VALU_DEP_2)
	v_cmp_eq_u64_e32 vcc_lo, 0, v[24:25]
	v_and_or_b32 v0, v24, 7, v2
	s_and_b32 s13, s13, vcc_lo
	s_delay_alu instid0(VALU_DEP_1) | instid1(SALU_CYCLE_1)
	v_cndmask_b32_e64 v0, v0, 0, s13
	s_delay_alu instid0(VALU_DEP_1)
	v_or_b32_e32 v111, v0, v53
.LBB6_8777:                             ;   in Loop: Header=BB6_7947 Depth=3
	s_or_b32 exec_lo, exec_lo, s74
                                        ; implicit-def: $vgpr53
.LBB6_8778:                             ;   in Loop: Header=BB6_7947 Depth=3
	s_and_not1_saveexec_b32 s13, s45
; %bb.8779:                             ;   in Loop: Header=BB6_7947 Depth=3
	v_or_b32_e32 v111, 0x7e, v53
; %bb.8780:                             ;   in Loop: Header=BB6_7947 Depth=3
	s_or_b32 exec_lo, exec_lo, s13
                                        ; implicit-def: $vgpr24
.LBB6_8781:                             ;   in Loop: Header=BB6_7947 Depth=3
	s_and_not1_saveexec_b32 s13, s44
; %bb.8782:                             ;   in Loop: Header=BB6_7947 Depth=3
	v_or_b32_e32 v111, 0x7f, v24
; %bb.8783:                             ;   in Loop: Header=BB6_7947 Depth=3
	s_or_b32 exec_lo, exec_lo, s13
	v_dual_mov_b32 v32, 0 :: v_dual_mov_b32 v33, 0
	s_mov_b32 s13, exec_lo
	v_cmpx_lt_u32_e32 0xffffff, v34
	s_cbranch_execz .LBB6_8791
; %bb.8784:                             ;   in Loop: Header=BB6_7947 Depth=3
	v_lshrrev_b32_e32 v0, 24, v34
	v_bfrev_b32_e32 v33, 1
	s_mov_b32 s44, exec_lo
	s_delay_alu instid0(VALU_DEP_2)
	v_cmpx_ne_u32_e32 0x80, v0
	s_cbranch_execz .LBB6_8790
; %bb.8785:                             ;   in Loop: Header=BB6_7947 Depth=3
	v_bfe_u32 v24, v34, 24, 7
	v_mov_b32_e32 v33, 0x7f800001
	s_mov_b32 s45, exec_lo
	s_delay_alu instid0(VALU_DEP_2)
	v_cmpx_ne_u32_e32 0x7f, v24
	s_cbranch_execz .LBB6_8789
; %bb.8786:                             ;   in Loop: Header=BB6_7947 Depth=3
	v_and_b32_e32 v2, 7, v0
	v_lshrrev_b32_e32 v33, 3, v24
	v_cmp_gt_u32_e32 vcc_lo, 8, v24
	s_delay_alu instid0(VALU_DEP_3)
	v_mov_b64_e32 v[24:25], v[2:3]
	s_and_saveexec_b32 s74, vcc_lo
; %bb.8787:                             ;   in Loop: Header=BB6_7947 Depth=3
	v_clz_i32_u32_e32 v24, v2
	s_delay_alu instid0(VALU_DEP_1) | instskip(NEXT) | instid1(VALU_DEP_1)
	v_min_u32_e32 v33, 32, v24
	v_subrev_nc_u32_e32 v24, 28, v33
	s_delay_alu instid0(VALU_DEP_1) | instskip(NEXT) | instid1(VALU_DEP_1)
	v_lshlrev_b64_e32 v[24:25], v24, v[2:3]
	v_dual_sub_nc_u32 v33, 29, v33 :: v_dual_bitop2_b32 v24, 7, v24 bitop3:0x40
; %bb.8788:                             ;   in Loop: Header=BB6_7947 Depth=3
	s_or_b32 exec_lo, exec_lo, s74
	v_lshlrev_b32_e32 v0, 24, v0
	s_delay_alu instid0(VALU_DEP_2) | instskip(NEXT) | instid1(VALU_DEP_3)
	v_lshlrev_b32_e32 v2, 20, v24
	v_lshl_add_u32 v24, v33, 23, 0x3c000000
	s_delay_alu instid0(VALU_DEP_3) | instskip(NEXT) | instid1(VALU_DEP_1)
	v_and_b32_e32 v0, 0x80000000, v0
	v_or3_b32 v33, v2, v0, v24
.LBB6_8789:                             ;   in Loop: Header=BB6_7947 Depth=3
	s_or_b32 exec_lo, exec_lo, s45
.LBB6_8790:                             ;   in Loop: Header=BB6_7947 Depth=3
	s_delay_alu instid0(SALU_CYCLE_1)
	s_or_b32 exec_lo, exec_lo, s44
.LBB6_8791:                             ;   in Loop: Header=BB6_7947 Depth=3
	s_delay_alu instid0(SALU_CYCLE_1) | instskip(NEXT) | instid1(SALU_CYCLE_1)
	s_or_b32 exec_lo, exec_lo, s13
	s_mov_b32 s13, exec_lo
	v_cmpx_lt_u32_e32 0xffffff, v26
	s_cbranch_execz .LBB6_8799
; %bb.8792:                             ;   in Loop: Header=BB6_7947 Depth=3
	v_lshrrev_b32_e32 v0, 24, v26
	v_bfrev_b32_e32 v32, 1
	s_mov_b32 s44, exec_lo
	s_delay_alu instid0(VALU_DEP_2)
	v_cmpx_ne_u32_e32 0x80, v0
	s_cbranch_execz .LBB6_8798
; %bb.8793:                             ;   in Loop: Header=BB6_7947 Depth=3
	v_bfe_u32 v24, v26, 24, 7
	v_mov_b32_e32 v32, 0x7f800001
	s_mov_b32 s45, exec_lo
	s_delay_alu instid0(VALU_DEP_2)
	v_cmpx_ne_u32_e32 0x7f, v24
	s_cbranch_execz .LBB6_8797
; %bb.8794:                             ;   in Loop: Header=BB6_7947 Depth=3
	v_and_b32_e32 v2, 7, v0
	v_lshrrev_b32_e32 v32, 3, v24
	v_cmp_gt_u32_e32 vcc_lo, 8, v24
	s_delay_alu instid0(VALU_DEP_3)
	v_mov_b64_e32 v[24:25], v[2:3]
	s_and_saveexec_b32 s74, vcc_lo
; %bb.8795:                             ;   in Loop: Header=BB6_7947 Depth=3
	v_clz_i32_u32_e32 v24, v2
	s_delay_alu instid0(VALU_DEP_1) | instskip(NEXT) | instid1(VALU_DEP_1)
	v_min_u32_e32 v32, 32, v24
	v_subrev_nc_u32_e32 v24, 28, v32
	v_sub_nc_u32_e32 v32, 29, v32
	s_delay_alu instid0(VALU_DEP_2) | instskip(NEXT) | instid1(VALU_DEP_1)
	v_lshlrev_b64_e32 v[24:25], v24, v[2:3]
	v_and_b32_e32 v24, 7, v24
; %bb.8796:                             ;   in Loop: Header=BB6_7947 Depth=3
	s_or_b32 exec_lo, exec_lo, s74
	v_lshlrev_b32_e32 v0, 24, v0
	s_delay_alu instid0(VALU_DEP_2) | instskip(SKIP_1) | instid1(VALU_DEP_3)
	v_lshlrev_b32_e32 v2, 20, v24
	v_lshl_add_u32 v24, v32, 23, 0x3c000000
	v_and_b32_e32 v0, 0x80000000, v0
	s_delay_alu instid0(VALU_DEP_1)
	v_or3_b32 v32, v2, v0, v24
.LBB6_8797:                             ;   in Loop: Header=BB6_7947 Depth=3
	s_or_b32 exec_lo, exec_lo, s45
.LBB6_8798:                             ;   in Loop: Header=BB6_7947 Depth=3
	s_delay_alu instid0(SALU_CYCLE_1)
	s_or_b32 exec_lo, exec_lo, s44
.LBB6_8799:                             ;   in Loop: Header=BB6_7947 Depth=3
	s_delay_alu instid0(SALU_CYCLE_1) | instskip(NEXT) | instid1(VALU_DEP_1)
	s_or_b32 exec_lo, exec_lo, s13
	v_add_f32_e32 v0, v33, v32
                                        ; implicit-def: $vgpr78
	s_mov_b32 s13, exec_lo
	s_delay_alu instid0(VALU_DEP_1) | instskip(SKIP_1) | instid1(VALU_DEP_2)
	v_and_b32_e32 v2, 0x7f800000, v0
	v_lshrrev_b32_e32 v24, 24, v0
	v_cmpx_ne_u64_e32 0x7f800000, v[2:3]
	s_xor_b32 s44, exec_lo, s13
	s_cbranch_execz .LBB6_8813
; %bb.8800:                             ;   in Loop: Header=BB6_7947 Depth=3
	v_and_b32_e32 v2, 0x7fffffff, v0
	v_and_b32_e32 v53, 0x80, v24
                                        ; implicit-def: $vgpr78
	s_mov_b32 s13, exec_lo
	s_delay_alu instid0(VALU_DEP_2)
	v_cmpx_gt_u64_e32 0x43e00001, v[2:3]
	s_xor_b32 s45, exec_lo, s13
	s_cbranch_execz .LBB6_8810
; %bb.8801:                             ;   in Loop: Header=BB6_7947 Depth=3
	v_mov_b32_e32 v78, 0
	s_mov_b32 s74, exec_lo
	v_cmpx_ne_u32_e32 0, v0
	s_cbranch_execz .LBB6_8809
; %bb.8802:                             ;   in Loop: Header=BB6_7947 Depth=3
	v_bfe_u32 v66, v0, 23, 8
	v_and_b32_e32 v2, 0x7fffff, v0
	s_delay_alu instid0(VALU_DEP_2) | instskip(SKIP_2) | instid1(VALU_DEP_4)
	v_cmp_gt_u32_e64 s13, 0x7a, v66
	v_sub_nc_u32_e32 v0, 0x79, v66
	v_cmp_eq_u32_e32 vcc_lo, 0, v66
	v_or_b32_e32 v24, 0x800000, v2
	s_delay_alu instid0(VALU_DEP_1) | instskip(NEXT) | instid1(VALU_DEP_1)
	v_dual_cndmask_b32 v0, 0, v0, s13 :: v_dual_cndmask_b32 v2, v24, v2, vcc_lo
	v_cndmask_b32_e64 v0, v0, 0x78, vcc_lo
	s_delay_alu instid0(VALU_DEP_1) | instskip(NEXT) | instid1(VALU_DEP_1)
	v_dual_add_nc_u32 v24, 20, v0 :: v_dual_add_nc_u32 v32, 19, v0
	v_lshlrev_b64_e64 v[24:25], v24, -1
	s_delay_alu instid0(VALU_DEP_2) | instskip(NEXT) | instid1(VALU_DEP_2)
	v_lshlrev_b64_e64 v[32:33], v32, 1
	v_bfi_b32 v25, v25, 0, 0
	s_delay_alu instid0(VALU_DEP_3) | instskip(NEXT) | instid1(VALU_DEP_1)
	v_bfi_b32 v24, v24, 0, v2
	v_cmp_eq_u64_e64 s13, v[24:25], v[32:33]
	v_lshrrev_b64 v[24:25], v0, v[2:3]
	s_delay_alu instid0(VALU_DEP_1)
	v_mov_b64_e32 v[32:33], v[24:25]
	s_and_saveexec_b32 s75, s13
; %bb.8803:                             ;   in Loop: Header=BB6_7947 Depth=3
	v_bfe_u32 v2, v24, 20, 1
	s_delay_alu instid0(VALU_DEP_1) | instskip(NEXT) | instid1(VALU_DEP_1)
	v_add_nc_u64_e32 v[32:33], v[24:25], v[2:3]
	v_add_nc_u64_e32 v[32:33], -1, v[32:33]
; %bb.8804:                             ;   in Loop: Header=BB6_7947 Depth=3
	s_or_b32 exec_lo, exec_lo, s75
	v_add_nc_u32_e32 v2, 0xffffff81, v66
	v_lshrrev_b32_e32 v25, 23, v24
	s_mov_b32 s13, exec_lo
	s_delay_alu instid0(VALU_DEP_2) | instskip(NEXT) | instid1(VALU_DEP_1)
	v_cndmask_b32_e64 v2, v2, 0xffffff82, vcc_lo
	v_add3_u32 v33, v0, v2, v25
	v_and_b32_e32 v0, 0xfffff, v32
	s_delay_alu instid0(VALU_DEP_1) | instskip(NEXT) | instid1(VALU_DEP_1)
	v_dual_add_nc_u32 v32, 6, v33 :: v_dual_add_nc_u32 v2, v0, v24
                                        ; implicit-def: $vgpr24_vgpr25
                                        ; implicit-def: $vgpr0
	v_cmpx_ne_u32_e32 0, v32
	s_xor_b32 s13, exec_lo, s13
; %bb.8805:                             ;   in Loop: Header=BB6_7947 Depth=3
	s_delay_alu instid0(VALU_DEP_2) | instskip(SKIP_2) | instid1(VALU_DEP_2)
	v_cmp_lt_u64_e32 vcc_lo, 0xffffff, v[2:3]
	v_add_nc_u32_e32 v0, 7, v33
	v_cndmask_b32_e64 v24, 0, 1, vcc_lo
	v_cndmask_b32_e32 v0, v32, v0, vcc_lo
	s_delay_alu instid0(VALU_DEP_2)
	v_lshrrev_b64 v[24:25], v24, v[2:3]
; %bb.8806:                             ;   in Loop: Header=BB6_7947 Depth=3
	s_and_not1_saveexec_b32 s13, s13
; %bb.8807:                             ;   in Loop: Header=BB6_7947 Depth=3
	v_mov_b64_e32 v[24:25], v[2:3]
	v_bfe_u32 v0, v2, 23, 1
; %bb.8808:                             ;   in Loop: Header=BB6_7947 Depth=3
	s_or_b32 exec_lo, exec_lo, s13
	s_delay_alu instid0(VALU_DEP_2) | instskip(NEXT) | instid1(VALU_DEP_2)
	v_lshrrev_b64 v[24:25], 20, v[24:25]
	v_cmp_gt_i32_e32 vcc_lo, 16, v0
	v_min_i32_e32 v2, 15, v0
	v_cmp_eq_u32_e64 s13, 0, v0
	s_delay_alu instid0(VALU_DEP_2) | instskip(SKIP_1) | instid1(VALU_DEP_2)
	v_dual_cndmask_b32 v25, 0, v25 :: v_dual_lshlrev_b32 v2, 3, v2
	v_cndmask_b32_e32 v24, 7, v24, vcc_lo
	v_and_b32_e32 v2, 0xf8, v2
	s_delay_alu instid0(VALU_DEP_2) | instskip(NEXT) | instid1(VALU_DEP_2)
	v_cmp_eq_u64_e32 vcc_lo, 0, v[24:25]
	v_and_or_b32 v0, v24, 7, v2
	s_and_b32 s13, s13, vcc_lo
	s_delay_alu instid0(VALU_DEP_1) | instid1(SALU_CYCLE_1)
	v_cndmask_b32_e64 v0, v0, 0, s13
	s_delay_alu instid0(VALU_DEP_1)
	v_or_b32_e32 v78, v0, v53
.LBB6_8809:                             ;   in Loop: Header=BB6_7947 Depth=3
	s_or_b32 exec_lo, exec_lo, s74
                                        ; implicit-def: $vgpr53
.LBB6_8810:                             ;   in Loop: Header=BB6_7947 Depth=3
	s_and_not1_saveexec_b32 s13, s45
; %bb.8811:                             ;   in Loop: Header=BB6_7947 Depth=3
	v_or_b32_e32 v78, 0x7e, v53
; %bb.8812:                             ;   in Loop: Header=BB6_7947 Depth=3
	s_or_b32 exec_lo, exec_lo, s13
                                        ; implicit-def: $vgpr24
.LBB6_8813:                             ;   in Loop: Header=BB6_7947 Depth=3
	s_and_not1_saveexec_b32 s13, s44
; %bb.8814:                             ;   in Loop: Header=BB6_7947 Depth=3
	v_or_b32_e32 v78, 0x7f, v24
; %bb.8815:                             ;   in Loop: Header=BB6_7947 Depth=3
	s_or_b32 exec_lo, exec_lo, s13
	v_and_b32_e32 v0, 0xff, v35
	v_dual_mov_b32 v2, v35 :: v_dual_mov_b32 v24, 0
	v_mov_b32_e32 v25, 0
	s_mov_b32 s13, exec_lo
	s_delay_alu instid0(VALU_DEP_3)
	v_cmpx_ne_u16_e32 0, v0
	s_cbranch_execz .LBB6_8821
; %bb.8816:                             ;   in Loop: Header=BB6_7947 Depth=3
	v_bfrev_b32_e32 v25, 1
	s_mov_b32 s44, exec_lo
	v_cmpx_ne_u16_e32 0x80, v0
	s_cbranch_execz .LBB6_8820
; %bb.8817:                             ;   in Loop: Header=BB6_7947 Depth=3
	v_and_b32_e32 v0, 0x7f, v35
	v_mov_b32_e32 v25, 0x7f800001
	s_mov_b32 s45, exec_lo
	s_delay_alu instid0(VALU_DEP_2)
	v_cmpx_ne_u32_e32 0x7f, v0
	s_cbranch_execz .LBB6_8819
; %bb.8818:                             ;   in Loop: Header=BB6_7947 Depth=3
	v_dual_lshrrev_b32 v32, 3, v0 :: v_dual_bitop2_b32 v25, 7, v35 bitop3:0x40
	v_cmp_gt_u32_e32 vcc_lo, 8, v0
	s_delay_alu instid0(VALU_DEP_2) | instskip(NEXT) | instid1(VALU_DEP_1)
	v_clz_i32_u32_e32 v0, v25
	v_min_u32_e32 v0, 32, v0
	s_delay_alu instid0(VALU_DEP_1) | instskip(NEXT) | instid1(VALU_DEP_1)
	v_subrev_nc_u32_e32 v25, 28, v0
	v_dual_cndmask_b32 v25, 0, v25 :: v_dual_sub_nc_u32 v0, 29, v0
	s_delay_alu instid0(VALU_DEP_1) | instskip(NEXT) | instid1(VALU_DEP_2)
	v_cndmask_b32_e32 v0, v32, v0, vcc_lo
	v_lshlrev_b64_e32 v[32:33], v25, v[2:3]
	s_delay_alu instid0(VALU_DEP_1) | instskip(NEXT) | instid1(VALU_DEP_3)
	v_dual_lshlrev_b32 v25, 20, v32 :: v_dual_lshlrev_b32 v32, 24, v2
	v_lshl_add_u32 v0, v0, 23, 0x3c000000
	s_delay_alu instid0(VALU_DEP_2) | instskip(NEXT) | instid1(VALU_DEP_3)
	v_and_b32_e32 v25, 0x700000, v25
	v_and_b32_e32 v32, 0x80000000, v32
	s_delay_alu instid0(VALU_DEP_1)
	v_or3_b32 v25, v25, v32, v0
.LBB6_8819:                             ;   in Loop: Header=BB6_7947 Depth=3
	s_or_b32 exec_lo, exec_lo, s45
.LBB6_8820:                             ;   in Loop: Header=BB6_7947 Depth=3
	s_delay_alu instid0(SALU_CYCLE_1)
	s_or_b32 exec_lo, exec_lo, s44
.LBB6_8821:                             ;   in Loop: Header=BB6_7947 Depth=3
	s_delay_alu instid0(SALU_CYCLE_1) | instskip(SKIP_2) | instid1(VALU_DEP_1)
	s_or_b32 exec_lo, exec_lo, s13
	v_and_b32_e32 v0, 0xff, v27
	s_mov_b32 s13, exec_lo
	v_cmpx_ne_u16_e32 0, v0
	s_cbranch_execz .LBB6_8827
; %bb.8822:                             ;   in Loop: Header=BB6_7947 Depth=3
	v_bfrev_b32_e32 v24, 1
	s_mov_b32 s44, exec_lo
	v_cmpx_ne_u16_e32 0x80, v0
	s_cbranch_execz .LBB6_8826
; %bb.8823:                             ;   in Loop: Header=BB6_7947 Depth=3
	v_and_b32_e32 v0, 0x7f, v27
	v_mov_b32_e32 v24, 0x7f800001
	s_mov_b32 s45, exec_lo
	s_delay_alu instid0(VALU_DEP_2)
	v_cmpx_ne_u32_e32 0x7f, v0
	s_cbranch_execz .LBB6_8825
; %bb.8824:                             ;   in Loop: Header=BB6_7947 Depth=3
	v_dual_lshrrev_b32 v52, 3, v0 :: v_dual_bitop2_b32 v24, 7, v27 bitop3:0x40
	v_cmp_gt_u32_e32 vcc_lo, 8, v0
	v_mov_b32_e32 v32, v27
	s_delay_alu instid0(VALU_DEP_3) | instskip(NEXT) | instid1(VALU_DEP_1)
	v_clz_i32_u32_e32 v24, v24
	v_min_u32_e32 v24, 32, v24
	s_delay_alu instid0(VALU_DEP_1) | instskip(SKIP_1) | instid1(VALU_DEP_1)
	v_subrev_nc_u32_e32 v0, 28, v24
	v_dual_sub_nc_u32 v53, 29, v24 :: v_dual_mov_b32 v33, v3
	v_dual_cndmask_b32 v0, 0, v0, vcc_lo :: v_dual_cndmask_b32 v24, v52, v53, vcc_lo
	s_delay_alu instid0(VALU_DEP_1) | instskip(SKIP_1) | instid1(VALU_DEP_3)
	v_lshlrev_b64_e32 v[52:53], v0, v[32:33]
	v_lshlrev_b32_e32 v0, 24, v32
	v_lshl_add_u32 v24, v24, 23, 0x3c000000
	s_delay_alu instid0(VALU_DEP_2) | instskip(NEXT) | instid1(VALU_DEP_4)
	v_and_b32_e32 v0, 0x80000000, v0
	v_lshlrev_b32_e32 v32, 20, v52
	s_delay_alu instid0(VALU_DEP_1) | instskip(NEXT) | instid1(VALU_DEP_1)
	v_and_b32_e32 v32, 0x700000, v32
	v_or3_b32 v24, v32, v0, v24
.LBB6_8825:                             ;   in Loop: Header=BB6_7947 Depth=3
	s_or_b32 exec_lo, exec_lo, s45
.LBB6_8826:                             ;   in Loop: Header=BB6_7947 Depth=3
	s_delay_alu instid0(SALU_CYCLE_1)
	s_or_b32 exec_lo, exec_lo, s44
.LBB6_8827:                             ;   in Loop: Header=BB6_7947 Depth=3
	s_delay_alu instid0(SALU_CYCLE_1) | instskip(NEXT) | instid1(VALU_DEP_1)
	s_or_b32 exec_lo, exec_lo, s13
	v_dual_add_f32 v0, v25, v24 :: v_dual_mov_b32 v25, v3
                                        ; implicit-def: $vgpr79
	s_delay_alu instid0(VALU_DEP_1) | instskip(NEXT) | instid1(VALU_DEP_1)
	v_and_b32_e32 v24, 0x7f800000, v0
	v_cmp_ne_u64_e32 vcc_lo, 0x7f800000, v[24:25]
	v_lshrrev_b32_e32 v24, 24, v0
	s_and_saveexec_b32 s13, vcc_lo
	s_delay_alu instid0(SALU_CYCLE_1)
	s_xor_b32 s44, exec_lo, s13
	s_cbranch_execz .LBB6_8841
; %bb.8828:                             ;   in Loop: Header=BB6_7947 Depth=3
	v_and_b32_e32 v32, 0x7fffffff, v0
	v_mov_b32_e32 v33, v3
	v_and_b32_e32 v53, 0x80, v24
                                        ; implicit-def: $vgpr79
	s_mov_b32 s13, exec_lo
	s_delay_alu instid0(VALU_DEP_2)
	v_cmpx_gt_u64_e32 0x43e00001, v[32:33]
	s_xor_b32 s45, exec_lo, s13
	s_cbranch_execz .LBB6_8838
; %bb.8829:                             ;   in Loop: Header=BB6_7947 Depth=3
	v_mov_b32_e32 v79, 0
	s_mov_b32 s74, exec_lo
	v_cmpx_ne_u32_e32 0, v0
	s_cbranch_execz .LBB6_8837
; %bb.8830:                             ;   in Loop: Header=BB6_7947 Depth=3
	v_and_b32_e32 v24, 0x7fffff, v0
	v_bfe_u32 v66, v0, 23, 8
	s_delay_alu instid0(VALU_DEP_2) | instskip(NEXT) | instid1(VALU_DEP_2)
	v_or_b32_e32 v25, 0x800000, v24
	v_cmp_eq_u32_e32 vcc_lo, 0, v66
	v_cmp_gt_u32_e64 s13, 0x7a, v66
	v_sub_nc_u32_e32 v0, 0x79, v66
	s_delay_alu instid0(VALU_DEP_4) | instskip(NEXT) | instid1(VALU_DEP_2)
	v_dual_cndmask_b32 v24, v25, v24 :: v_dual_mov_b32 v25, v3
	v_cndmask_b32_e64 v0, 0, v0, s13
	s_delay_alu instid0(VALU_DEP_1) | instskip(NEXT) | instid1(VALU_DEP_1)
	v_cndmask_b32_e64 v0, v0, 0x78, vcc_lo
	v_dual_add_nc_u32 v32, 20, v0 :: v_dual_add_nc_u32 v52, 19, v0
	s_delay_alu instid0(VALU_DEP_1) | instskip(NEXT) | instid1(VALU_DEP_2)
	v_lshlrev_b64_e64 v[32:33], v32, -1
	v_lshlrev_b64_e64 v[96:97], v52, 1
	s_delay_alu instid0(VALU_DEP_2) | instskip(SKIP_1) | instid1(VALU_DEP_4)
	v_bfi_b32 v32, v32, 0, v24
	v_lshrrev_b64 v[24:25], v0, v[24:25]
	v_bfi_b32 v33, v33, 0, 0
	s_delay_alu instid0(VALU_DEP_1) | instskip(NEXT) | instid1(VALU_DEP_3)
	v_cmp_eq_u64_e64 s13, v[32:33], v[96:97]
	v_mov_b64_e32 v[32:33], v[24:25]
	s_and_saveexec_b32 s75, s13
; %bb.8831:                             ;   in Loop: Header=BB6_7947 Depth=3
	v_bfe_u32 v32, v24, 20, 1
	v_mov_b32_e32 v33, v3
	s_delay_alu instid0(VALU_DEP_1) | instskip(NEXT) | instid1(VALU_DEP_1)
	v_add_nc_u64_e32 v[32:33], v[24:25], v[32:33]
	v_add_nc_u64_e32 v[32:33], -1, v[32:33]
; %bb.8832:                             ;   in Loop: Header=BB6_7947 Depth=3
	s_or_b32 exec_lo, exec_lo, s75
	v_add_nc_u32_e32 v25, 0xffffff81, v66
	v_lshrrev_b32_e32 v33, 23, v24
	s_mov_b32 s13, exec_lo
	s_delay_alu instid0(VALU_DEP_2) | instskip(NEXT) | instid1(VALU_DEP_1)
	v_cndmask_b32_e64 v25, v25, 0xffffff82, vcc_lo
	v_add3_u32 v33, v0, v25, v33
	v_and_b32_e32 v0, 0xfffff, v32
	s_delay_alu instid0(VALU_DEP_2) | instskip(NEXT) | instid1(VALU_DEP_2)
	v_dual_mov_b32 v25, v3 :: v_dual_add_nc_u32 v32, 6, v33
	v_add_nc_u32_e32 v24, v0, v24
                                        ; implicit-def: $vgpr0
	s_delay_alu instid0(VALU_DEP_2)
	v_cmpx_ne_u32_e32 0, v32
	s_xor_b32 s13, exec_lo, s13
; %bb.8833:                             ;   in Loop: Header=BB6_7947 Depth=3
	s_delay_alu instid0(VALU_DEP_2) | instskip(SKIP_1) | instid1(VALU_DEP_1)
	v_cmp_lt_u64_e32 vcc_lo, 0xffffff, v[24:25]
	v_add_nc_u32_e32 v0, 7, v33
	v_cndmask_b32_e32 v0, v32, v0, vcc_lo
	v_cndmask_b32_e64 v32, 0, 1, vcc_lo
	s_delay_alu instid0(VALU_DEP_1)
	v_lshrrev_b64 v[24:25], v32, v[24:25]
; %bb.8834:                             ;   in Loop: Header=BB6_7947 Depth=3
	s_and_not1_saveexec_b32 s13, s13
; %bb.8835:                             ;   in Loop: Header=BB6_7947 Depth=3
	s_delay_alu instid0(VALU_DEP_1)
	v_bfe_u32 v0, v24, 23, 1
; %bb.8836:                             ;   in Loop: Header=BB6_7947 Depth=3
	s_or_b32 exec_lo, exec_lo, s13
	s_delay_alu instid0(VALU_DEP_2) | instskip(NEXT) | instid1(VALU_DEP_2)
	v_lshrrev_b64 v[24:25], 20, v[24:25]
	v_cmp_gt_i32_e32 vcc_lo, 16, v0
	v_min_i32_e32 v32, 15, v0
	v_cmp_eq_u32_e64 s13, 0, v0
	s_delay_alu instid0(VALU_DEP_2) | instskip(SKIP_1) | instid1(VALU_DEP_2)
	v_dual_cndmask_b32 v25, 0, v25 :: v_dual_lshlrev_b32 v32, 3, v32
	v_cndmask_b32_e32 v24, 7, v24, vcc_lo
	v_and_b32_e32 v32, 0xf8, v32
	s_delay_alu instid0(VALU_DEP_2) | instskip(NEXT) | instid1(VALU_DEP_2)
	v_cmp_eq_u64_e32 vcc_lo, 0, v[24:25]
	v_and_or_b32 v0, v24, 7, v32
	s_and_b32 s13, s13, vcc_lo
	s_delay_alu instid0(VALU_DEP_1) | instid1(SALU_CYCLE_1)
	v_cndmask_b32_e64 v0, v0, 0, s13
	s_delay_alu instid0(VALU_DEP_1)
	v_or_b32_e32 v79, v0, v53
.LBB6_8837:                             ;   in Loop: Header=BB6_7947 Depth=3
	s_or_b32 exec_lo, exec_lo, s74
                                        ; implicit-def: $vgpr53
.LBB6_8838:                             ;   in Loop: Header=BB6_7947 Depth=3
	s_and_not1_saveexec_b32 s13, s45
; %bb.8839:                             ;   in Loop: Header=BB6_7947 Depth=3
	v_or_b32_e32 v79, 0x7e, v53
; %bb.8840:                             ;   in Loop: Header=BB6_7947 Depth=3
	s_or_b32 exec_lo, exec_lo, s13
                                        ; implicit-def: $vgpr24
.LBB6_8841:                             ;   in Loop: Header=BB6_7947 Depth=3
	s_and_not1_saveexec_b32 s13, s44
; %bb.8842:                             ;   in Loop: Header=BB6_7947 Depth=3
	v_or_b32_e32 v79, 0x7f, v24
; %bb.8843:                             ;   in Loop: Header=BB6_7947 Depth=3
	s_or_b32 exec_lo, exec_lo, s13
	v_lshrrev_b16 v0, 8, v2
	v_dual_mov_b32 v32, 0 :: v_dual_mov_b32 v33, 0
	s_mov_b32 s13, exec_lo
	s_delay_alu instid0(VALU_DEP_2)
	v_cmpx_ne_u16_e32 0, v0
	s_cbranch_execz .LBB6_8851
; %bb.8844:                             ;   in Loop: Header=BB6_7947 Depth=3
	v_bfrev_b32_e32 v33, 1
	s_mov_b32 s44, exec_lo
	v_cmpx_ne_u16_e32 0x80, v0
	s_cbranch_execz .LBB6_8850
; %bb.8845:                             ;   in Loop: Header=BB6_7947 Depth=3
	v_and_b32_e32 v0, 0xffff, v0
	v_mov_b32_e32 v33, 0x7f800001
	s_mov_b32 s45, exec_lo
	s_delay_alu instid0(VALU_DEP_2) | instskip(NEXT) | instid1(VALU_DEP_1)
	v_and_b32_e32 v52, 0x7f, v0
	v_cmpx_ne_u32_e32 0x7f, v52
	s_cbranch_execz .LBB6_8849
; %bb.8846:                             ;   in Loop: Header=BB6_7947 Depth=3
	v_dual_mov_b32 v25, v3 :: v_dual_bitop2_b32 v24, 7, v0 bitop3:0x40
	v_lshrrev_b32_e32 v0, 3, v52
	s_mov_b32 s74, exec_lo
	v_cmpx_gt_u32_e32 8, v52
; %bb.8847:                             ;   in Loop: Header=BB6_7947 Depth=3
	s_delay_alu instid0(VALU_DEP_3) | instskip(NEXT) | instid1(VALU_DEP_1)
	v_clz_i32_u32_e32 v0, v24
	v_min_u32_e32 v0, 32, v0
	s_delay_alu instid0(VALU_DEP_1) | instskip(SKIP_1) | instid1(VALU_DEP_2)
	v_subrev_nc_u32_e32 v33, 28, v0
	v_sub_nc_u32_e32 v0, 29, v0
	v_lshlrev_b64_e32 v[24:25], v33, v[24:25]
	s_delay_alu instid0(VALU_DEP_1)
	v_and_b32_e32 v24, 7, v24
; %bb.8848:                             ;   in Loop: Header=BB6_7947 Depth=3
	s_or_b32 exec_lo, exec_lo, s74
	s_delay_alu instid0(VALU_DEP_1) | instskip(SKIP_1) | instid1(VALU_DEP_2)
	v_dual_lshlrev_b32 v2, 16, v2 :: v_dual_lshlrev_b32 v24, 20, v24
	v_lshl_add_u32 v0, v0, 23, 0x3c000000
	v_and_b32_e32 v2, 0x80000000, v2
	s_delay_alu instid0(VALU_DEP_1)
	v_or3_b32 v33, v24, v2, v0
.LBB6_8849:                             ;   in Loop: Header=BB6_7947 Depth=3
	s_or_b32 exec_lo, exec_lo, s45
.LBB6_8850:                             ;   in Loop: Header=BB6_7947 Depth=3
	s_delay_alu instid0(SALU_CYCLE_1)
	s_or_b32 exec_lo, exec_lo, s44
.LBB6_8851:                             ;   in Loop: Header=BB6_7947 Depth=3
	s_delay_alu instid0(SALU_CYCLE_1) | instskip(SKIP_2) | instid1(VALU_DEP_1)
	s_or_b32 exec_lo, exec_lo, s13
	v_lshrrev_b16 v0, 8, v27
	s_mov_b32 s13, exec_lo
	v_cmpx_ne_u16_e32 0, v0
	s_cbranch_execz .LBB6_8859
; %bb.8852:                             ;   in Loop: Header=BB6_7947 Depth=3
	v_bfrev_b32_e32 v32, 1
	s_mov_b32 s44, exec_lo
	v_cmpx_ne_u16_e32 0x80, v0
	s_cbranch_execz .LBB6_8858
; %bb.8853:                             ;   in Loop: Header=BB6_7947 Depth=3
	v_and_b32_e32 v0, 0xffff, v0
	v_mov_b32_e32 v32, 0x7f800001
	s_mov_b32 s45, exec_lo
	s_delay_alu instid0(VALU_DEP_2) | instskip(NEXT) | instid1(VALU_DEP_1)
	v_and_b32_e32 v24, 0x7f, v0
	v_cmpx_ne_u32_e32 0x7f, v24
	s_cbranch_execz .LBB6_8857
; %bb.8854:                             ;   in Loop: Header=BB6_7947 Depth=3
	v_and_b32_e32 v2, 7, v0
	v_lshrrev_b32_e32 v0, 3, v24
	v_cmp_gt_u32_e32 vcc_lo, 8, v24
	s_delay_alu instid0(VALU_DEP_3)
	v_mov_b64_e32 v[24:25], v[2:3]
	s_and_saveexec_b32 s74, vcc_lo
; %bb.8855:                             ;   in Loop: Header=BB6_7947 Depth=3
	v_clz_i32_u32_e32 v0, v2
	s_delay_alu instid0(VALU_DEP_1) | instskip(NEXT) | instid1(VALU_DEP_1)
	v_min_u32_e32 v0, 32, v0
	v_subrev_nc_u32_e32 v24, 28, v0
	v_sub_nc_u32_e32 v0, 29, v0
	s_delay_alu instid0(VALU_DEP_2) | instskip(NEXT) | instid1(VALU_DEP_1)
	v_lshlrev_b64_e32 v[24:25], v24, v[2:3]
	v_and_b32_e32 v24, 7, v24
; %bb.8856:                             ;   in Loop: Header=BB6_7947 Depth=3
	s_or_b32 exec_lo, exec_lo, s74
	s_delay_alu instid0(VALU_DEP_1) | instskip(SKIP_1) | instid1(VALU_DEP_2)
	v_dual_lshlrev_b32 v2, 16, v27 :: v_dual_lshlrev_b32 v24, 20, v24
	v_lshl_add_u32 v0, v0, 23, 0x3c000000
	v_and_b32_e32 v2, 0x80000000, v2
	s_delay_alu instid0(VALU_DEP_1)
	v_or3_b32 v32, v24, v2, v0
.LBB6_8857:                             ;   in Loop: Header=BB6_7947 Depth=3
	s_or_b32 exec_lo, exec_lo, s45
.LBB6_8858:                             ;   in Loop: Header=BB6_7947 Depth=3
	s_delay_alu instid0(SALU_CYCLE_1)
	s_or_b32 exec_lo, exec_lo, s44
.LBB6_8859:                             ;   in Loop: Header=BB6_7947 Depth=3
	s_delay_alu instid0(SALU_CYCLE_1) | instskip(NEXT) | instid1(VALU_DEP_1)
	s_or_b32 exec_lo, exec_lo, s13
	v_add_f32_e32 v0, v33, v32
                                        ; implicit-def: $vgpr53
	s_mov_b32 s13, exec_lo
	s_delay_alu instid0(VALU_DEP_1) | instskip(SKIP_1) | instid1(VALU_DEP_2)
	v_and_b32_e32 v2, 0x7f800000, v0
	v_lshrrev_b32_e32 v24, 24, v0
	v_cmpx_ne_u64_e32 0x7f800000, v[2:3]
	s_xor_b32 s44, exec_lo, s13
	s_cbranch_execz .LBB6_8873
; %bb.8860:                             ;   in Loop: Header=BB6_7947 Depth=3
	v_and_b32_e32 v2, 0x7fffffff, v0
	v_and_b32_e32 v66, 0x80, v24
                                        ; implicit-def: $vgpr53
	s_mov_b32 s13, exec_lo
	s_delay_alu instid0(VALU_DEP_2)
	v_cmpx_gt_u64_e32 0x43e00001, v[2:3]
	s_xor_b32 s45, exec_lo, s13
	s_cbranch_execz .LBB6_8870
; %bb.8861:                             ;   in Loop: Header=BB6_7947 Depth=3
	v_mov_b32_e32 v53, 0
	s_mov_b32 s74, exec_lo
	v_cmpx_ne_u32_e32 0, v0
	s_cbranch_execz .LBB6_8869
; %bb.8862:                             ;   in Loop: Header=BB6_7947 Depth=3
	v_bfe_u32 v53, v0, 23, 8
	v_and_b32_e32 v2, 0x7fffff, v0
	s_delay_alu instid0(VALU_DEP_2) | instskip(SKIP_2) | instid1(VALU_DEP_4)
	v_cmp_gt_u32_e64 s13, 0x7a, v53
	v_sub_nc_u32_e32 v0, 0x79, v53
	v_cmp_eq_u32_e32 vcc_lo, 0, v53
	v_or_b32_e32 v24, 0x800000, v2
	s_delay_alu instid0(VALU_DEP_1) | instskip(NEXT) | instid1(VALU_DEP_1)
	v_dual_cndmask_b32 v0, 0, v0, s13 :: v_dual_cndmask_b32 v2, v24, v2, vcc_lo
	v_cndmask_b32_e64 v0, v0, 0x78, vcc_lo
	s_delay_alu instid0(VALU_DEP_1) | instskip(NEXT) | instid1(VALU_DEP_1)
	v_dual_add_nc_u32 v24, 20, v0 :: v_dual_add_nc_u32 v32, 19, v0
	v_lshlrev_b64_e64 v[24:25], v24, -1
	s_delay_alu instid0(VALU_DEP_2) | instskip(NEXT) | instid1(VALU_DEP_2)
	v_lshlrev_b64_e64 v[32:33], v32, 1
	v_bfi_b32 v25, v25, 0, 0
	s_delay_alu instid0(VALU_DEP_3) | instskip(NEXT) | instid1(VALU_DEP_1)
	v_bfi_b32 v24, v24, 0, v2
	v_cmp_eq_u64_e64 s13, v[24:25], v[32:33]
	v_lshrrev_b64 v[24:25], v0, v[2:3]
	s_delay_alu instid0(VALU_DEP_1)
	v_mov_b64_e32 v[32:33], v[24:25]
	s_and_saveexec_b32 s75, s13
; %bb.8863:                             ;   in Loop: Header=BB6_7947 Depth=3
	v_bfe_u32 v2, v24, 20, 1
	s_delay_alu instid0(VALU_DEP_1) | instskip(NEXT) | instid1(VALU_DEP_1)
	v_add_nc_u64_e32 v[32:33], v[24:25], v[2:3]
	v_add_nc_u64_e32 v[32:33], -1, v[32:33]
; %bb.8864:                             ;   in Loop: Header=BB6_7947 Depth=3
	s_or_b32 exec_lo, exec_lo, s75
	v_add_nc_u32_e32 v2, 0xffffff81, v53
	v_lshrrev_b32_e32 v25, 23, v24
	s_mov_b32 s13, exec_lo
	s_delay_alu instid0(VALU_DEP_2) | instskip(NEXT) | instid1(VALU_DEP_1)
	v_cndmask_b32_e64 v2, v2, 0xffffff82, vcc_lo
	v_add3_u32 v33, v0, v2, v25
	v_and_b32_e32 v0, 0xfffff, v32
	s_delay_alu instid0(VALU_DEP_1) | instskip(NEXT) | instid1(VALU_DEP_1)
	v_dual_add_nc_u32 v32, 6, v33 :: v_dual_add_nc_u32 v2, v0, v24
                                        ; implicit-def: $vgpr24_vgpr25
                                        ; implicit-def: $vgpr0
	v_cmpx_ne_u32_e32 0, v32
	s_xor_b32 s13, exec_lo, s13
; %bb.8865:                             ;   in Loop: Header=BB6_7947 Depth=3
	s_delay_alu instid0(VALU_DEP_2) | instskip(SKIP_2) | instid1(VALU_DEP_2)
	v_cmp_lt_u64_e32 vcc_lo, 0xffffff, v[2:3]
	v_add_nc_u32_e32 v0, 7, v33
	v_cndmask_b32_e64 v24, 0, 1, vcc_lo
	v_cndmask_b32_e32 v0, v32, v0, vcc_lo
	s_delay_alu instid0(VALU_DEP_2)
	v_lshrrev_b64 v[24:25], v24, v[2:3]
; %bb.8866:                             ;   in Loop: Header=BB6_7947 Depth=3
	s_and_not1_saveexec_b32 s13, s13
; %bb.8867:                             ;   in Loop: Header=BB6_7947 Depth=3
	v_mov_b64_e32 v[24:25], v[2:3]
	v_bfe_u32 v0, v2, 23, 1
; %bb.8868:                             ;   in Loop: Header=BB6_7947 Depth=3
	s_or_b32 exec_lo, exec_lo, s13
	s_delay_alu instid0(VALU_DEP_2) | instskip(NEXT) | instid1(VALU_DEP_2)
	v_lshrrev_b64 v[24:25], 20, v[24:25]
	v_cmp_gt_i32_e32 vcc_lo, 16, v0
	v_min_i32_e32 v2, 15, v0
	v_cmp_eq_u32_e64 s13, 0, v0
	s_delay_alu instid0(VALU_DEP_2) | instskip(SKIP_1) | instid1(VALU_DEP_2)
	v_dual_cndmask_b32 v25, 0, v25 :: v_dual_lshlrev_b32 v2, 3, v2
	v_cndmask_b32_e32 v24, 7, v24, vcc_lo
	v_and_b32_e32 v2, 0xf8, v2
	s_delay_alu instid0(VALU_DEP_2) | instskip(NEXT) | instid1(VALU_DEP_2)
	v_cmp_eq_u64_e32 vcc_lo, 0, v[24:25]
	v_and_or_b32 v0, v24, 7, v2
	s_and_b32 s13, s13, vcc_lo
	s_delay_alu instid0(VALU_DEP_1) | instid1(SALU_CYCLE_1)
	v_cndmask_b32_e64 v0, v0, 0, s13
	s_delay_alu instid0(VALU_DEP_1)
	v_or_b32_e32 v53, v0, v66
.LBB6_8869:                             ;   in Loop: Header=BB6_7947 Depth=3
	s_or_b32 exec_lo, exec_lo, s74
                                        ; implicit-def: $vgpr66
.LBB6_8870:                             ;   in Loop: Header=BB6_7947 Depth=3
	s_and_not1_saveexec_b32 s13, s45
; %bb.8871:                             ;   in Loop: Header=BB6_7947 Depth=3
	v_or_b32_e32 v53, 0x7e, v66
; %bb.8872:                             ;   in Loop: Header=BB6_7947 Depth=3
	s_or_b32 exec_lo, exec_lo, s13
                                        ; implicit-def: $vgpr24
.LBB6_8873:                             ;   in Loop: Header=BB6_7947 Depth=3
	s_and_not1_saveexec_b32 s13, s44
; %bb.8874:                             ;   in Loop: Header=BB6_7947 Depth=3
	v_or_b32_e32 v53, 0x7f, v24
; %bb.8875:                             ;   in Loop: Header=BB6_7947 Depth=3
	s_or_b32 exec_lo, exec_lo, s13
	v_dual_lshrrev_b32 v0, 16, v35 :: v_dual_mov_b32 v32, 0
	v_mov_b32_e32 v33, 0
	s_mov_b32 s13, exec_lo
	s_delay_alu instid0(VALU_DEP_2) | instskip(NEXT) | instid1(VALU_DEP_1)
	v_and_b32_e32 v2, 0xff, v0
	v_cmpx_ne_u16_e32 0, v2
	s_cbranch_execz .LBB6_8883
; %bb.8876:                             ;   in Loop: Header=BB6_7947 Depth=3
	v_bfrev_b32_e32 v33, 1
	s_mov_b32 s44, exec_lo
	v_cmpx_ne_u16_e32 0x80, v2
	s_cbranch_execz .LBB6_8882
; %bb.8877:                             ;   in Loop: Header=BB6_7947 Depth=3
	v_bfe_u32 v24, v35, 16, 7
	v_mov_b32_e32 v33, 0x7f800001
	s_mov_b32 s45, exec_lo
	s_delay_alu instid0(VALU_DEP_2)
	v_cmpx_ne_u32_e32 0x7f, v24
	s_cbranch_execz .LBB6_8881
; %bb.8878:                             ;   in Loop: Header=BB6_7947 Depth=3
	v_and_b32_e32 v2, 7, v0
	v_lshrrev_b32_e32 v33, 3, v24
	v_cmp_gt_u32_e32 vcc_lo, 8, v24
	s_delay_alu instid0(VALU_DEP_3)
	v_mov_b64_e32 v[24:25], v[2:3]
	s_and_saveexec_b32 s74, vcc_lo
; %bb.8879:                             ;   in Loop: Header=BB6_7947 Depth=3
	v_clz_i32_u32_e32 v24, v2
	s_delay_alu instid0(VALU_DEP_1) | instskip(NEXT) | instid1(VALU_DEP_1)
	v_min_u32_e32 v33, 32, v24
	v_subrev_nc_u32_e32 v24, 28, v33
	s_delay_alu instid0(VALU_DEP_1) | instskip(NEXT) | instid1(VALU_DEP_1)
	v_lshlrev_b64_e32 v[24:25], v24, v[2:3]
	v_dual_sub_nc_u32 v33, 29, v33 :: v_dual_bitop2_b32 v24, 7, v24 bitop3:0x40
; %bb.8880:                             ;   in Loop: Header=BB6_7947 Depth=3
	s_or_b32 exec_lo, exec_lo, s74
	v_lshlrev_b32_e32 v0, 24, v0
	s_delay_alu instid0(VALU_DEP_2) | instskip(NEXT) | instid1(VALU_DEP_3)
	v_lshlrev_b32_e32 v2, 20, v24
	v_lshl_add_u32 v24, v33, 23, 0x3c000000
	s_delay_alu instid0(VALU_DEP_3) | instskip(NEXT) | instid1(VALU_DEP_1)
	v_and_b32_e32 v0, 0x80000000, v0
	v_or3_b32 v33, v2, v0, v24
.LBB6_8881:                             ;   in Loop: Header=BB6_7947 Depth=3
	s_or_b32 exec_lo, exec_lo, s45
.LBB6_8882:                             ;   in Loop: Header=BB6_7947 Depth=3
	s_delay_alu instid0(SALU_CYCLE_1)
	s_or_b32 exec_lo, exec_lo, s44
.LBB6_8883:                             ;   in Loop: Header=BB6_7947 Depth=3
	s_delay_alu instid0(SALU_CYCLE_1) | instskip(SKIP_2) | instid1(VALU_DEP_1)
	s_or_b32 exec_lo, exec_lo, s13
	v_lshrrev_b32_e32 v0, 16, v27
	s_mov_b32 s13, exec_lo
	v_and_b32_e32 v2, 0xff, v0
	s_delay_alu instid0(VALU_DEP_1)
	v_cmpx_ne_u16_e32 0, v2
	s_cbranch_execz .LBB6_8891
; %bb.8884:                             ;   in Loop: Header=BB6_7947 Depth=3
	v_bfrev_b32_e32 v32, 1
	s_mov_b32 s44, exec_lo
	v_cmpx_ne_u16_e32 0x80, v2
	s_cbranch_execz .LBB6_8890
; %bb.8885:                             ;   in Loop: Header=BB6_7947 Depth=3
	v_bfe_u32 v24, v27, 16, 7
	v_mov_b32_e32 v32, 0x7f800001
	s_mov_b32 s45, exec_lo
	s_delay_alu instid0(VALU_DEP_2)
	v_cmpx_ne_u32_e32 0x7f, v24
	s_cbranch_execz .LBB6_8889
; %bb.8886:                             ;   in Loop: Header=BB6_7947 Depth=3
	v_and_b32_e32 v2, 7, v0
	v_lshrrev_b32_e32 v0, 3, v24
	v_cmp_gt_u32_e32 vcc_lo, 8, v24
	s_delay_alu instid0(VALU_DEP_3)
	v_mov_b64_e32 v[24:25], v[2:3]
	s_and_saveexec_b32 s74, vcc_lo
; %bb.8887:                             ;   in Loop: Header=BB6_7947 Depth=3
	v_clz_i32_u32_e32 v0, v2
	s_delay_alu instid0(VALU_DEP_1) | instskip(NEXT) | instid1(VALU_DEP_1)
	v_min_u32_e32 v0, 32, v0
	v_subrev_nc_u32_e32 v24, 28, v0
	v_sub_nc_u32_e32 v0, 29, v0
	s_delay_alu instid0(VALU_DEP_2) | instskip(NEXT) | instid1(VALU_DEP_1)
	v_lshlrev_b64_e32 v[24:25], v24, v[2:3]
	v_and_b32_e32 v24, 7, v24
; %bb.8888:                             ;   in Loop: Header=BB6_7947 Depth=3
	s_or_b32 exec_lo, exec_lo, s74
	s_delay_alu instid0(VALU_DEP_1) | instskip(SKIP_1) | instid1(VALU_DEP_2)
	v_dual_lshlrev_b32 v2, 8, v27 :: v_dual_lshlrev_b32 v24, 20, v24
	v_lshl_add_u32 v0, v0, 23, 0x3c000000
	v_and_b32_e32 v2, 0x80000000, v2
	s_delay_alu instid0(VALU_DEP_1)
	v_or3_b32 v32, v24, v2, v0
.LBB6_8889:                             ;   in Loop: Header=BB6_7947 Depth=3
	s_or_b32 exec_lo, exec_lo, s45
.LBB6_8890:                             ;   in Loop: Header=BB6_7947 Depth=3
	s_delay_alu instid0(SALU_CYCLE_1)
	s_or_b32 exec_lo, exec_lo, s44
.LBB6_8891:                             ;   in Loop: Header=BB6_7947 Depth=3
	s_delay_alu instid0(SALU_CYCLE_1) | instskip(NEXT) | instid1(VALU_DEP_1)
	s_or_b32 exec_lo, exec_lo, s13
	v_add_f32_e32 v0, v33, v32
                                        ; implicit-def: $vgpr32
	s_mov_b32 s13, exec_lo
	s_delay_alu instid0(VALU_DEP_1) | instskip(SKIP_1) | instid1(VALU_DEP_2)
	v_and_b32_e32 v2, 0x7f800000, v0
	v_lshrrev_b32_e32 v24, 24, v0
	v_cmpx_ne_u64_e32 0x7f800000, v[2:3]
	s_xor_b32 s44, exec_lo, s13
	s_cbranch_execz .LBB6_8905
; %bb.8892:                             ;   in Loop: Header=BB6_7947 Depth=3
	v_and_b32_e32 v2, 0x7fffffff, v0
	v_and_b32_e32 v66, 0x80, v24
                                        ; implicit-def: $vgpr32
	s_mov_b32 s13, exec_lo
	s_delay_alu instid0(VALU_DEP_2)
	v_cmpx_gt_u64_e32 0x43e00001, v[2:3]
	s_xor_b32 s45, exec_lo, s13
	s_cbranch_execz .LBB6_8902
; %bb.8893:                             ;   in Loop: Header=BB6_7947 Depth=3
	v_mov_b32_e32 v32, 0
	s_mov_b32 s74, exec_lo
	v_cmpx_ne_u32_e32 0, v0
	s_cbranch_execz .LBB6_8901
; %bb.8894:                             ;   in Loop: Header=BB6_7947 Depth=3
	v_bfe_u32 v67, v0, 23, 8
	v_and_b32_e32 v2, 0x7fffff, v0
	s_delay_alu instid0(VALU_DEP_2) | instskip(SKIP_2) | instid1(VALU_DEP_4)
	v_cmp_gt_u32_e64 s13, 0x7a, v67
	v_sub_nc_u32_e32 v0, 0x79, v67
	v_cmp_eq_u32_e32 vcc_lo, 0, v67
	v_or_b32_e32 v24, 0x800000, v2
	s_delay_alu instid0(VALU_DEP_1) | instskip(NEXT) | instid1(VALU_DEP_1)
	v_dual_cndmask_b32 v0, 0, v0, s13 :: v_dual_cndmask_b32 v2, v24, v2, vcc_lo
	v_cndmask_b32_e64 v0, v0, 0x78, vcc_lo
	s_delay_alu instid0(VALU_DEP_1) | instskip(NEXT) | instid1(VALU_DEP_1)
	v_dual_add_nc_u32 v24, 20, v0 :: v_dual_add_nc_u32 v32, 19, v0
	v_lshlrev_b64_e64 v[24:25], v24, -1
	s_delay_alu instid0(VALU_DEP_2) | instskip(NEXT) | instid1(VALU_DEP_2)
	v_lshlrev_b64_e64 v[32:33], v32, 1
	v_bfi_b32 v25, v25, 0, 0
	s_delay_alu instid0(VALU_DEP_3) | instskip(NEXT) | instid1(VALU_DEP_1)
	v_bfi_b32 v24, v24, 0, v2
	v_cmp_eq_u64_e64 s13, v[24:25], v[32:33]
	v_lshrrev_b64 v[24:25], v0, v[2:3]
	s_delay_alu instid0(VALU_DEP_1)
	v_mov_b64_e32 v[32:33], v[24:25]
	s_and_saveexec_b32 s75, s13
; %bb.8895:                             ;   in Loop: Header=BB6_7947 Depth=3
	v_bfe_u32 v2, v24, 20, 1
	s_delay_alu instid0(VALU_DEP_1) | instskip(NEXT) | instid1(VALU_DEP_1)
	v_add_nc_u64_e32 v[32:33], v[24:25], v[2:3]
	v_add_nc_u64_e32 v[32:33], -1, v[32:33]
; %bb.8896:                             ;   in Loop: Header=BB6_7947 Depth=3
	s_or_b32 exec_lo, exec_lo, s75
	v_add_nc_u32_e32 v2, 0xffffff81, v67
	v_lshrrev_b32_e32 v25, 23, v24
	s_mov_b32 s13, exec_lo
	s_delay_alu instid0(VALU_DEP_2) | instskip(NEXT) | instid1(VALU_DEP_1)
	v_cndmask_b32_e64 v2, v2, 0xffffff82, vcc_lo
	v_add3_u32 v33, v0, v2, v25
	v_and_b32_e32 v0, 0xfffff, v32
	s_delay_alu instid0(VALU_DEP_1) | instskip(NEXT) | instid1(VALU_DEP_1)
	v_dual_add_nc_u32 v32, 6, v33 :: v_dual_add_nc_u32 v2, v0, v24
                                        ; implicit-def: $vgpr24_vgpr25
                                        ; implicit-def: $vgpr0
	v_cmpx_ne_u32_e32 0, v32
	s_xor_b32 s13, exec_lo, s13
; %bb.8897:                             ;   in Loop: Header=BB6_7947 Depth=3
	s_delay_alu instid0(VALU_DEP_2) | instskip(SKIP_2) | instid1(VALU_DEP_2)
	v_cmp_lt_u64_e32 vcc_lo, 0xffffff, v[2:3]
	v_add_nc_u32_e32 v0, 7, v33
	v_cndmask_b32_e64 v24, 0, 1, vcc_lo
	v_cndmask_b32_e32 v0, v32, v0, vcc_lo
	s_delay_alu instid0(VALU_DEP_2)
	v_lshrrev_b64 v[24:25], v24, v[2:3]
; %bb.8898:                             ;   in Loop: Header=BB6_7947 Depth=3
	s_and_not1_saveexec_b32 s13, s13
; %bb.8899:                             ;   in Loop: Header=BB6_7947 Depth=3
	v_mov_b64_e32 v[24:25], v[2:3]
	v_bfe_u32 v0, v2, 23, 1
; %bb.8900:                             ;   in Loop: Header=BB6_7947 Depth=3
	s_or_b32 exec_lo, exec_lo, s13
	s_delay_alu instid0(VALU_DEP_2) | instskip(NEXT) | instid1(VALU_DEP_2)
	v_lshrrev_b64 v[24:25], 20, v[24:25]
	v_cmp_gt_i32_e32 vcc_lo, 16, v0
	v_min_i32_e32 v2, 15, v0
	v_cmp_eq_u32_e64 s13, 0, v0
	s_delay_alu instid0(VALU_DEP_2) | instskip(SKIP_1) | instid1(VALU_DEP_2)
	v_dual_cndmask_b32 v25, 0, v25 :: v_dual_lshlrev_b32 v2, 3, v2
	v_cndmask_b32_e32 v24, 7, v24, vcc_lo
	v_and_b32_e32 v2, 0xf8, v2
	s_delay_alu instid0(VALU_DEP_2) | instskip(NEXT) | instid1(VALU_DEP_2)
	v_cmp_eq_u64_e32 vcc_lo, 0, v[24:25]
	v_and_or_b32 v0, v24, 7, v2
	s_and_b32 s13, s13, vcc_lo
	s_delay_alu instid0(VALU_DEP_1) | instid1(SALU_CYCLE_1)
	v_cndmask_b32_e64 v0, v0, 0, s13
	s_delay_alu instid0(VALU_DEP_1)
	v_or_b32_e32 v32, v0, v66
.LBB6_8901:                             ;   in Loop: Header=BB6_7947 Depth=3
	s_or_b32 exec_lo, exec_lo, s74
                                        ; implicit-def: $vgpr66
.LBB6_8902:                             ;   in Loop: Header=BB6_7947 Depth=3
	s_and_not1_saveexec_b32 s13, s45
; %bb.8903:                             ;   in Loop: Header=BB6_7947 Depth=3
	v_or_b32_e32 v32, 0x7e, v66
; %bb.8904:                             ;   in Loop: Header=BB6_7947 Depth=3
	s_or_b32 exec_lo, exec_lo, s13
                                        ; implicit-def: $vgpr24
.LBB6_8905:                             ;   in Loop: Header=BB6_7947 Depth=3
	s_and_not1_saveexec_b32 s13, s44
; %bb.8906:                             ;   in Loop: Header=BB6_7947 Depth=3
	v_or_b32_e32 v32, 0x7f, v24
; %bb.8907:                             ;   in Loop: Header=BB6_7947 Depth=3
	s_or_b32 exec_lo, exec_lo, s13
	v_cmp_lt_u64_e32 vcc_lo, s[22:23], v[34:35]
	v_dual_mov_b32 v33, 0 :: v_dual_mov_b32 v34, 0
	s_and_saveexec_b32 s13, vcc_lo
	s_cbranch_execz .LBB6_8915
; %bb.8908:                             ;   in Loop: Header=BB6_7947 Depth=3
	v_lshrrev_b32_e32 v0, 24, v35
	v_bfrev_b32_e32 v34, 1
	s_mov_b32 s44, exec_lo
	s_delay_alu instid0(VALU_DEP_2)
	v_cmpx_ne_u32_e32 0x80, v0
	s_cbranch_execz .LBB6_8914
; %bb.8909:                             ;   in Loop: Header=BB6_7947 Depth=3
	v_bfe_u32 v24, v35, 24, 7
	v_mov_b32_e32 v34, 0x7f800001
	s_mov_b32 s45, exec_lo
	s_delay_alu instid0(VALU_DEP_2)
	v_cmpx_ne_u32_e32 0x7f, v24
	s_cbranch_execz .LBB6_8913
; %bb.8910:                             ;   in Loop: Header=BB6_7947 Depth=3
	v_and_b32_e32 v2, 7, v0
	v_lshrrev_b32_e32 v34, 3, v24
	v_cmp_gt_u32_e32 vcc_lo, 8, v24
	s_delay_alu instid0(VALU_DEP_3)
	v_mov_b64_e32 v[24:25], v[2:3]
	s_and_saveexec_b32 s74, vcc_lo
; %bb.8911:                             ;   in Loop: Header=BB6_7947 Depth=3
	v_clz_i32_u32_e32 v24, v2
	s_delay_alu instid0(VALU_DEP_1) | instskip(NEXT) | instid1(VALU_DEP_1)
	v_min_u32_e32 v34, 32, v24
	v_subrev_nc_u32_e32 v24, 28, v34
	s_delay_alu instid0(VALU_DEP_1) | instskip(NEXT) | instid1(VALU_DEP_1)
	v_lshlrev_b64_e32 v[24:25], v24, v[2:3]
	v_dual_sub_nc_u32 v34, 29, v34 :: v_dual_bitop2_b32 v24, 7, v24 bitop3:0x40
; %bb.8912:                             ;   in Loop: Header=BB6_7947 Depth=3
	s_or_b32 exec_lo, exec_lo, s74
	v_lshlrev_b32_e32 v0, 24, v0
	s_delay_alu instid0(VALU_DEP_2) | instskip(NEXT) | instid1(VALU_DEP_3)
	v_lshlrev_b32_e32 v2, 20, v24
	v_lshl_add_u32 v24, v34, 23, 0x3c000000
	s_delay_alu instid0(VALU_DEP_3) | instskip(NEXT) | instid1(VALU_DEP_1)
	v_and_b32_e32 v0, 0x80000000, v0
	v_or3_b32 v34, v2, v0, v24
.LBB6_8913:                             ;   in Loop: Header=BB6_7947 Depth=3
	s_or_b32 exec_lo, exec_lo, s45
.LBB6_8914:                             ;   in Loop: Header=BB6_7947 Depth=3
	s_delay_alu instid0(SALU_CYCLE_1)
	s_or_b32 exec_lo, exec_lo, s44
.LBB6_8915:                             ;   in Loop: Header=BB6_7947 Depth=3
	s_delay_alu instid0(SALU_CYCLE_1) | instskip(NEXT) | instid1(SALU_CYCLE_1)
	s_or_b32 exec_lo, exec_lo, s13
	s_mov_b32 s13, exec_lo
	v_cmpx_lt_u64_e64 s[22:23], v[26:27]
	s_cbranch_execz .LBB6_8923
; %bb.8916:                             ;   in Loop: Header=BB6_7947 Depth=3
	v_lshrrev_b32_e32 v0, 24, v27
	v_bfrev_b32_e32 v33, 1
	s_mov_b32 s44, exec_lo
	s_delay_alu instid0(VALU_DEP_2)
	v_cmpx_ne_u32_e32 0x80, v0
	s_cbranch_execz .LBB6_8922
; %bb.8917:                             ;   in Loop: Header=BB6_7947 Depth=3
	v_bfe_u32 v24, v27, 24, 7
	v_mov_b32_e32 v33, 0x7f800001
	s_mov_b32 s45, exec_lo
	s_delay_alu instid0(VALU_DEP_2)
	v_cmpx_ne_u32_e32 0x7f, v24
	s_cbranch_execz .LBB6_8921
; %bb.8918:                             ;   in Loop: Header=BB6_7947 Depth=3
	v_and_b32_e32 v2, 7, v0
	v_lshrrev_b32_e32 v26, 3, v24
	v_cmp_gt_u32_e32 vcc_lo, 8, v24
	s_delay_alu instid0(VALU_DEP_3)
	v_mov_b64_e32 v[24:25], v[2:3]
	s_and_saveexec_b32 s74, vcc_lo
; %bb.8919:                             ;   in Loop: Header=BB6_7947 Depth=3
	v_clz_i32_u32_e32 v24, v2
	s_delay_alu instid0(VALU_DEP_1) | instskip(NEXT) | instid1(VALU_DEP_1)
	v_min_u32_e32 v26, 32, v24
	v_subrev_nc_u32_e32 v24, 28, v26
	s_delay_alu instid0(VALU_DEP_1) | instskip(NEXT) | instid1(VALU_DEP_1)
	v_lshlrev_b64_e32 v[24:25], v24, v[2:3]
	v_dual_sub_nc_u32 v26, 29, v26 :: v_dual_bitop2_b32 v24, 7, v24 bitop3:0x40
; %bb.8920:                             ;   in Loop: Header=BB6_7947 Depth=3
	s_or_b32 exec_lo, exec_lo, s74
	v_lshlrev_b32_e32 v0, 24, v0
	s_delay_alu instid0(VALU_DEP_2) | instskip(NEXT) | instid1(VALU_DEP_3)
	v_lshlrev_b32_e32 v2, 20, v24
	v_lshl_add_u32 v24, v26, 23, 0x3c000000
	s_delay_alu instid0(VALU_DEP_3) | instskip(NEXT) | instid1(VALU_DEP_1)
	v_and_b32_e32 v0, 0x80000000, v0
	v_or3_b32 v33, v2, v0, v24
.LBB6_8921:                             ;   in Loop: Header=BB6_7947 Depth=3
	s_or_b32 exec_lo, exec_lo, s45
.LBB6_8922:                             ;   in Loop: Header=BB6_7947 Depth=3
	s_delay_alu instid0(SALU_CYCLE_1)
	s_or_b32 exec_lo, exec_lo, s44
.LBB6_8923:                             ;   in Loop: Header=BB6_7947 Depth=3
	s_delay_alu instid0(SALU_CYCLE_1) | instskip(NEXT) | instid1(VALU_DEP_1)
	s_or_b32 exec_lo, exec_lo, s13
	v_add_f32_e32 v0, v34, v33
                                        ; implicit-def: $vgpr33
	s_mov_b32 s13, exec_lo
	s_delay_alu instid0(VALU_DEP_1) | instskip(SKIP_1) | instid1(VALU_DEP_2)
	v_and_b32_e32 v2, 0x7f800000, v0
	v_lshrrev_b32_e32 v24, 24, v0
	v_cmpx_ne_u64_e32 0x7f800000, v[2:3]
	s_xor_b32 s44, exec_lo, s13
	s_cbranch_execz .LBB6_8937
; %bb.8924:                             ;   in Loop: Header=BB6_7947 Depth=3
	v_and_b32_e32 v2, 0x7fffffff, v0
	v_and_b32_e32 v34, 0x80, v24
                                        ; implicit-def: $vgpr33
	s_mov_b32 s13, exec_lo
	s_delay_alu instid0(VALU_DEP_2)
	v_cmpx_gt_u64_e32 0x43e00001, v[2:3]
	s_xor_b32 s45, exec_lo, s13
	s_cbranch_execz .LBB6_8934
; %bb.8925:                             ;   in Loop: Header=BB6_7947 Depth=3
	v_mov_b32_e32 v33, 0
	s_mov_b32 s74, exec_lo
	v_cmpx_ne_u32_e32 0, v0
	s_cbranch_execz .LBB6_8933
; %bb.8926:                             ;   in Loop: Header=BB6_7947 Depth=3
	v_bfe_u32 v33, v0, 23, 8
	v_and_b32_e32 v2, 0x7fffff, v0
	s_delay_alu instid0(VALU_DEP_2) | instskip(SKIP_2) | instid1(VALU_DEP_4)
	v_cmp_gt_u32_e64 s13, 0x7a, v33
	v_sub_nc_u32_e32 v0, 0x79, v33
	v_cmp_eq_u32_e32 vcc_lo, 0, v33
	v_or_b32_e32 v24, 0x800000, v2
	s_delay_alu instid0(VALU_DEP_1) | instskip(NEXT) | instid1(VALU_DEP_1)
	v_dual_cndmask_b32 v0, 0, v0, s13 :: v_dual_cndmask_b32 v2, v24, v2, vcc_lo
	v_cndmask_b32_e64 v0, v0, 0x78, vcc_lo
	s_delay_alu instid0(VALU_DEP_1) | instskip(NEXT) | instid1(VALU_DEP_1)
	v_dual_add_nc_u32 v24, 20, v0 :: v_dual_add_nc_u32 v26, 19, v0
	v_lshlrev_b64_e64 v[24:25], v24, -1
	s_delay_alu instid0(VALU_DEP_2) | instskip(NEXT) | instid1(VALU_DEP_2)
	v_lshlrev_b64_e64 v[26:27], v26, 1
	v_bfi_b32 v25, v25, 0, 0
	s_delay_alu instid0(VALU_DEP_3) | instskip(NEXT) | instid1(VALU_DEP_1)
	v_bfi_b32 v24, v24, 0, v2
	v_cmp_eq_u64_e64 s13, v[24:25], v[26:27]
	v_lshrrev_b64 v[24:25], v0, v[2:3]
	s_delay_alu instid0(VALU_DEP_1)
	v_mov_b64_e32 v[26:27], v[24:25]
	s_and_saveexec_b32 s75, s13
; %bb.8927:                             ;   in Loop: Header=BB6_7947 Depth=3
	v_bfe_u32 v2, v24, 20, 1
	s_delay_alu instid0(VALU_DEP_1) | instskip(NEXT) | instid1(VALU_DEP_1)
	v_add_nc_u64_e32 v[26:27], v[24:25], v[2:3]
	v_add_nc_u64_e32 v[26:27], -1, v[26:27]
; %bb.8928:                             ;   in Loop: Header=BB6_7947 Depth=3
	s_or_b32 exec_lo, exec_lo, s75
	v_add_nc_u32_e32 v2, 0xffffff81, v33
	v_lshrrev_b32_e32 v25, 23, v24
	s_mov_b32 s13, exec_lo
	s_delay_alu instid0(VALU_DEP_2) | instskip(NEXT) | instid1(VALU_DEP_1)
	v_cndmask_b32_e64 v2, v2, 0xffffff82, vcc_lo
	v_add3_u32 v27, v0, v2, v25
	v_and_b32_e32 v0, 0xfffff, v26
	s_delay_alu instid0(VALU_DEP_1) | instskip(NEXT) | instid1(VALU_DEP_1)
	v_dual_add_nc_u32 v26, 6, v27 :: v_dual_add_nc_u32 v2, v0, v24
                                        ; implicit-def: $vgpr24_vgpr25
                                        ; implicit-def: $vgpr0
	v_cmpx_ne_u32_e32 0, v26
	s_xor_b32 s13, exec_lo, s13
; %bb.8929:                             ;   in Loop: Header=BB6_7947 Depth=3
	s_delay_alu instid0(VALU_DEP_2) | instskip(SKIP_2) | instid1(VALU_DEP_2)
	v_cmp_lt_u64_e32 vcc_lo, 0xffffff, v[2:3]
	v_add_nc_u32_e32 v0, 7, v27
	v_cndmask_b32_e64 v24, 0, 1, vcc_lo
	v_cndmask_b32_e32 v0, v26, v0, vcc_lo
	s_delay_alu instid0(VALU_DEP_2)
	v_lshrrev_b64 v[24:25], v24, v[2:3]
; %bb.8930:                             ;   in Loop: Header=BB6_7947 Depth=3
	s_and_not1_saveexec_b32 s13, s13
; %bb.8931:                             ;   in Loop: Header=BB6_7947 Depth=3
	v_mov_b64_e32 v[24:25], v[2:3]
	v_bfe_u32 v0, v2, 23, 1
; %bb.8932:                             ;   in Loop: Header=BB6_7947 Depth=3
	s_or_b32 exec_lo, exec_lo, s13
	s_delay_alu instid0(VALU_DEP_2) | instskip(NEXT) | instid1(VALU_DEP_2)
	v_lshrrev_b64 v[24:25], 20, v[24:25]
	v_cmp_gt_i32_e32 vcc_lo, 16, v0
	v_min_i32_e32 v2, 15, v0
	v_cmp_eq_u32_e64 s13, 0, v0
	s_delay_alu instid0(VALU_DEP_2) | instskip(SKIP_1) | instid1(VALU_DEP_2)
	v_dual_cndmask_b32 v25, 0, v25 :: v_dual_lshlrev_b32 v2, 3, v2
	v_cndmask_b32_e32 v24, 7, v24, vcc_lo
	v_and_b32_e32 v2, 0xf8, v2
	s_delay_alu instid0(VALU_DEP_2) | instskip(NEXT) | instid1(VALU_DEP_2)
	v_cmp_eq_u64_e32 vcc_lo, 0, v[24:25]
	v_and_or_b32 v0, v24, 7, v2
	s_and_b32 s13, s13, vcc_lo
	s_delay_alu instid0(VALU_DEP_1) | instid1(SALU_CYCLE_1)
	v_cndmask_b32_e64 v0, v0, 0, s13
	s_delay_alu instid0(VALU_DEP_1)
	v_or_b32_e32 v33, v0, v34
.LBB6_8933:                             ;   in Loop: Header=BB6_7947 Depth=3
	s_or_b32 exec_lo, exec_lo, s74
                                        ; implicit-def: $vgpr34
.LBB6_8934:                             ;   in Loop: Header=BB6_7947 Depth=3
	s_and_not1_saveexec_b32 s13, s45
; %bb.8935:                             ;   in Loop: Header=BB6_7947 Depth=3
	v_or_b32_e32 v33, 0x7e, v34
; %bb.8936:                             ;   in Loop: Header=BB6_7947 Depth=3
	s_or_b32 exec_lo, exec_lo, s13
                                        ; implicit-def: $vgpr24
.LBB6_8937:                             ;   in Loop: Header=BB6_7947 Depth=3
	s_and_not1_saveexec_b32 s13, s44
; %bb.8938:                             ;   in Loop: Header=BB6_7947 Depth=3
	v_or_b32_e32 v33, 0x7f, v24
; %bb.8939:                             ;   in Loop: Header=BB6_7947 Depth=3
	s_or_b32 exec_lo, exec_lo, s13
	v_and_b32_e32 v0, 0xff, v20
	v_dual_mov_b32 v2, 0 :: v_dual_mov_b32 v24, 0
	s_mov_b32 s13, exec_lo
	s_delay_alu instid0(VALU_DEP_2)
	v_cmpx_ne_u16_e32 0, v0
	s_cbranch_execz .LBB6_8945
; %bb.8940:                             ;   in Loop: Header=BB6_7947 Depth=3
	v_bfrev_b32_e32 v24, 1
	s_mov_b32 s44, exec_lo
	v_cmpx_ne_u16_e32 0x80, v0
	s_cbranch_execz .LBB6_8944
; %bb.8941:                             ;   in Loop: Header=BB6_7947 Depth=3
	v_and_b32_e32 v0, 0x7f, v20
	v_mov_b32_e32 v24, 0x7f800001
	s_mov_b32 s45, exec_lo
	s_delay_alu instid0(VALU_DEP_2)
	v_cmpx_ne_u32_e32 0x7f, v0
	s_cbranch_execz .LBB6_8943
; %bb.8942:                             ;   in Loop: Header=BB6_7947 Depth=3
	v_and_b32_e32 v24, 7, v20
	v_lshrrev_b32_e32 v25, 3, v0
	v_cmp_gt_u32_e32 vcc_lo, 8, v0
	s_delay_alu instid0(VALU_DEP_3) | instskip(NEXT) | instid1(VALU_DEP_1)
	v_clz_i32_u32_e32 v0, v24
	v_min_u32_e32 v0, 32, v0
	s_delay_alu instid0(VALU_DEP_1) | instskip(SKIP_1) | instid1(VALU_DEP_2)
	v_subrev_nc_u32_e32 v24, 28, v0
	v_sub_nc_u32_e32 v0, 29, v0
	v_cndmask_b32_e32 v24, 0, v24, vcc_lo
	s_delay_alu instid0(VALU_DEP_2) | instskip(NEXT) | instid1(VALU_DEP_2)
	v_cndmask_b32_e32 v0, v25, v0, vcc_lo
	v_lshlrev_b64_e32 v[24:25], v24, v[20:21]
	v_lshlrev_b32_e32 v25, 24, v20
	s_delay_alu instid0(VALU_DEP_3) | instskip(NEXT) | instid1(VALU_DEP_2)
	v_lshl_add_u32 v0, v0, 23, 0x3c000000
	v_and_b32_e32 v25, 0x80000000, v25
	s_delay_alu instid0(VALU_DEP_4) | instskip(NEXT) | instid1(VALU_DEP_1)
	v_lshlrev_b32_e32 v24, 20, v24
	v_and_b32_e32 v24, 0x700000, v24
	s_delay_alu instid0(VALU_DEP_1)
	v_or3_b32 v24, v24, v25, v0
.LBB6_8943:                             ;   in Loop: Header=BB6_7947 Depth=3
	s_or_b32 exec_lo, exec_lo, s45
.LBB6_8944:                             ;   in Loop: Header=BB6_7947 Depth=3
	s_delay_alu instid0(SALU_CYCLE_1)
	s_or_b32 exec_lo, exec_lo, s44
.LBB6_8945:                             ;   in Loop: Header=BB6_7947 Depth=3
	s_delay_alu instid0(SALU_CYCLE_1) | instskip(SKIP_3) | instid1(VALU_DEP_1)
	s_or_b32 exec_lo, exec_lo, s13
	s_wait_loadcnt 0x1
	v_and_b32_e32 v0, 0xff, v16
	s_mov_b32 s13, exec_lo
	v_cmpx_ne_u16_e32 0, v0
	s_cbranch_execz .LBB6_8951
; %bb.8946:                             ;   in Loop: Header=BB6_7947 Depth=3
	v_bfrev_b32_e32 v2, 1
	s_mov_b32 s44, exec_lo
	v_cmpx_ne_u16_e32 0x80, v0
	s_cbranch_execz .LBB6_8950
; %bb.8947:                             ;   in Loop: Header=BB6_7947 Depth=3
	v_and_b32_e32 v0, 0x7f, v16
	v_mov_b32_e32 v2, 0x7f800001
	s_mov_b32 s45, exec_lo
	s_delay_alu instid0(VALU_DEP_2)
	v_cmpx_ne_u32_e32 0x7f, v0
	s_cbranch_execz .LBB6_8949
; %bb.8948:                             ;   in Loop: Header=BB6_7947 Depth=3
	v_and_b32_e32 v2, 7, v16
	v_lshrrev_b32_e32 v25, 3, v0
	v_cmp_gt_u32_e32 vcc_lo, 8, v0
	s_delay_alu instid0(VALU_DEP_3) | instskip(NEXT) | instid1(VALU_DEP_1)
	v_clz_i32_u32_e32 v0, v2
	v_min_u32_e32 v0, 32, v0
	s_delay_alu instid0(VALU_DEP_1) | instskip(NEXT) | instid1(VALU_DEP_1)
	v_subrev_nc_u32_e32 v2, 28, v0
	v_dual_sub_nc_u32 v0, 29, v0 :: v_dual_cndmask_b32 v2, 0, v2, vcc_lo
	s_delay_alu instid0(VALU_DEP_1) | instskip(SKIP_1) | instid1(VALU_DEP_3)
	v_cndmask_b32_e32 v0, v25, v0, vcc_lo
	v_lshlrev_b32_e32 v25, 24, v16
	v_lshlrev_b64_e32 v[26:27], v2, v[16:17]
	s_delay_alu instid0(VALU_DEP_3) | instskip(NEXT) | instid1(VALU_DEP_3)
	v_lshl_add_u32 v0, v0, 23, 0x3c000000
	v_and_b32_e32 v25, 0x80000000, v25
	s_delay_alu instid0(VALU_DEP_3) | instskip(NEXT) | instid1(VALU_DEP_1)
	v_lshlrev_b32_e32 v2, 20, v26
	v_and_b32_e32 v2, 0x700000, v2
	s_delay_alu instid0(VALU_DEP_1)
	v_or3_b32 v2, v2, v25, v0
.LBB6_8949:                             ;   in Loop: Header=BB6_7947 Depth=3
	s_or_b32 exec_lo, exec_lo, s45
.LBB6_8950:                             ;   in Loop: Header=BB6_7947 Depth=3
	s_delay_alu instid0(SALU_CYCLE_1)
	s_or_b32 exec_lo, exec_lo, s44
.LBB6_8951:                             ;   in Loop: Header=BB6_7947 Depth=3
	s_delay_alu instid0(SALU_CYCLE_1) | instskip(NEXT) | instid1(VALU_DEP_1)
	s_or_b32 exec_lo, exec_lo, s13
	v_add_f32_e32 v0, v24, v2
                                        ; implicit-def: $vgpr34
	s_mov_b32 s13, exec_lo
	s_delay_alu instid0(VALU_DEP_1) | instskip(SKIP_1) | instid1(VALU_DEP_2)
	v_and_b32_e32 v2, 0x7f800000, v0
	v_lshrrev_b32_e32 v24, 24, v0
	v_cmpx_ne_u64_e32 0x7f800000, v[2:3]
	s_xor_b32 s44, exec_lo, s13
	s_cbranch_execz .LBB6_8965
; %bb.8952:                             ;   in Loop: Header=BB6_7947 Depth=3
	v_and_b32_e32 v2, 0x7fffffff, v0
	v_and_b32_e32 v35, 0x80, v24
                                        ; implicit-def: $vgpr34
	s_mov_b32 s13, exec_lo
	s_delay_alu instid0(VALU_DEP_2)
	v_cmpx_gt_u64_e32 0x43e00001, v[2:3]
	s_xor_b32 s45, exec_lo, s13
	s_cbranch_execz .LBB6_8962
; %bb.8953:                             ;   in Loop: Header=BB6_7947 Depth=3
	v_mov_b32_e32 v34, 0
	s_mov_b32 s74, exec_lo
	v_cmpx_ne_u32_e32 0, v0
	s_cbranch_execz .LBB6_8961
; %bb.8954:                             ;   in Loop: Header=BB6_7947 Depth=3
	v_bfe_u32 v34, v0, 23, 8
	v_and_b32_e32 v2, 0x7fffff, v0
	s_delay_alu instid0(VALU_DEP_2) | instskip(SKIP_2) | instid1(VALU_DEP_4)
	v_cmp_gt_u32_e64 s13, 0x7a, v34
	v_sub_nc_u32_e32 v0, 0x79, v34
	v_cmp_eq_u32_e32 vcc_lo, 0, v34
	v_or_b32_e32 v24, 0x800000, v2
	s_delay_alu instid0(VALU_DEP_1) | instskip(NEXT) | instid1(VALU_DEP_1)
	v_dual_cndmask_b32 v0, 0, v0, s13 :: v_dual_cndmask_b32 v2, v24, v2, vcc_lo
	v_cndmask_b32_e64 v0, v0, 0x78, vcc_lo
	s_delay_alu instid0(VALU_DEP_1) | instskip(NEXT) | instid1(VALU_DEP_1)
	v_dual_add_nc_u32 v24, 20, v0 :: v_dual_add_nc_u32 v26, 19, v0
	v_lshlrev_b64_e64 v[24:25], v24, -1
	s_delay_alu instid0(VALU_DEP_2) | instskip(NEXT) | instid1(VALU_DEP_2)
	v_lshlrev_b64_e64 v[26:27], v26, 1
	v_bfi_b32 v25, v25, 0, 0
	s_delay_alu instid0(VALU_DEP_3) | instskip(NEXT) | instid1(VALU_DEP_1)
	v_bfi_b32 v24, v24, 0, v2
	v_cmp_eq_u64_e64 s13, v[24:25], v[26:27]
	v_lshrrev_b64 v[24:25], v0, v[2:3]
	s_delay_alu instid0(VALU_DEP_1)
	v_mov_b64_e32 v[26:27], v[24:25]
	s_and_saveexec_b32 s75, s13
; %bb.8955:                             ;   in Loop: Header=BB6_7947 Depth=3
	v_bfe_u32 v2, v24, 20, 1
	s_delay_alu instid0(VALU_DEP_1) | instskip(NEXT) | instid1(VALU_DEP_1)
	v_add_nc_u64_e32 v[26:27], v[24:25], v[2:3]
	v_add_nc_u64_e32 v[26:27], -1, v[26:27]
; %bb.8956:                             ;   in Loop: Header=BB6_7947 Depth=3
	s_or_b32 exec_lo, exec_lo, s75
	v_add_nc_u32_e32 v2, 0xffffff81, v34
	v_lshrrev_b32_e32 v25, 23, v24
	s_mov_b32 s13, exec_lo
	s_delay_alu instid0(VALU_DEP_2) | instskip(NEXT) | instid1(VALU_DEP_1)
	v_cndmask_b32_e64 v2, v2, 0xffffff82, vcc_lo
	v_add3_u32 v27, v0, v2, v25
	v_and_b32_e32 v0, 0xfffff, v26
	s_delay_alu instid0(VALU_DEP_1) | instskip(NEXT) | instid1(VALU_DEP_1)
	v_dual_add_nc_u32 v26, 6, v27 :: v_dual_add_nc_u32 v2, v0, v24
                                        ; implicit-def: $vgpr24_vgpr25
                                        ; implicit-def: $vgpr0
	v_cmpx_ne_u32_e32 0, v26
	s_xor_b32 s13, exec_lo, s13
; %bb.8957:                             ;   in Loop: Header=BB6_7947 Depth=3
	s_delay_alu instid0(VALU_DEP_2) | instskip(SKIP_2) | instid1(VALU_DEP_2)
	v_cmp_lt_u64_e32 vcc_lo, 0xffffff, v[2:3]
	v_add_nc_u32_e32 v0, 7, v27
	v_cndmask_b32_e64 v24, 0, 1, vcc_lo
	v_cndmask_b32_e32 v0, v26, v0, vcc_lo
	s_delay_alu instid0(VALU_DEP_2)
	v_lshrrev_b64 v[24:25], v24, v[2:3]
; %bb.8958:                             ;   in Loop: Header=BB6_7947 Depth=3
	s_and_not1_saveexec_b32 s13, s13
; %bb.8959:                             ;   in Loop: Header=BB6_7947 Depth=3
	v_mov_b64_e32 v[24:25], v[2:3]
	v_bfe_u32 v0, v2, 23, 1
; %bb.8960:                             ;   in Loop: Header=BB6_7947 Depth=3
	s_or_b32 exec_lo, exec_lo, s13
	s_delay_alu instid0(VALU_DEP_2) | instskip(NEXT) | instid1(VALU_DEP_2)
	v_lshrrev_b64 v[24:25], 20, v[24:25]
	v_cmp_gt_i32_e32 vcc_lo, 16, v0
	v_min_i32_e32 v2, 15, v0
	v_cmp_eq_u32_e64 s13, 0, v0
	s_delay_alu instid0(VALU_DEP_2) | instskip(SKIP_1) | instid1(VALU_DEP_2)
	v_dual_cndmask_b32 v25, 0, v25 :: v_dual_lshlrev_b32 v2, 3, v2
	v_cndmask_b32_e32 v24, 7, v24, vcc_lo
	v_and_b32_e32 v2, 0xf8, v2
	s_delay_alu instid0(VALU_DEP_2) | instskip(NEXT) | instid1(VALU_DEP_2)
	v_cmp_eq_u64_e32 vcc_lo, 0, v[24:25]
	v_and_or_b32 v0, v24, 7, v2
	s_and_b32 s13, s13, vcc_lo
	s_delay_alu instid0(VALU_DEP_1) | instid1(SALU_CYCLE_1)
	v_cndmask_b32_e64 v0, v0, 0, s13
	s_delay_alu instid0(VALU_DEP_1)
	v_or_b32_e32 v34, v0, v35
.LBB6_8961:                             ;   in Loop: Header=BB6_7947 Depth=3
	s_or_b32 exec_lo, exec_lo, s74
                                        ; implicit-def: $vgpr35
.LBB6_8962:                             ;   in Loop: Header=BB6_7947 Depth=3
	s_and_not1_saveexec_b32 s13, s45
; %bb.8963:                             ;   in Loop: Header=BB6_7947 Depth=3
	v_or_b32_e32 v34, 0x7e, v35
; %bb.8964:                             ;   in Loop: Header=BB6_7947 Depth=3
	s_or_b32 exec_lo, exec_lo, s13
                                        ; implicit-def: $vgpr24
.LBB6_8965:                             ;   in Loop: Header=BB6_7947 Depth=3
	s_and_not1_saveexec_b32 s13, s44
; %bb.8966:                             ;   in Loop: Header=BB6_7947 Depth=3
	v_or_b32_e32 v34, 0x7f, v24
; %bb.8967:                             ;   in Loop: Header=BB6_7947 Depth=3
	s_or_b32 exec_lo, exec_lo, s13
	v_lshrrev_b16 v0, 8, v20
	v_dual_mov_b32 v26, 0 :: v_dual_mov_b32 v27, 0
	s_mov_b32 s13, exec_lo
	s_delay_alu instid0(VALU_DEP_2)
	v_cmpx_ne_u16_e32 0, v0
	s_cbranch_execz .LBB6_8975
; %bb.8968:                             ;   in Loop: Header=BB6_7947 Depth=3
	v_bfrev_b32_e32 v27, 1
	s_mov_b32 s44, exec_lo
	v_cmpx_ne_u16_e32 0x80, v0
	s_cbranch_execz .LBB6_8974
; %bb.8969:                             ;   in Loop: Header=BB6_7947 Depth=3
	v_and_b32_e32 v0, 0xffff, v0
	v_mov_b32_e32 v27, 0x7f800001
	s_mov_b32 s45, exec_lo
	s_delay_alu instid0(VALU_DEP_2) | instskip(NEXT) | instid1(VALU_DEP_1)
	v_and_b32_e32 v24, 0x7f, v0
	v_cmpx_ne_u32_e32 0x7f, v24
	s_cbranch_execz .LBB6_8973
; %bb.8970:                             ;   in Loop: Header=BB6_7947 Depth=3
	v_and_b32_e32 v2, 7, v0
	v_lshrrev_b32_e32 v0, 3, v24
	v_cmp_gt_u32_e32 vcc_lo, 8, v24
	s_delay_alu instid0(VALU_DEP_3)
	v_mov_b64_e32 v[24:25], v[2:3]
	s_and_saveexec_b32 s74, vcc_lo
; %bb.8971:                             ;   in Loop: Header=BB6_7947 Depth=3
	v_clz_i32_u32_e32 v0, v2
	s_delay_alu instid0(VALU_DEP_1) | instskip(NEXT) | instid1(VALU_DEP_1)
	v_min_u32_e32 v0, 32, v0
	v_subrev_nc_u32_e32 v24, 28, v0
	v_sub_nc_u32_e32 v0, 29, v0
	s_delay_alu instid0(VALU_DEP_2) | instskip(NEXT) | instid1(VALU_DEP_1)
	v_lshlrev_b64_e32 v[24:25], v24, v[2:3]
	v_and_b32_e32 v24, 7, v24
; %bb.8972:                             ;   in Loop: Header=BB6_7947 Depth=3
	s_or_b32 exec_lo, exec_lo, s74
	v_lshlrev_b32_e32 v2, 16, v20
	s_delay_alu instid0(VALU_DEP_2) | instskip(SKIP_1) | instid1(VALU_DEP_3)
	v_lshlrev_b32_e32 v24, 20, v24
	v_lshl_add_u32 v0, v0, 23, 0x3c000000
	v_and_b32_e32 v2, 0x80000000, v2
	s_delay_alu instid0(VALU_DEP_1)
	v_or3_b32 v27, v24, v2, v0
.LBB6_8973:                             ;   in Loop: Header=BB6_7947 Depth=3
	s_or_b32 exec_lo, exec_lo, s45
.LBB6_8974:                             ;   in Loop: Header=BB6_7947 Depth=3
	s_delay_alu instid0(SALU_CYCLE_1)
	s_or_b32 exec_lo, exec_lo, s44
.LBB6_8975:                             ;   in Loop: Header=BB6_7947 Depth=3
	s_delay_alu instid0(SALU_CYCLE_1) | instskip(SKIP_2) | instid1(VALU_DEP_1)
	s_or_b32 exec_lo, exec_lo, s13
	v_lshrrev_b16 v0, 8, v16
	s_mov_b32 s13, exec_lo
	v_cmpx_ne_u16_e32 0, v0
	s_cbranch_execz .LBB6_8983
; %bb.8976:                             ;   in Loop: Header=BB6_7947 Depth=3
	v_bfrev_b32_e32 v26, 1
	s_mov_b32 s44, exec_lo
	v_cmpx_ne_u16_e32 0x80, v0
	s_cbranch_execz .LBB6_8982
; %bb.8977:                             ;   in Loop: Header=BB6_7947 Depth=3
	v_and_b32_e32 v0, 0xffff, v0
	v_mov_b32_e32 v26, 0x7f800001
	s_mov_b32 s45, exec_lo
	s_delay_alu instid0(VALU_DEP_2) | instskip(NEXT) | instid1(VALU_DEP_1)
	v_and_b32_e32 v24, 0x7f, v0
	v_cmpx_ne_u32_e32 0x7f, v24
	s_cbranch_execz .LBB6_8981
; %bb.8978:                             ;   in Loop: Header=BB6_7947 Depth=3
	v_and_b32_e32 v2, 7, v0
	v_lshrrev_b32_e32 v0, 3, v24
	v_cmp_gt_u32_e32 vcc_lo, 8, v24
	s_delay_alu instid0(VALU_DEP_3)
	v_mov_b64_e32 v[24:25], v[2:3]
	s_and_saveexec_b32 s74, vcc_lo
; %bb.8979:                             ;   in Loop: Header=BB6_7947 Depth=3
	v_clz_i32_u32_e32 v0, v2
	s_delay_alu instid0(VALU_DEP_1) | instskip(NEXT) | instid1(VALU_DEP_1)
	v_min_u32_e32 v0, 32, v0
	v_subrev_nc_u32_e32 v24, 28, v0
	v_sub_nc_u32_e32 v0, 29, v0
	s_delay_alu instid0(VALU_DEP_2) | instskip(NEXT) | instid1(VALU_DEP_1)
	v_lshlrev_b64_e32 v[24:25], v24, v[2:3]
	v_and_b32_e32 v24, 7, v24
; %bb.8980:                             ;   in Loop: Header=BB6_7947 Depth=3
	s_or_b32 exec_lo, exec_lo, s74
	v_lshlrev_b32_e32 v2, 16, v16
	s_delay_alu instid0(VALU_DEP_2) | instskip(SKIP_1) | instid1(VALU_DEP_3)
	v_lshlrev_b32_e32 v24, 20, v24
	v_lshl_add_u32 v0, v0, 23, 0x3c000000
	v_and_b32_e32 v2, 0x80000000, v2
	s_delay_alu instid0(VALU_DEP_1)
	v_or3_b32 v26, v24, v2, v0
.LBB6_8981:                             ;   in Loop: Header=BB6_7947 Depth=3
	s_or_b32 exec_lo, exec_lo, s45
.LBB6_8982:                             ;   in Loop: Header=BB6_7947 Depth=3
	s_delay_alu instid0(SALU_CYCLE_1)
	s_or_b32 exec_lo, exec_lo, s44
.LBB6_8983:                             ;   in Loop: Header=BB6_7947 Depth=3
	s_delay_alu instid0(SALU_CYCLE_1) | instskip(NEXT) | instid1(VALU_DEP_1)
	s_or_b32 exec_lo, exec_lo, s13
	v_add_f32_e32 v0, v27, v26
                                        ; implicit-def: $vgpr35
	s_mov_b32 s13, exec_lo
	s_delay_alu instid0(VALU_DEP_1) | instskip(SKIP_1) | instid1(VALU_DEP_2)
	v_and_b32_e32 v2, 0x7f800000, v0
	v_lshrrev_b32_e32 v24, 24, v0
	v_cmpx_ne_u64_e32 0x7f800000, v[2:3]
	s_xor_b32 s44, exec_lo, s13
	s_cbranch_execz .LBB6_8997
; %bb.8984:                             ;   in Loop: Header=BB6_7947 Depth=3
	v_and_b32_e32 v2, 0x7fffffff, v0
	v_and_b32_e32 v66, 0x80, v24
                                        ; implicit-def: $vgpr35
	s_mov_b32 s13, exec_lo
	s_delay_alu instid0(VALU_DEP_2)
	v_cmpx_gt_u64_e32 0x43e00001, v[2:3]
	s_xor_b32 s45, exec_lo, s13
	s_cbranch_execz .LBB6_8994
; %bb.8985:                             ;   in Loop: Header=BB6_7947 Depth=3
	v_mov_b32_e32 v35, 0
	s_mov_b32 s74, exec_lo
	v_cmpx_ne_u32_e32 0, v0
	s_cbranch_execz .LBB6_8993
; %bb.8986:                             ;   in Loop: Header=BB6_7947 Depth=3
	v_bfe_u32 v35, v0, 23, 8
	v_and_b32_e32 v2, 0x7fffff, v0
	s_delay_alu instid0(VALU_DEP_2) | instskip(SKIP_2) | instid1(VALU_DEP_4)
	v_cmp_gt_u32_e64 s13, 0x7a, v35
	v_sub_nc_u32_e32 v0, 0x79, v35
	v_cmp_eq_u32_e32 vcc_lo, 0, v35
	v_or_b32_e32 v24, 0x800000, v2
	s_delay_alu instid0(VALU_DEP_1) | instskip(NEXT) | instid1(VALU_DEP_1)
	v_dual_cndmask_b32 v0, 0, v0, s13 :: v_dual_cndmask_b32 v2, v24, v2, vcc_lo
	v_cndmask_b32_e64 v0, v0, 0x78, vcc_lo
	s_delay_alu instid0(VALU_DEP_1) | instskip(NEXT) | instid1(VALU_DEP_1)
	v_dual_add_nc_u32 v24, 20, v0 :: v_dual_add_nc_u32 v26, 19, v0
	v_lshlrev_b64_e64 v[24:25], v24, -1
	s_delay_alu instid0(VALU_DEP_2) | instskip(NEXT) | instid1(VALU_DEP_2)
	v_lshlrev_b64_e64 v[26:27], v26, 1
	v_bfi_b32 v25, v25, 0, 0
	s_delay_alu instid0(VALU_DEP_3) | instskip(NEXT) | instid1(VALU_DEP_1)
	v_bfi_b32 v24, v24, 0, v2
	v_cmp_eq_u64_e64 s13, v[24:25], v[26:27]
	v_lshrrev_b64 v[24:25], v0, v[2:3]
	s_delay_alu instid0(VALU_DEP_1)
	v_mov_b64_e32 v[26:27], v[24:25]
	s_and_saveexec_b32 s75, s13
; %bb.8987:                             ;   in Loop: Header=BB6_7947 Depth=3
	v_bfe_u32 v2, v24, 20, 1
	s_delay_alu instid0(VALU_DEP_1) | instskip(NEXT) | instid1(VALU_DEP_1)
	v_add_nc_u64_e32 v[26:27], v[24:25], v[2:3]
	v_add_nc_u64_e32 v[26:27], -1, v[26:27]
; %bb.8988:                             ;   in Loop: Header=BB6_7947 Depth=3
	s_or_b32 exec_lo, exec_lo, s75
	v_add_nc_u32_e32 v2, 0xffffff81, v35
	v_lshrrev_b32_e32 v25, 23, v24
	s_mov_b32 s13, exec_lo
	s_delay_alu instid0(VALU_DEP_2) | instskip(NEXT) | instid1(VALU_DEP_1)
	v_cndmask_b32_e64 v2, v2, 0xffffff82, vcc_lo
	v_add3_u32 v27, v0, v2, v25
	v_and_b32_e32 v0, 0xfffff, v26
	s_delay_alu instid0(VALU_DEP_1) | instskip(NEXT) | instid1(VALU_DEP_1)
	v_dual_add_nc_u32 v26, 6, v27 :: v_dual_add_nc_u32 v2, v0, v24
                                        ; implicit-def: $vgpr24_vgpr25
                                        ; implicit-def: $vgpr0
	v_cmpx_ne_u32_e32 0, v26
	s_xor_b32 s13, exec_lo, s13
; %bb.8989:                             ;   in Loop: Header=BB6_7947 Depth=3
	s_delay_alu instid0(VALU_DEP_2) | instskip(SKIP_2) | instid1(VALU_DEP_2)
	v_cmp_lt_u64_e32 vcc_lo, 0xffffff, v[2:3]
	v_add_nc_u32_e32 v0, 7, v27
	v_cndmask_b32_e64 v24, 0, 1, vcc_lo
	v_cndmask_b32_e32 v0, v26, v0, vcc_lo
	s_delay_alu instid0(VALU_DEP_2)
	v_lshrrev_b64 v[24:25], v24, v[2:3]
; %bb.8990:                             ;   in Loop: Header=BB6_7947 Depth=3
	s_and_not1_saveexec_b32 s13, s13
; %bb.8991:                             ;   in Loop: Header=BB6_7947 Depth=3
	v_mov_b64_e32 v[24:25], v[2:3]
	v_bfe_u32 v0, v2, 23, 1
; %bb.8992:                             ;   in Loop: Header=BB6_7947 Depth=3
	s_or_b32 exec_lo, exec_lo, s13
	s_delay_alu instid0(VALU_DEP_2) | instskip(NEXT) | instid1(VALU_DEP_2)
	v_lshrrev_b64 v[24:25], 20, v[24:25]
	v_cmp_gt_i32_e32 vcc_lo, 16, v0
	v_min_i32_e32 v2, 15, v0
	v_cmp_eq_u32_e64 s13, 0, v0
	s_delay_alu instid0(VALU_DEP_2) | instskip(SKIP_1) | instid1(VALU_DEP_2)
	v_dual_cndmask_b32 v25, 0, v25 :: v_dual_lshlrev_b32 v2, 3, v2
	v_cndmask_b32_e32 v24, 7, v24, vcc_lo
	v_and_b32_e32 v2, 0xf8, v2
	s_delay_alu instid0(VALU_DEP_2) | instskip(NEXT) | instid1(VALU_DEP_2)
	v_cmp_eq_u64_e32 vcc_lo, 0, v[24:25]
	v_and_or_b32 v0, v24, 7, v2
	s_and_b32 s13, s13, vcc_lo
	s_delay_alu instid0(VALU_DEP_1) | instid1(SALU_CYCLE_1)
	v_cndmask_b32_e64 v0, v0, 0, s13
	s_delay_alu instid0(VALU_DEP_1)
	v_or_b32_e32 v35, v0, v66
.LBB6_8993:                             ;   in Loop: Header=BB6_7947 Depth=3
	s_or_b32 exec_lo, exec_lo, s74
                                        ; implicit-def: $vgpr66
.LBB6_8994:                             ;   in Loop: Header=BB6_7947 Depth=3
	s_and_not1_saveexec_b32 s13, s45
; %bb.8995:                             ;   in Loop: Header=BB6_7947 Depth=3
	v_or_b32_e32 v35, 0x7e, v66
; %bb.8996:                             ;   in Loop: Header=BB6_7947 Depth=3
	s_or_b32 exec_lo, exec_lo, s13
                                        ; implicit-def: $vgpr24
.LBB6_8997:                             ;   in Loop: Header=BB6_7947 Depth=3
	s_and_not1_saveexec_b32 s13, s44
; %bb.8998:                             ;   in Loop: Header=BB6_7947 Depth=3
	v_or_b32_e32 v35, 0x7f, v24
; %bb.8999:                             ;   in Loop: Header=BB6_7947 Depth=3
	s_or_b32 exec_lo, exec_lo, s13
	v_dual_lshrrev_b32 v0, 16, v20 :: v_dual_mov_b32 v26, 0
	v_mov_b32_e32 v27, 0
	s_mov_b32 s13, exec_lo
	s_delay_alu instid0(VALU_DEP_2) | instskip(NEXT) | instid1(VALU_DEP_1)
	v_and_b32_e32 v2, 0xff, v0
	v_cmpx_ne_u16_e32 0, v2
	s_cbranch_execz .LBB6_9007
; %bb.9000:                             ;   in Loop: Header=BB6_7947 Depth=3
	v_bfrev_b32_e32 v27, 1
	s_mov_b32 s44, exec_lo
	v_cmpx_ne_u16_e32 0x80, v2
	s_cbranch_execz .LBB6_9006
; %bb.9001:                             ;   in Loop: Header=BB6_7947 Depth=3
	v_bfe_u32 v24, v20, 16, 7
	v_mov_b32_e32 v27, 0x7f800001
	s_mov_b32 s45, exec_lo
	s_delay_alu instid0(VALU_DEP_2)
	v_cmpx_ne_u32_e32 0x7f, v24
	s_cbranch_execz .LBB6_9005
; %bb.9002:                             ;   in Loop: Header=BB6_7947 Depth=3
	v_and_b32_e32 v2, 7, v0
	v_lshrrev_b32_e32 v27, 3, v24
	v_cmp_gt_u32_e32 vcc_lo, 8, v24
	s_delay_alu instid0(VALU_DEP_3)
	v_mov_b64_e32 v[24:25], v[2:3]
	s_and_saveexec_b32 s74, vcc_lo
; %bb.9003:                             ;   in Loop: Header=BB6_7947 Depth=3
	v_clz_i32_u32_e32 v24, v2
	s_delay_alu instid0(VALU_DEP_1) | instskip(NEXT) | instid1(VALU_DEP_1)
	v_min_u32_e32 v27, 32, v24
	v_subrev_nc_u32_e32 v24, 28, v27
	s_delay_alu instid0(VALU_DEP_1) | instskip(NEXT) | instid1(VALU_DEP_1)
	v_lshlrev_b64_e32 v[24:25], v24, v[2:3]
	v_dual_sub_nc_u32 v27, 29, v27 :: v_dual_bitop2_b32 v24, 7, v24 bitop3:0x40
; %bb.9004:                             ;   in Loop: Header=BB6_7947 Depth=3
	s_or_b32 exec_lo, exec_lo, s74
	v_lshlrev_b32_e32 v0, 24, v0
	s_delay_alu instid0(VALU_DEP_2) | instskip(NEXT) | instid1(VALU_DEP_3)
	v_lshlrev_b32_e32 v2, 20, v24
	v_lshl_add_u32 v24, v27, 23, 0x3c000000
	s_delay_alu instid0(VALU_DEP_3) | instskip(NEXT) | instid1(VALU_DEP_1)
	v_and_b32_e32 v0, 0x80000000, v0
	v_or3_b32 v27, v2, v0, v24
.LBB6_9005:                             ;   in Loop: Header=BB6_7947 Depth=3
	s_or_b32 exec_lo, exec_lo, s45
.LBB6_9006:                             ;   in Loop: Header=BB6_7947 Depth=3
	s_delay_alu instid0(SALU_CYCLE_1)
	s_or_b32 exec_lo, exec_lo, s44
.LBB6_9007:                             ;   in Loop: Header=BB6_7947 Depth=3
	s_delay_alu instid0(SALU_CYCLE_1) | instskip(SKIP_2) | instid1(VALU_DEP_1)
	s_or_b32 exec_lo, exec_lo, s13
	v_lshrrev_b32_e32 v0, 16, v16
	s_mov_b32 s13, exec_lo
	v_and_b32_e32 v2, 0xff, v0
	s_delay_alu instid0(VALU_DEP_1)
	v_cmpx_ne_u16_e32 0, v2
	s_cbranch_execz .LBB6_9015
; %bb.9008:                             ;   in Loop: Header=BB6_7947 Depth=3
	v_bfrev_b32_e32 v26, 1
	s_mov_b32 s44, exec_lo
	v_cmpx_ne_u16_e32 0x80, v2
	s_cbranch_execz .LBB6_9014
; %bb.9009:                             ;   in Loop: Header=BB6_7947 Depth=3
	v_bfe_u32 v24, v16, 16, 7
	v_mov_b32_e32 v26, 0x7f800001
	s_mov_b32 s45, exec_lo
	s_delay_alu instid0(VALU_DEP_2)
	v_cmpx_ne_u32_e32 0x7f, v24
	s_cbranch_execz .LBB6_9013
; %bb.9010:                             ;   in Loop: Header=BB6_7947 Depth=3
	v_and_b32_e32 v2, 7, v0
	v_lshrrev_b32_e32 v0, 3, v24
	v_cmp_gt_u32_e32 vcc_lo, 8, v24
	s_delay_alu instid0(VALU_DEP_3)
	v_mov_b64_e32 v[24:25], v[2:3]
	s_and_saveexec_b32 s74, vcc_lo
; %bb.9011:                             ;   in Loop: Header=BB6_7947 Depth=3
	v_clz_i32_u32_e32 v0, v2
	s_delay_alu instid0(VALU_DEP_1) | instskip(NEXT) | instid1(VALU_DEP_1)
	v_min_u32_e32 v0, 32, v0
	v_subrev_nc_u32_e32 v24, 28, v0
	v_sub_nc_u32_e32 v0, 29, v0
	s_delay_alu instid0(VALU_DEP_2) | instskip(NEXT) | instid1(VALU_DEP_1)
	v_lshlrev_b64_e32 v[24:25], v24, v[2:3]
	v_and_b32_e32 v24, 7, v24
; %bb.9012:                             ;   in Loop: Header=BB6_7947 Depth=3
	s_or_b32 exec_lo, exec_lo, s74
	v_lshlrev_b32_e32 v2, 8, v16
	s_delay_alu instid0(VALU_DEP_2) | instskip(SKIP_1) | instid1(VALU_DEP_3)
	v_lshlrev_b32_e32 v24, 20, v24
	v_lshl_add_u32 v0, v0, 23, 0x3c000000
	v_and_b32_e32 v2, 0x80000000, v2
	s_delay_alu instid0(VALU_DEP_1)
	v_or3_b32 v26, v24, v2, v0
.LBB6_9013:                             ;   in Loop: Header=BB6_7947 Depth=3
	s_or_b32 exec_lo, exec_lo, s45
.LBB6_9014:                             ;   in Loop: Header=BB6_7947 Depth=3
	s_delay_alu instid0(SALU_CYCLE_1)
	s_or_b32 exec_lo, exec_lo, s44
.LBB6_9015:                             ;   in Loop: Header=BB6_7947 Depth=3
	s_delay_alu instid0(SALU_CYCLE_1) | instskip(NEXT) | instid1(VALU_DEP_1)
	s_or_b32 exec_lo, exec_lo, s13
	v_add_f32_e32 v0, v27, v26
                                        ; implicit-def: $vgpr90
	s_mov_b32 s13, exec_lo
	s_delay_alu instid0(VALU_DEP_1) | instskip(SKIP_1) | instid1(VALU_DEP_2)
	v_and_b32_e32 v2, 0x7f800000, v0
	v_lshrrev_b32_e32 v24, 24, v0
	v_cmpx_ne_u64_e32 0x7f800000, v[2:3]
	s_xor_b32 s44, exec_lo, s13
	s_cbranch_execz .LBB6_9029
; %bb.9016:                             ;   in Loop: Header=BB6_7947 Depth=3
	v_and_b32_e32 v2, 0x7fffffff, v0
	v_and_b32_e32 v66, 0x80, v24
                                        ; implicit-def: $vgpr90
	s_mov_b32 s13, exec_lo
	s_delay_alu instid0(VALU_DEP_2)
	v_cmpx_gt_u64_e32 0x43e00001, v[2:3]
	s_xor_b32 s45, exec_lo, s13
	s_cbranch_execz .LBB6_9026
; %bb.9017:                             ;   in Loop: Header=BB6_7947 Depth=3
	v_mov_b32_e32 v90, 0
	s_mov_b32 s74, exec_lo
	v_cmpx_ne_u32_e32 0, v0
	s_cbranch_execz .LBB6_9025
; %bb.9018:                             ;   in Loop: Header=BB6_7947 Depth=3
	v_bfe_u32 v67, v0, 23, 8
	v_and_b32_e32 v2, 0x7fffff, v0
	s_delay_alu instid0(VALU_DEP_2) | instskip(SKIP_2) | instid1(VALU_DEP_4)
	v_cmp_gt_u32_e64 s13, 0x7a, v67
	v_sub_nc_u32_e32 v0, 0x79, v67
	v_cmp_eq_u32_e32 vcc_lo, 0, v67
	v_or_b32_e32 v24, 0x800000, v2
	s_delay_alu instid0(VALU_DEP_1) | instskip(NEXT) | instid1(VALU_DEP_1)
	v_dual_cndmask_b32 v0, 0, v0, s13 :: v_dual_cndmask_b32 v2, v24, v2, vcc_lo
	v_cndmask_b32_e64 v0, v0, 0x78, vcc_lo
	s_delay_alu instid0(VALU_DEP_1) | instskip(NEXT) | instid1(VALU_DEP_1)
	v_dual_add_nc_u32 v24, 20, v0 :: v_dual_add_nc_u32 v26, 19, v0
	v_lshlrev_b64_e64 v[24:25], v24, -1
	s_delay_alu instid0(VALU_DEP_2) | instskip(NEXT) | instid1(VALU_DEP_2)
	v_lshlrev_b64_e64 v[26:27], v26, 1
	v_bfi_b32 v25, v25, 0, 0
	s_delay_alu instid0(VALU_DEP_3) | instskip(NEXT) | instid1(VALU_DEP_1)
	v_bfi_b32 v24, v24, 0, v2
	v_cmp_eq_u64_e64 s13, v[24:25], v[26:27]
	v_lshrrev_b64 v[24:25], v0, v[2:3]
	s_delay_alu instid0(VALU_DEP_1)
	v_mov_b64_e32 v[26:27], v[24:25]
	s_and_saveexec_b32 s75, s13
; %bb.9019:                             ;   in Loop: Header=BB6_7947 Depth=3
	v_bfe_u32 v2, v24, 20, 1
	s_delay_alu instid0(VALU_DEP_1) | instskip(NEXT) | instid1(VALU_DEP_1)
	v_add_nc_u64_e32 v[26:27], v[24:25], v[2:3]
	v_add_nc_u64_e32 v[26:27], -1, v[26:27]
; %bb.9020:                             ;   in Loop: Header=BB6_7947 Depth=3
	s_or_b32 exec_lo, exec_lo, s75
	v_add_nc_u32_e32 v2, 0xffffff81, v67
	v_lshrrev_b32_e32 v25, 23, v24
	s_mov_b32 s13, exec_lo
	s_delay_alu instid0(VALU_DEP_2) | instskip(NEXT) | instid1(VALU_DEP_1)
	v_cndmask_b32_e64 v2, v2, 0xffffff82, vcc_lo
	v_add3_u32 v27, v0, v2, v25
	v_and_b32_e32 v0, 0xfffff, v26
	s_delay_alu instid0(VALU_DEP_1) | instskip(NEXT) | instid1(VALU_DEP_1)
	v_dual_add_nc_u32 v26, 6, v27 :: v_dual_add_nc_u32 v2, v0, v24
                                        ; implicit-def: $vgpr24_vgpr25
                                        ; implicit-def: $vgpr0
	v_cmpx_ne_u32_e32 0, v26
	s_xor_b32 s13, exec_lo, s13
; %bb.9021:                             ;   in Loop: Header=BB6_7947 Depth=3
	s_delay_alu instid0(VALU_DEP_2) | instskip(SKIP_2) | instid1(VALU_DEP_2)
	v_cmp_lt_u64_e32 vcc_lo, 0xffffff, v[2:3]
	v_add_nc_u32_e32 v0, 7, v27
	v_cndmask_b32_e64 v24, 0, 1, vcc_lo
	v_cndmask_b32_e32 v0, v26, v0, vcc_lo
	s_delay_alu instid0(VALU_DEP_2)
	v_lshrrev_b64 v[24:25], v24, v[2:3]
; %bb.9022:                             ;   in Loop: Header=BB6_7947 Depth=3
	s_and_not1_saveexec_b32 s13, s13
; %bb.9023:                             ;   in Loop: Header=BB6_7947 Depth=3
	v_mov_b64_e32 v[24:25], v[2:3]
	v_bfe_u32 v0, v2, 23, 1
; %bb.9024:                             ;   in Loop: Header=BB6_7947 Depth=3
	s_or_b32 exec_lo, exec_lo, s13
	s_delay_alu instid0(VALU_DEP_2) | instskip(NEXT) | instid1(VALU_DEP_2)
	v_lshrrev_b64 v[24:25], 20, v[24:25]
	v_cmp_gt_i32_e32 vcc_lo, 16, v0
	v_min_i32_e32 v2, 15, v0
	v_cmp_eq_u32_e64 s13, 0, v0
	s_delay_alu instid0(VALU_DEP_2) | instskip(SKIP_1) | instid1(VALU_DEP_2)
	v_dual_cndmask_b32 v25, 0, v25 :: v_dual_lshlrev_b32 v2, 3, v2
	v_cndmask_b32_e32 v24, 7, v24, vcc_lo
	v_and_b32_e32 v2, 0xf8, v2
	s_delay_alu instid0(VALU_DEP_2) | instskip(NEXT) | instid1(VALU_DEP_2)
	v_cmp_eq_u64_e32 vcc_lo, 0, v[24:25]
	v_and_or_b32 v0, v24, 7, v2
	s_and_b32 s13, s13, vcc_lo
	s_delay_alu instid0(VALU_DEP_1) | instid1(SALU_CYCLE_1)
	v_cndmask_b32_e64 v0, v0, 0, s13
	s_delay_alu instid0(VALU_DEP_1)
	v_or_b32_e32 v90, v0, v66
.LBB6_9025:                             ;   in Loop: Header=BB6_7947 Depth=3
	s_or_b32 exec_lo, exec_lo, s74
                                        ; implicit-def: $vgpr66
.LBB6_9026:                             ;   in Loop: Header=BB6_7947 Depth=3
	s_and_not1_saveexec_b32 s13, s45
; %bb.9027:                             ;   in Loop: Header=BB6_7947 Depth=3
	v_or_b32_e32 v90, 0x7e, v66
; %bb.9028:                             ;   in Loop: Header=BB6_7947 Depth=3
	s_or_b32 exec_lo, exec_lo, s13
                                        ; implicit-def: $vgpr24
.LBB6_9029:                             ;   in Loop: Header=BB6_7947 Depth=3
	s_and_not1_saveexec_b32 s13, s44
; %bb.9030:                             ;   in Loop: Header=BB6_7947 Depth=3
	v_or_b32_e32 v90, 0x7f, v24
; %bb.9031:                             ;   in Loop: Header=BB6_7947 Depth=3
	s_or_b32 exec_lo, exec_lo, s13
	v_dual_mov_b32 v26, 0 :: v_dual_mov_b32 v27, 0
	s_mov_b32 s13, exec_lo
	v_cmpx_lt_u32_e32 0xffffff, v20
	s_cbranch_execz .LBB6_9039
; %bb.9032:                             ;   in Loop: Header=BB6_7947 Depth=3
	v_lshrrev_b32_e32 v0, 24, v20
	v_bfrev_b32_e32 v27, 1
	s_mov_b32 s44, exec_lo
	s_delay_alu instid0(VALU_DEP_2)
	v_cmpx_ne_u32_e32 0x80, v0
	s_cbranch_execz .LBB6_9038
; %bb.9033:                             ;   in Loop: Header=BB6_7947 Depth=3
	v_bfe_u32 v24, v20, 24, 7
	v_mov_b32_e32 v27, 0x7f800001
	s_mov_b32 s45, exec_lo
	s_delay_alu instid0(VALU_DEP_2)
	v_cmpx_ne_u32_e32 0x7f, v24
	s_cbranch_execz .LBB6_9037
; %bb.9034:                             ;   in Loop: Header=BB6_7947 Depth=3
	v_and_b32_e32 v2, 7, v0
	v_lshrrev_b32_e32 v27, 3, v24
	v_cmp_gt_u32_e32 vcc_lo, 8, v24
	s_delay_alu instid0(VALU_DEP_3)
	v_mov_b64_e32 v[24:25], v[2:3]
	s_and_saveexec_b32 s74, vcc_lo
; %bb.9035:                             ;   in Loop: Header=BB6_7947 Depth=3
	v_clz_i32_u32_e32 v24, v2
	s_delay_alu instid0(VALU_DEP_1) | instskip(NEXT) | instid1(VALU_DEP_1)
	v_min_u32_e32 v27, 32, v24
	v_subrev_nc_u32_e32 v24, 28, v27
	s_delay_alu instid0(VALU_DEP_1) | instskip(NEXT) | instid1(VALU_DEP_1)
	v_lshlrev_b64_e32 v[24:25], v24, v[2:3]
	v_dual_sub_nc_u32 v27, 29, v27 :: v_dual_bitop2_b32 v24, 7, v24 bitop3:0x40
; %bb.9036:                             ;   in Loop: Header=BB6_7947 Depth=3
	s_or_b32 exec_lo, exec_lo, s74
	v_lshlrev_b32_e32 v0, 24, v0
	s_delay_alu instid0(VALU_DEP_2) | instskip(NEXT) | instid1(VALU_DEP_3)
	v_lshlrev_b32_e32 v2, 20, v24
	v_lshl_add_u32 v24, v27, 23, 0x3c000000
	s_delay_alu instid0(VALU_DEP_3) | instskip(NEXT) | instid1(VALU_DEP_1)
	v_and_b32_e32 v0, 0x80000000, v0
	v_or3_b32 v27, v2, v0, v24
.LBB6_9037:                             ;   in Loop: Header=BB6_7947 Depth=3
	s_or_b32 exec_lo, exec_lo, s45
.LBB6_9038:                             ;   in Loop: Header=BB6_7947 Depth=3
	s_delay_alu instid0(SALU_CYCLE_1)
	s_or_b32 exec_lo, exec_lo, s44
.LBB6_9039:                             ;   in Loop: Header=BB6_7947 Depth=3
	s_delay_alu instid0(SALU_CYCLE_1) | instskip(NEXT) | instid1(SALU_CYCLE_1)
	s_or_b32 exec_lo, exec_lo, s13
	s_mov_b32 s13, exec_lo
	v_cmpx_lt_u32_e32 0xffffff, v16
	s_cbranch_execz .LBB6_9047
; %bb.9040:                             ;   in Loop: Header=BB6_7947 Depth=3
	v_lshrrev_b32_e32 v0, 24, v16
	v_bfrev_b32_e32 v26, 1
	s_mov_b32 s44, exec_lo
	s_delay_alu instid0(VALU_DEP_2)
	v_cmpx_ne_u32_e32 0x80, v0
	s_cbranch_execz .LBB6_9046
; %bb.9041:                             ;   in Loop: Header=BB6_7947 Depth=3
	v_bfe_u32 v24, v16, 24, 7
	v_mov_b32_e32 v26, 0x7f800001
	s_mov_b32 s45, exec_lo
	s_delay_alu instid0(VALU_DEP_2)
	v_cmpx_ne_u32_e32 0x7f, v24
	s_cbranch_execz .LBB6_9045
; %bb.9042:                             ;   in Loop: Header=BB6_7947 Depth=3
	v_and_b32_e32 v2, 7, v0
	v_lshrrev_b32_e32 v26, 3, v24
	v_cmp_gt_u32_e32 vcc_lo, 8, v24
	s_delay_alu instid0(VALU_DEP_3)
	v_mov_b64_e32 v[24:25], v[2:3]
	s_and_saveexec_b32 s74, vcc_lo
; %bb.9043:                             ;   in Loop: Header=BB6_7947 Depth=3
	v_clz_i32_u32_e32 v24, v2
	s_delay_alu instid0(VALU_DEP_1) | instskip(NEXT) | instid1(VALU_DEP_1)
	v_min_u32_e32 v26, 32, v24
	v_subrev_nc_u32_e32 v24, 28, v26
	s_delay_alu instid0(VALU_DEP_1) | instskip(NEXT) | instid1(VALU_DEP_1)
	v_lshlrev_b64_e32 v[24:25], v24, v[2:3]
	v_dual_sub_nc_u32 v26, 29, v26 :: v_dual_bitop2_b32 v24, 7, v24 bitop3:0x40
; %bb.9044:                             ;   in Loop: Header=BB6_7947 Depth=3
	s_or_b32 exec_lo, exec_lo, s74
	v_lshlrev_b32_e32 v0, 24, v0
	s_delay_alu instid0(VALU_DEP_2) | instskip(NEXT) | instid1(VALU_DEP_3)
	v_lshlrev_b32_e32 v2, 20, v24
	v_lshl_add_u32 v24, v26, 23, 0x3c000000
	s_delay_alu instid0(VALU_DEP_3) | instskip(NEXT) | instid1(VALU_DEP_1)
	v_and_b32_e32 v0, 0x80000000, v0
	v_or3_b32 v26, v2, v0, v24
.LBB6_9045:                             ;   in Loop: Header=BB6_7947 Depth=3
	s_or_b32 exec_lo, exec_lo, s45
.LBB6_9046:                             ;   in Loop: Header=BB6_7947 Depth=3
	s_delay_alu instid0(SALU_CYCLE_1)
	s_or_b32 exec_lo, exec_lo, s44
.LBB6_9047:                             ;   in Loop: Header=BB6_7947 Depth=3
	s_delay_alu instid0(SALU_CYCLE_1) | instskip(NEXT) | instid1(VALU_DEP_1)
	s_or_b32 exec_lo, exec_lo, s13
	v_add_f32_e32 v0, v27, v26
                                        ; implicit-def: $vgpr96
	s_mov_b32 s13, exec_lo
	s_delay_alu instid0(VALU_DEP_1) | instskip(SKIP_1) | instid1(VALU_DEP_2)
	v_and_b32_e32 v2, 0x7f800000, v0
	v_lshrrev_b32_e32 v24, 24, v0
	v_cmpx_ne_u64_e32 0x7f800000, v[2:3]
	s_xor_b32 s44, exec_lo, s13
	s_cbranch_execz .LBB6_9061
; %bb.9048:                             ;   in Loop: Header=BB6_7947 Depth=3
	v_and_b32_e32 v2, 0x7fffffff, v0
	v_and_b32_e32 v66, 0x80, v24
                                        ; implicit-def: $vgpr96
	s_mov_b32 s13, exec_lo
	s_delay_alu instid0(VALU_DEP_2)
	v_cmpx_gt_u64_e32 0x43e00001, v[2:3]
	s_xor_b32 s45, exec_lo, s13
	s_cbranch_execz .LBB6_9058
; %bb.9049:                             ;   in Loop: Header=BB6_7947 Depth=3
	v_mov_b32_e32 v96, 0
	s_mov_b32 s74, exec_lo
	v_cmpx_ne_u32_e32 0, v0
	s_cbranch_execz .LBB6_9057
; %bb.9050:                             ;   in Loop: Header=BB6_7947 Depth=3
	v_bfe_u32 v67, v0, 23, 8
	v_and_b32_e32 v2, 0x7fffff, v0
	s_delay_alu instid0(VALU_DEP_2) | instskip(SKIP_2) | instid1(VALU_DEP_4)
	v_cmp_gt_u32_e64 s13, 0x7a, v67
	v_sub_nc_u32_e32 v0, 0x79, v67
	v_cmp_eq_u32_e32 vcc_lo, 0, v67
	v_or_b32_e32 v24, 0x800000, v2
	s_delay_alu instid0(VALU_DEP_1) | instskip(NEXT) | instid1(VALU_DEP_1)
	v_dual_cndmask_b32 v0, 0, v0, s13 :: v_dual_cndmask_b32 v2, v24, v2, vcc_lo
	v_cndmask_b32_e64 v0, v0, 0x78, vcc_lo
	s_delay_alu instid0(VALU_DEP_1) | instskip(NEXT) | instid1(VALU_DEP_1)
	v_dual_add_nc_u32 v24, 20, v0 :: v_dual_add_nc_u32 v26, 19, v0
	v_lshlrev_b64_e64 v[24:25], v24, -1
	s_delay_alu instid0(VALU_DEP_2) | instskip(NEXT) | instid1(VALU_DEP_2)
	v_lshlrev_b64_e64 v[26:27], v26, 1
	v_bfi_b32 v25, v25, 0, 0
	s_delay_alu instid0(VALU_DEP_3) | instskip(NEXT) | instid1(VALU_DEP_1)
	v_bfi_b32 v24, v24, 0, v2
	v_cmp_eq_u64_e64 s13, v[24:25], v[26:27]
	v_lshrrev_b64 v[24:25], v0, v[2:3]
	s_delay_alu instid0(VALU_DEP_1)
	v_mov_b64_e32 v[26:27], v[24:25]
	s_and_saveexec_b32 s75, s13
; %bb.9051:                             ;   in Loop: Header=BB6_7947 Depth=3
	v_bfe_u32 v2, v24, 20, 1
	s_delay_alu instid0(VALU_DEP_1) | instskip(NEXT) | instid1(VALU_DEP_1)
	v_add_nc_u64_e32 v[26:27], v[24:25], v[2:3]
	v_add_nc_u64_e32 v[26:27], -1, v[26:27]
; %bb.9052:                             ;   in Loop: Header=BB6_7947 Depth=3
	s_or_b32 exec_lo, exec_lo, s75
	v_add_nc_u32_e32 v2, 0xffffff81, v67
	v_lshrrev_b32_e32 v25, 23, v24
	s_mov_b32 s13, exec_lo
	s_delay_alu instid0(VALU_DEP_2) | instskip(NEXT) | instid1(VALU_DEP_1)
	v_cndmask_b32_e64 v2, v2, 0xffffff82, vcc_lo
	v_add3_u32 v27, v0, v2, v25
	v_and_b32_e32 v0, 0xfffff, v26
	s_delay_alu instid0(VALU_DEP_1) | instskip(NEXT) | instid1(VALU_DEP_1)
	v_dual_add_nc_u32 v26, 6, v27 :: v_dual_add_nc_u32 v2, v0, v24
                                        ; implicit-def: $vgpr24_vgpr25
                                        ; implicit-def: $vgpr0
	v_cmpx_ne_u32_e32 0, v26
	s_xor_b32 s13, exec_lo, s13
; %bb.9053:                             ;   in Loop: Header=BB6_7947 Depth=3
	s_delay_alu instid0(VALU_DEP_2) | instskip(SKIP_2) | instid1(VALU_DEP_2)
	v_cmp_lt_u64_e32 vcc_lo, 0xffffff, v[2:3]
	v_add_nc_u32_e32 v0, 7, v27
	v_cndmask_b32_e64 v24, 0, 1, vcc_lo
	v_cndmask_b32_e32 v0, v26, v0, vcc_lo
	s_delay_alu instid0(VALU_DEP_2)
	v_lshrrev_b64 v[24:25], v24, v[2:3]
; %bb.9054:                             ;   in Loop: Header=BB6_7947 Depth=3
	s_and_not1_saveexec_b32 s13, s13
; %bb.9055:                             ;   in Loop: Header=BB6_7947 Depth=3
	v_mov_b64_e32 v[24:25], v[2:3]
	v_bfe_u32 v0, v2, 23, 1
; %bb.9056:                             ;   in Loop: Header=BB6_7947 Depth=3
	s_or_b32 exec_lo, exec_lo, s13
	s_delay_alu instid0(VALU_DEP_2) | instskip(NEXT) | instid1(VALU_DEP_2)
	v_lshrrev_b64 v[24:25], 20, v[24:25]
	v_cmp_gt_i32_e32 vcc_lo, 16, v0
	v_min_i32_e32 v2, 15, v0
	v_cmp_eq_u32_e64 s13, 0, v0
	s_delay_alu instid0(VALU_DEP_2) | instskip(SKIP_1) | instid1(VALU_DEP_2)
	v_dual_cndmask_b32 v25, 0, v25 :: v_dual_lshlrev_b32 v2, 3, v2
	v_cndmask_b32_e32 v24, 7, v24, vcc_lo
	v_and_b32_e32 v2, 0xf8, v2
	s_delay_alu instid0(VALU_DEP_2) | instskip(NEXT) | instid1(VALU_DEP_2)
	v_cmp_eq_u64_e32 vcc_lo, 0, v[24:25]
	v_and_or_b32 v0, v24, 7, v2
	s_and_b32 s13, s13, vcc_lo
	s_delay_alu instid0(VALU_DEP_1) | instid1(SALU_CYCLE_1)
	v_cndmask_b32_e64 v0, v0, 0, s13
	s_delay_alu instid0(VALU_DEP_1)
	v_or_b32_e32 v96, v0, v66
.LBB6_9057:                             ;   in Loop: Header=BB6_7947 Depth=3
	s_or_b32 exec_lo, exec_lo, s74
                                        ; implicit-def: $vgpr66
.LBB6_9058:                             ;   in Loop: Header=BB6_7947 Depth=3
	s_and_not1_saveexec_b32 s13, s45
; %bb.9059:                             ;   in Loop: Header=BB6_7947 Depth=3
	v_or_b32_e32 v96, 0x7e, v66
; %bb.9060:                             ;   in Loop: Header=BB6_7947 Depth=3
	s_or_b32 exec_lo, exec_lo, s13
                                        ; implicit-def: $vgpr24
.LBB6_9061:                             ;   in Loop: Header=BB6_7947 Depth=3
	s_and_not1_saveexec_b32 s13, s44
; %bb.9062:                             ;   in Loop: Header=BB6_7947 Depth=3
	v_or_b32_e32 v96, 0x7f, v24
; %bb.9063:                             ;   in Loop: Header=BB6_7947 Depth=3
	s_or_b32 exec_lo, exec_lo, s13
	v_and_b32_e32 v0, 0xff, v21
	v_dual_mov_b32 v2, v21 :: v_dual_mov_b32 v24, 0
	v_mov_b32_e32 v25, 0
	s_mov_b32 s13, exec_lo
	s_delay_alu instid0(VALU_DEP_3)
	v_cmpx_ne_u16_e32 0, v0
	s_cbranch_execz .LBB6_9069
; %bb.9064:                             ;   in Loop: Header=BB6_7947 Depth=3
	v_bfrev_b32_e32 v25, 1
	s_mov_b32 s44, exec_lo
	v_cmpx_ne_u16_e32 0x80, v0
	s_cbranch_execz .LBB6_9068
; %bb.9065:                             ;   in Loop: Header=BB6_7947 Depth=3
	v_and_b32_e32 v0, 0x7f, v21
	v_mov_b32_e32 v25, 0x7f800001
	s_mov_b32 s45, exec_lo
	s_delay_alu instid0(VALU_DEP_2)
	v_cmpx_ne_u32_e32 0x7f, v0
	s_cbranch_execz .LBB6_9067
; %bb.9066:                             ;   in Loop: Header=BB6_7947 Depth=3
	v_dual_lshrrev_b32 v26, 3, v0 :: v_dual_bitop2_b32 v25, 7, v21 bitop3:0x40
	v_cmp_gt_u32_e32 vcc_lo, 8, v0
	s_delay_alu instid0(VALU_DEP_2) | instskip(NEXT) | instid1(VALU_DEP_1)
	v_clz_i32_u32_e32 v0, v25
	v_min_u32_e32 v0, 32, v0
	s_delay_alu instid0(VALU_DEP_1) | instskip(NEXT) | instid1(VALU_DEP_1)
	v_subrev_nc_u32_e32 v25, 28, v0
	v_dual_cndmask_b32 v25, 0, v25 :: v_dual_sub_nc_u32 v0, 29, v0
	s_delay_alu instid0(VALU_DEP_1) | instskip(NEXT) | instid1(VALU_DEP_2)
	v_cndmask_b32_e32 v0, v26, v0, vcc_lo
	v_lshlrev_b64_e32 v[26:27], v25, v[2:3]
	s_delay_alu instid0(VALU_DEP_1) | instskip(SKIP_1) | instid1(VALU_DEP_4)
	v_lshlrev_b32_e32 v25, 20, v26
	v_lshlrev_b32_e32 v26, 24, v2
	v_lshl_add_u32 v0, v0, 23, 0x3c000000
	s_delay_alu instid0(VALU_DEP_3) | instskip(NEXT) | instid1(VALU_DEP_3)
	v_and_b32_e32 v25, 0x700000, v25
	v_and_b32_e32 v26, 0x80000000, v26
	s_delay_alu instid0(VALU_DEP_1)
	v_or3_b32 v25, v25, v26, v0
.LBB6_9067:                             ;   in Loop: Header=BB6_7947 Depth=3
	s_or_b32 exec_lo, exec_lo, s45
.LBB6_9068:                             ;   in Loop: Header=BB6_7947 Depth=3
	s_delay_alu instid0(SALU_CYCLE_1)
	s_or_b32 exec_lo, exec_lo, s44
.LBB6_9069:                             ;   in Loop: Header=BB6_7947 Depth=3
	s_delay_alu instid0(SALU_CYCLE_1) | instskip(SKIP_2) | instid1(VALU_DEP_1)
	s_or_b32 exec_lo, exec_lo, s13
	v_and_b32_e32 v0, 0xff, v17
	s_mov_b32 s13, exec_lo
	v_cmpx_ne_u16_e32 0, v0
	s_cbranch_execz .LBB6_9075
; %bb.9070:                             ;   in Loop: Header=BB6_7947 Depth=3
	v_bfrev_b32_e32 v24, 1
	s_mov_b32 s44, exec_lo
	v_cmpx_ne_u16_e32 0x80, v0
	s_cbranch_execz .LBB6_9074
; %bb.9071:                             ;   in Loop: Header=BB6_7947 Depth=3
	v_and_b32_e32 v0, 0x7f, v17
	v_mov_b32_e32 v24, 0x7f800001
	s_mov_b32 s45, exec_lo
	s_delay_alu instid0(VALU_DEP_2)
	v_cmpx_ne_u32_e32 0x7f, v0
	s_cbranch_execz .LBB6_9073
; %bb.9072:                             ;   in Loop: Header=BB6_7947 Depth=3
	v_dual_lshrrev_b32 v52, 3, v0 :: v_dual_bitop2_b32 v24, 7, v17 bitop3:0x40
	v_cmp_gt_u32_e32 vcc_lo, 8, v0
	v_mov_b32_e32 v26, v17
	s_delay_alu instid0(VALU_DEP_3) | instskip(NEXT) | instid1(VALU_DEP_1)
	v_clz_i32_u32_e32 v24, v24
	v_min_u32_e32 v24, 32, v24
	s_delay_alu instid0(VALU_DEP_1) | instskip(SKIP_1) | instid1(VALU_DEP_1)
	v_subrev_nc_u32_e32 v0, 28, v24
	v_dual_mov_b32 v27, v3 :: v_dual_sub_nc_u32 v66, 29, v24
	v_dual_cndmask_b32 v0, 0, v0, vcc_lo :: v_dual_cndmask_b32 v24, v52, v66, vcc_lo
	s_delay_alu instid0(VALU_DEP_1) | instskip(SKIP_1) | instid1(VALU_DEP_3)
	v_lshlrev_b64_e32 v[66:67], v0, v[26:27]
	v_lshlrev_b32_e32 v0, 24, v26
	v_lshl_add_u32 v24, v24, 23, 0x3c000000
	s_delay_alu instid0(VALU_DEP_2) | instskip(NEXT) | instid1(VALU_DEP_4)
	v_and_b32_e32 v0, 0x80000000, v0
	v_lshlrev_b32_e32 v26, 20, v66
	s_delay_alu instid0(VALU_DEP_1) | instskip(NEXT) | instid1(VALU_DEP_1)
	v_and_b32_e32 v26, 0x700000, v26
	v_or3_b32 v24, v26, v0, v24
.LBB6_9073:                             ;   in Loop: Header=BB6_7947 Depth=3
	s_or_b32 exec_lo, exec_lo, s45
.LBB6_9074:                             ;   in Loop: Header=BB6_7947 Depth=3
	s_delay_alu instid0(SALU_CYCLE_1)
	s_or_b32 exec_lo, exec_lo, s44
.LBB6_9075:                             ;   in Loop: Header=BB6_7947 Depth=3
	s_delay_alu instid0(SALU_CYCLE_1) | instskip(NEXT) | instid1(VALU_DEP_1)
	s_or_b32 exec_lo, exec_lo, s13
	v_dual_add_f32 v0, v25, v24 :: v_dual_mov_b32 v25, v3
                                        ; implicit-def: $vgpr97
	s_delay_alu instid0(VALU_DEP_1) | instskip(NEXT) | instid1(VALU_DEP_1)
	v_and_b32_e32 v24, 0x7f800000, v0
	v_cmp_ne_u64_e32 vcc_lo, 0x7f800000, v[24:25]
	v_lshrrev_b32_e32 v24, 24, v0
	s_and_saveexec_b32 s13, vcc_lo
	s_delay_alu instid0(SALU_CYCLE_1)
	s_xor_b32 s44, exec_lo, s13
	s_cbranch_execz .LBB6_9089
; %bb.9076:                             ;   in Loop: Header=BB6_7947 Depth=3
	v_and_b32_e32 v26, 0x7fffffff, v0
	v_mov_b32_e32 v27, v3
	v_and_b32_e32 v66, 0x80, v24
                                        ; implicit-def: $vgpr97
	s_mov_b32 s13, exec_lo
	s_delay_alu instid0(VALU_DEP_2)
	v_cmpx_gt_u64_e32 0x43e00001, v[26:27]
	s_xor_b32 s45, exec_lo, s13
	s_cbranch_execz .LBB6_9086
; %bb.9077:                             ;   in Loop: Header=BB6_7947 Depth=3
	v_mov_b32_e32 v97, 0
	s_mov_b32 s74, exec_lo
	v_cmpx_ne_u32_e32 0, v0
	s_cbranch_execz .LBB6_9085
; %bb.9078:                             ;   in Loop: Header=BB6_7947 Depth=3
	v_and_b32_e32 v24, 0x7fffff, v0
	v_bfe_u32 v67, v0, 23, 8
	s_delay_alu instid0(VALU_DEP_2) | instskip(NEXT) | instid1(VALU_DEP_2)
	v_or_b32_e32 v25, 0x800000, v24
	v_cmp_eq_u32_e32 vcc_lo, 0, v67
	v_cmp_gt_u32_e64 s13, 0x7a, v67
	v_sub_nc_u32_e32 v0, 0x79, v67
	s_delay_alu instid0(VALU_DEP_4) | instskip(NEXT) | instid1(VALU_DEP_2)
	v_dual_cndmask_b32 v24, v25, v24 :: v_dual_mov_b32 v25, v3
	v_cndmask_b32_e64 v0, 0, v0, s13
	s_delay_alu instid0(VALU_DEP_1) | instskip(NEXT) | instid1(VALU_DEP_1)
	v_cndmask_b32_e64 v0, v0, 0x78, vcc_lo
	v_dual_add_nc_u32 v26, 20, v0 :: v_dual_add_nc_u32 v52, 19, v0
	s_delay_alu instid0(VALU_DEP_1) | instskip(NEXT) | instid1(VALU_DEP_2)
	v_lshlrev_b64_e64 v[26:27], v26, -1
	v_lshlrev_b64_e64 v[42:43], v52, 1
	s_delay_alu instid0(VALU_DEP_2) | instskip(SKIP_1) | instid1(VALU_DEP_4)
	v_bfi_b32 v26, v26, 0, v24
	v_lshrrev_b64 v[24:25], v0, v[24:25]
	v_bfi_b32 v27, v27, 0, 0
	s_delay_alu instid0(VALU_DEP_1) | instskip(NEXT) | instid1(VALU_DEP_3)
	v_cmp_eq_u64_e64 s13, v[26:27], v[42:43]
	v_mov_b64_e32 v[26:27], v[24:25]
	s_and_saveexec_b32 s75, s13
; %bb.9079:                             ;   in Loop: Header=BB6_7947 Depth=3
	v_bfe_u32 v26, v24, 20, 1
	v_mov_b32_e32 v27, v3
	s_delay_alu instid0(VALU_DEP_1) | instskip(NEXT) | instid1(VALU_DEP_1)
	v_add_nc_u64_e32 v[26:27], v[24:25], v[26:27]
	v_add_nc_u64_e32 v[26:27], -1, v[26:27]
; %bb.9080:                             ;   in Loop: Header=BB6_7947 Depth=3
	s_or_b32 exec_lo, exec_lo, s75
	v_add_nc_u32_e32 v25, 0xffffff81, v67
	v_lshrrev_b32_e32 v27, 23, v24
	s_mov_b32 s13, exec_lo
	s_delay_alu instid0(VALU_DEP_2) | instskip(NEXT) | instid1(VALU_DEP_1)
	v_cndmask_b32_e64 v25, v25, 0xffffff82, vcc_lo
	v_add3_u32 v27, v0, v25, v27
	v_and_b32_e32 v0, 0xfffff, v26
	s_delay_alu instid0(VALU_DEP_2) | instskip(NEXT) | instid1(VALU_DEP_2)
	v_dual_mov_b32 v25, v3 :: v_dual_add_nc_u32 v26, 6, v27
	v_add_nc_u32_e32 v24, v0, v24
                                        ; implicit-def: $vgpr0
	s_delay_alu instid0(VALU_DEP_2)
	v_cmpx_ne_u32_e32 0, v26
	s_xor_b32 s13, exec_lo, s13
; %bb.9081:                             ;   in Loop: Header=BB6_7947 Depth=3
	s_delay_alu instid0(VALU_DEP_2) | instskip(SKIP_1) | instid1(VALU_DEP_1)
	v_cmp_lt_u64_e32 vcc_lo, 0xffffff, v[24:25]
	v_add_nc_u32_e32 v0, 7, v27
	v_cndmask_b32_e32 v0, v26, v0, vcc_lo
	v_cndmask_b32_e64 v26, 0, 1, vcc_lo
	s_delay_alu instid0(VALU_DEP_1)
	v_lshrrev_b64 v[24:25], v26, v[24:25]
; %bb.9082:                             ;   in Loop: Header=BB6_7947 Depth=3
	s_and_not1_saveexec_b32 s13, s13
; %bb.9083:                             ;   in Loop: Header=BB6_7947 Depth=3
	s_delay_alu instid0(VALU_DEP_1)
	v_bfe_u32 v0, v24, 23, 1
; %bb.9084:                             ;   in Loop: Header=BB6_7947 Depth=3
	s_or_b32 exec_lo, exec_lo, s13
	s_delay_alu instid0(VALU_DEP_2) | instskip(NEXT) | instid1(VALU_DEP_2)
	v_lshrrev_b64 v[24:25], 20, v[24:25]
	v_cmp_gt_i32_e32 vcc_lo, 16, v0
	v_min_i32_e32 v26, 15, v0
	v_cmp_eq_u32_e64 s13, 0, v0
	s_delay_alu instid0(VALU_DEP_2) | instskip(SKIP_1) | instid1(VALU_DEP_2)
	v_dual_cndmask_b32 v25, 0, v25 :: v_dual_lshlrev_b32 v26, 3, v26
	v_cndmask_b32_e32 v24, 7, v24, vcc_lo
	v_and_b32_e32 v26, 0xf8, v26
	s_delay_alu instid0(VALU_DEP_2) | instskip(NEXT) | instid1(VALU_DEP_2)
	v_cmp_eq_u64_e32 vcc_lo, 0, v[24:25]
	v_and_or_b32 v0, v24, 7, v26
	s_and_b32 s13, s13, vcc_lo
	s_delay_alu instid0(VALU_DEP_1) | instid1(SALU_CYCLE_1)
	v_cndmask_b32_e64 v0, v0, 0, s13
	s_delay_alu instid0(VALU_DEP_1)
	v_or_b32_e32 v97, v0, v66
.LBB6_9085:                             ;   in Loop: Header=BB6_7947 Depth=3
	s_or_b32 exec_lo, exec_lo, s74
                                        ; implicit-def: $vgpr66
.LBB6_9086:                             ;   in Loop: Header=BB6_7947 Depth=3
	s_and_not1_saveexec_b32 s13, s45
; %bb.9087:                             ;   in Loop: Header=BB6_7947 Depth=3
	v_or_b32_e32 v97, 0x7e, v66
; %bb.9088:                             ;   in Loop: Header=BB6_7947 Depth=3
	s_or_b32 exec_lo, exec_lo, s13
                                        ; implicit-def: $vgpr24
.LBB6_9089:                             ;   in Loop: Header=BB6_7947 Depth=3
	s_and_not1_saveexec_b32 s13, s44
; %bb.9090:                             ;   in Loop: Header=BB6_7947 Depth=3
	v_or_b32_e32 v97, 0x7f, v24
; %bb.9091:                             ;   in Loop: Header=BB6_7947 Depth=3
	s_or_b32 exec_lo, exec_lo, s13
	v_lshrrev_b16 v0, 8, v2
	v_dual_mov_b32 v26, 0 :: v_dual_mov_b32 v27, 0
	s_mov_b32 s13, exec_lo
	s_delay_alu instid0(VALU_DEP_2)
	v_cmpx_ne_u16_e32 0, v0
	s_cbranch_execz .LBB6_9099
; %bb.9092:                             ;   in Loop: Header=BB6_7947 Depth=3
	v_bfrev_b32_e32 v27, 1
	s_mov_b32 s44, exec_lo
	v_cmpx_ne_u16_e32 0x80, v0
	s_cbranch_execz .LBB6_9098
; %bb.9093:                             ;   in Loop: Header=BB6_7947 Depth=3
	v_and_b32_e32 v0, 0xffff, v0
	v_mov_b32_e32 v27, 0x7f800001
	s_mov_b32 s45, exec_lo
	s_delay_alu instid0(VALU_DEP_2) | instskip(NEXT) | instid1(VALU_DEP_1)
	v_and_b32_e32 v52, 0x7f, v0
	v_cmpx_ne_u32_e32 0x7f, v52
	s_cbranch_execz .LBB6_9097
; %bb.9094:                             ;   in Loop: Header=BB6_7947 Depth=3
	v_dual_mov_b32 v25, v3 :: v_dual_bitop2_b32 v24, 7, v0 bitop3:0x40
	v_lshrrev_b32_e32 v0, 3, v52
	s_mov_b32 s74, exec_lo
	v_cmpx_gt_u32_e32 8, v52
; %bb.9095:                             ;   in Loop: Header=BB6_7947 Depth=3
	s_delay_alu instid0(VALU_DEP_3) | instskip(NEXT) | instid1(VALU_DEP_1)
	v_clz_i32_u32_e32 v0, v24
	v_min_u32_e32 v0, 32, v0
	s_delay_alu instid0(VALU_DEP_1) | instskip(SKIP_1) | instid1(VALU_DEP_2)
	v_subrev_nc_u32_e32 v27, 28, v0
	v_sub_nc_u32_e32 v0, 29, v0
	v_lshlrev_b64_e32 v[24:25], v27, v[24:25]
	s_delay_alu instid0(VALU_DEP_1)
	v_and_b32_e32 v24, 7, v24
; %bb.9096:                             ;   in Loop: Header=BB6_7947 Depth=3
	s_or_b32 exec_lo, exec_lo, s74
	s_delay_alu instid0(VALU_DEP_1) | instskip(SKIP_1) | instid1(VALU_DEP_2)
	v_dual_lshlrev_b32 v2, 16, v2 :: v_dual_lshlrev_b32 v24, 20, v24
	v_lshl_add_u32 v0, v0, 23, 0x3c000000
	v_and_b32_e32 v2, 0x80000000, v2
	s_delay_alu instid0(VALU_DEP_1)
	v_or3_b32 v27, v24, v2, v0
.LBB6_9097:                             ;   in Loop: Header=BB6_7947 Depth=3
	s_or_b32 exec_lo, exec_lo, s45
.LBB6_9098:                             ;   in Loop: Header=BB6_7947 Depth=3
	s_delay_alu instid0(SALU_CYCLE_1)
	s_or_b32 exec_lo, exec_lo, s44
.LBB6_9099:                             ;   in Loop: Header=BB6_7947 Depth=3
	s_delay_alu instid0(SALU_CYCLE_1) | instskip(SKIP_2) | instid1(VALU_DEP_1)
	s_or_b32 exec_lo, exec_lo, s13
	v_lshrrev_b16 v0, 8, v17
	s_mov_b32 s13, exec_lo
	v_cmpx_ne_u16_e32 0, v0
	s_cbranch_execz .LBB6_9107
; %bb.9100:                             ;   in Loop: Header=BB6_7947 Depth=3
	v_bfrev_b32_e32 v26, 1
	s_mov_b32 s44, exec_lo
	v_cmpx_ne_u16_e32 0x80, v0
	s_cbranch_execz .LBB6_9106
; %bb.9101:                             ;   in Loop: Header=BB6_7947 Depth=3
	v_and_b32_e32 v0, 0xffff, v0
	v_mov_b32_e32 v26, 0x7f800001
	s_mov_b32 s45, exec_lo
	s_delay_alu instid0(VALU_DEP_2) | instskip(NEXT) | instid1(VALU_DEP_1)
	v_and_b32_e32 v24, 0x7f, v0
	v_cmpx_ne_u32_e32 0x7f, v24
	s_cbranch_execz .LBB6_9105
; %bb.9102:                             ;   in Loop: Header=BB6_7947 Depth=3
	v_and_b32_e32 v2, 7, v0
	v_lshrrev_b32_e32 v0, 3, v24
	v_cmp_gt_u32_e32 vcc_lo, 8, v24
	s_delay_alu instid0(VALU_DEP_3)
	v_mov_b64_e32 v[24:25], v[2:3]
	s_and_saveexec_b32 s74, vcc_lo
; %bb.9103:                             ;   in Loop: Header=BB6_7947 Depth=3
	v_clz_i32_u32_e32 v0, v2
	s_delay_alu instid0(VALU_DEP_1) | instskip(NEXT) | instid1(VALU_DEP_1)
	v_min_u32_e32 v0, 32, v0
	v_subrev_nc_u32_e32 v24, 28, v0
	v_sub_nc_u32_e32 v0, 29, v0
	s_delay_alu instid0(VALU_DEP_2) | instskip(NEXT) | instid1(VALU_DEP_1)
	v_lshlrev_b64_e32 v[24:25], v24, v[2:3]
	v_and_b32_e32 v24, 7, v24
; %bb.9104:                             ;   in Loop: Header=BB6_7947 Depth=3
	s_or_b32 exec_lo, exec_lo, s74
	s_delay_alu instid0(VALU_DEP_1) | instskip(SKIP_1) | instid1(VALU_DEP_2)
	v_dual_lshlrev_b32 v2, 16, v17 :: v_dual_lshlrev_b32 v24, 20, v24
	v_lshl_add_u32 v0, v0, 23, 0x3c000000
	v_and_b32_e32 v2, 0x80000000, v2
	s_delay_alu instid0(VALU_DEP_1)
	v_or3_b32 v26, v24, v2, v0
.LBB6_9105:                             ;   in Loop: Header=BB6_7947 Depth=3
	s_or_b32 exec_lo, exec_lo, s45
.LBB6_9106:                             ;   in Loop: Header=BB6_7947 Depth=3
	s_delay_alu instid0(SALU_CYCLE_1)
	s_or_b32 exec_lo, exec_lo, s44
.LBB6_9107:                             ;   in Loop: Header=BB6_7947 Depth=3
	s_delay_alu instid0(SALU_CYCLE_1) | instskip(NEXT) | instid1(VALU_DEP_1)
	s_or_b32 exec_lo, exec_lo, s13
	v_add_f32_e32 v0, v27, v26
                                        ; implicit-def: $vgpr58
	s_mov_b32 s13, exec_lo
	s_delay_alu instid0(VALU_DEP_1) | instskip(SKIP_1) | instid1(VALU_DEP_2)
	v_and_b32_e32 v2, 0x7f800000, v0
	v_lshrrev_b32_e32 v24, 24, v0
	v_cmpx_ne_u64_e32 0x7f800000, v[2:3]
	s_xor_b32 s44, exec_lo, s13
	s_cbranch_execz .LBB6_9121
; %bb.9108:                             ;   in Loop: Header=BB6_7947 Depth=3
	v_and_b32_e32 v2, 0x7fffffff, v0
	v_and_b32_e32 v66, 0x80, v24
                                        ; implicit-def: $vgpr58
	s_mov_b32 s13, exec_lo
	s_delay_alu instid0(VALU_DEP_2)
	v_cmpx_gt_u64_e32 0x43e00001, v[2:3]
	s_xor_b32 s45, exec_lo, s13
	s_cbranch_execz .LBB6_9118
; %bb.9109:                             ;   in Loop: Header=BB6_7947 Depth=3
	v_mov_b32_e32 v58, 0
	s_mov_b32 s74, exec_lo
	v_cmpx_ne_u32_e32 0, v0
	s_cbranch_execz .LBB6_9117
; %bb.9110:                             ;   in Loop: Header=BB6_7947 Depth=3
	v_bfe_u32 v67, v0, 23, 8
	v_and_b32_e32 v2, 0x7fffff, v0
	s_delay_alu instid0(VALU_DEP_2) | instskip(SKIP_2) | instid1(VALU_DEP_4)
	v_cmp_gt_u32_e64 s13, 0x7a, v67
	v_sub_nc_u32_e32 v0, 0x79, v67
	v_cmp_eq_u32_e32 vcc_lo, 0, v67
	v_or_b32_e32 v24, 0x800000, v2
	s_delay_alu instid0(VALU_DEP_1) | instskip(NEXT) | instid1(VALU_DEP_1)
	v_dual_cndmask_b32 v0, 0, v0, s13 :: v_dual_cndmask_b32 v2, v24, v2, vcc_lo
	v_cndmask_b32_e64 v0, v0, 0x78, vcc_lo
	s_delay_alu instid0(VALU_DEP_1) | instskip(NEXT) | instid1(VALU_DEP_1)
	v_dual_add_nc_u32 v24, 20, v0 :: v_dual_add_nc_u32 v26, 19, v0
	v_lshlrev_b64_e64 v[24:25], v24, -1
	s_delay_alu instid0(VALU_DEP_2) | instskip(NEXT) | instid1(VALU_DEP_2)
	v_lshlrev_b64_e64 v[26:27], v26, 1
	v_bfi_b32 v25, v25, 0, 0
	s_delay_alu instid0(VALU_DEP_3) | instskip(NEXT) | instid1(VALU_DEP_1)
	v_bfi_b32 v24, v24, 0, v2
	v_cmp_eq_u64_e64 s13, v[24:25], v[26:27]
	v_lshrrev_b64 v[24:25], v0, v[2:3]
	s_delay_alu instid0(VALU_DEP_1)
	v_mov_b64_e32 v[26:27], v[24:25]
	s_and_saveexec_b32 s75, s13
; %bb.9111:                             ;   in Loop: Header=BB6_7947 Depth=3
	v_bfe_u32 v2, v24, 20, 1
	s_delay_alu instid0(VALU_DEP_1) | instskip(NEXT) | instid1(VALU_DEP_1)
	v_add_nc_u64_e32 v[26:27], v[24:25], v[2:3]
	v_add_nc_u64_e32 v[26:27], -1, v[26:27]
; %bb.9112:                             ;   in Loop: Header=BB6_7947 Depth=3
	s_or_b32 exec_lo, exec_lo, s75
	v_add_nc_u32_e32 v2, 0xffffff81, v67
	v_lshrrev_b32_e32 v25, 23, v24
	s_mov_b32 s13, exec_lo
	s_delay_alu instid0(VALU_DEP_2) | instskip(NEXT) | instid1(VALU_DEP_1)
	v_cndmask_b32_e64 v2, v2, 0xffffff82, vcc_lo
	v_add3_u32 v27, v0, v2, v25
	v_and_b32_e32 v0, 0xfffff, v26
	s_delay_alu instid0(VALU_DEP_1) | instskip(NEXT) | instid1(VALU_DEP_1)
	v_dual_add_nc_u32 v26, 6, v27 :: v_dual_add_nc_u32 v2, v0, v24
                                        ; implicit-def: $vgpr24_vgpr25
                                        ; implicit-def: $vgpr0
	v_cmpx_ne_u32_e32 0, v26
	s_xor_b32 s13, exec_lo, s13
; %bb.9113:                             ;   in Loop: Header=BB6_7947 Depth=3
	s_delay_alu instid0(VALU_DEP_2) | instskip(SKIP_2) | instid1(VALU_DEP_2)
	v_cmp_lt_u64_e32 vcc_lo, 0xffffff, v[2:3]
	v_add_nc_u32_e32 v0, 7, v27
	v_cndmask_b32_e64 v24, 0, 1, vcc_lo
	v_cndmask_b32_e32 v0, v26, v0, vcc_lo
	s_delay_alu instid0(VALU_DEP_2)
	v_lshrrev_b64 v[24:25], v24, v[2:3]
; %bb.9114:                             ;   in Loop: Header=BB6_7947 Depth=3
	s_and_not1_saveexec_b32 s13, s13
; %bb.9115:                             ;   in Loop: Header=BB6_7947 Depth=3
	v_mov_b64_e32 v[24:25], v[2:3]
	v_bfe_u32 v0, v2, 23, 1
; %bb.9116:                             ;   in Loop: Header=BB6_7947 Depth=3
	s_or_b32 exec_lo, exec_lo, s13
	s_delay_alu instid0(VALU_DEP_2) | instskip(NEXT) | instid1(VALU_DEP_2)
	v_lshrrev_b64 v[24:25], 20, v[24:25]
	v_cmp_gt_i32_e32 vcc_lo, 16, v0
	v_min_i32_e32 v2, 15, v0
	v_cmp_eq_u32_e64 s13, 0, v0
	s_delay_alu instid0(VALU_DEP_2) | instskip(SKIP_1) | instid1(VALU_DEP_2)
	v_dual_cndmask_b32 v25, 0, v25 :: v_dual_lshlrev_b32 v2, 3, v2
	v_cndmask_b32_e32 v24, 7, v24, vcc_lo
	v_and_b32_e32 v2, 0xf8, v2
	s_delay_alu instid0(VALU_DEP_2) | instskip(NEXT) | instid1(VALU_DEP_2)
	v_cmp_eq_u64_e32 vcc_lo, 0, v[24:25]
	v_and_or_b32 v0, v24, 7, v2
	s_and_b32 s13, s13, vcc_lo
	s_delay_alu instid0(VALU_DEP_1) | instid1(SALU_CYCLE_1)
	v_cndmask_b32_e64 v0, v0, 0, s13
	s_delay_alu instid0(VALU_DEP_1)
	v_or_b32_e32 v58, v0, v66
.LBB6_9117:                             ;   in Loop: Header=BB6_7947 Depth=3
	s_or_b32 exec_lo, exec_lo, s74
                                        ; implicit-def: $vgpr66
.LBB6_9118:                             ;   in Loop: Header=BB6_7947 Depth=3
	s_and_not1_saveexec_b32 s13, s45
; %bb.9119:                             ;   in Loop: Header=BB6_7947 Depth=3
	v_or_b32_e32 v58, 0x7e, v66
; %bb.9120:                             ;   in Loop: Header=BB6_7947 Depth=3
	s_or_b32 exec_lo, exec_lo, s13
                                        ; implicit-def: $vgpr24
.LBB6_9121:                             ;   in Loop: Header=BB6_7947 Depth=3
	s_and_not1_saveexec_b32 s13, s44
; %bb.9122:                             ;   in Loop: Header=BB6_7947 Depth=3
	v_or_b32_e32 v58, 0x7f, v24
; %bb.9123:                             ;   in Loop: Header=BB6_7947 Depth=3
	s_or_b32 exec_lo, exec_lo, s13
	v_dual_lshrrev_b32 v0, 16, v21 :: v_dual_mov_b32 v26, 0
	v_mov_b32_e32 v27, 0
	s_mov_b32 s13, exec_lo
	s_delay_alu instid0(VALU_DEP_2) | instskip(NEXT) | instid1(VALU_DEP_1)
	v_and_b32_e32 v2, 0xff, v0
	v_cmpx_ne_u16_e32 0, v2
	s_cbranch_execz .LBB6_9131
; %bb.9124:                             ;   in Loop: Header=BB6_7947 Depth=3
	v_bfrev_b32_e32 v27, 1
	s_mov_b32 s44, exec_lo
	v_cmpx_ne_u16_e32 0x80, v2
	s_cbranch_execz .LBB6_9130
; %bb.9125:                             ;   in Loop: Header=BB6_7947 Depth=3
	v_bfe_u32 v24, v21, 16, 7
	v_mov_b32_e32 v27, 0x7f800001
	s_mov_b32 s45, exec_lo
	s_delay_alu instid0(VALU_DEP_2)
	v_cmpx_ne_u32_e32 0x7f, v24
	s_cbranch_execz .LBB6_9129
; %bb.9126:                             ;   in Loop: Header=BB6_7947 Depth=3
	v_and_b32_e32 v2, 7, v0
	v_lshrrev_b32_e32 v27, 3, v24
	v_cmp_gt_u32_e32 vcc_lo, 8, v24
	s_delay_alu instid0(VALU_DEP_3)
	v_mov_b64_e32 v[24:25], v[2:3]
	s_and_saveexec_b32 s74, vcc_lo
; %bb.9127:                             ;   in Loop: Header=BB6_7947 Depth=3
	v_clz_i32_u32_e32 v24, v2
	s_delay_alu instid0(VALU_DEP_1) | instskip(NEXT) | instid1(VALU_DEP_1)
	v_min_u32_e32 v27, 32, v24
	v_subrev_nc_u32_e32 v24, 28, v27
	s_delay_alu instid0(VALU_DEP_1) | instskip(NEXT) | instid1(VALU_DEP_1)
	v_lshlrev_b64_e32 v[24:25], v24, v[2:3]
	v_dual_sub_nc_u32 v27, 29, v27 :: v_dual_bitop2_b32 v24, 7, v24 bitop3:0x40
; %bb.9128:                             ;   in Loop: Header=BB6_7947 Depth=3
	s_or_b32 exec_lo, exec_lo, s74
	v_lshlrev_b32_e32 v0, 24, v0
	s_delay_alu instid0(VALU_DEP_2) | instskip(NEXT) | instid1(VALU_DEP_3)
	v_lshlrev_b32_e32 v2, 20, v24
	v_lshl_add_u32 v24, v27, 23, 0x3c000000
	s_delay_alu instid0(VALU_DEP_3) | instskip(NEXT) | instid1(VALU_DEP_1)
	v_and_b32_e32 v0, 0x80000000, v0
	v_or3_b32 v27, v2, v0, v24
.LBB6_9129:                             ;   in Loop: Header=BB6_7947 Depth=3
	s_or_b32 exec_lo, exec_lo, s45
.LBB6_9130:                             ;   in Loop: Header=BB6_7947 Depth=3
	s_delay_alu instid0(SALU_CYCLE_1)
	s_or_b32 exec_lo, exec_lo, s44
.LBB6_9131:                             ;   in Loop: Header=BB6_7947 Depth=3
	s_delay_alu instid0(SALU_CYCLE_1) | instskip(SKIP_2) | instid1(VALU_DEP_1)
	s_or_b32 exec_lo, exec_lo, s13
	v_lshrrev_b32_e32 v0, 16, v17
	s_mov_b32 s13, exec_lo
	v_and_b32_e32 v2, 0xff, v0
	s_delay_alu instid0(VALU_DEP_1)
	v_cmpx_ne_u16_e32 0, v2
	s_cbranch_execz .LBB6_9139
; %bb.9132:                             ;   in Loop: Header=BB6_7947 Depth=3
	v_bfrev_b32_e32 v26, 1
	s_mov_b32 s44, exec_lo
	v_cmpx_ne_u16_e32 0x80, v2
	s_cbranch_execz .LBB6_9138
; %bb.9133:                             ;   in Loop: Header=BB6_7947 Depth=3
	v_bfe_u32 v24, v17, 16, 7
	v_mov_b32_e32 v26, 0x7f800001
	s_mov_b32 s45, exec_lo
	s_delay_alu instid0(VALU_DEP_2)
	v_cmpx_ne_u32_e32 0x7f, v24
	s_cbranch_execz .LBB6_9137
; %bb.9134:                             ;   in Loop: Header=BB6_7947 Depth=3
	v_and_b32_e32 v2, 7, v0
	v_lshrrev_b32_e32 v0, 3, v24
	v_cmp_gt_u32_e32 vcc_lo, 8, v24
	s_delay_alu instid0(VALU_DEP_3)
	v_mov_b64_e32 v[24:25], v[2:3]
	s_and_saveexec_b32 s74, vcc_lo
; %bb.9135:                             ;   in Loop: Header=BB6_7947 Depth=3
	v_clz_i32_u32_e32 v0, v2
	s_delay_alu instid0(VALU_DEP_1) | instskip(NEXT) | instid1(VALU_DEP_1)
	v_min_u32_e32 v0, 32, v0
	v_subrev_nc_u32_e32 v24, 28, v0
	v_sub_nc_u32_e32 v0, 29, v0
	s_delay_alu instid0(VALU_DEP_2) | instskip(NEXT) | instid1(VALU_DEP_1)
	v_lshlrev_b64_e32 v[24:25], v24, v[2:3]
	v_and_b32_e32 v24, 7, v24
; %bb.9136:                             ;   in Loop: Header=BB6_7947 Depth=3
	s_or_b32 exec_lo, exec_lo, s74
	s_delay_alu instid0(VALU_DEP_1) | instskip(SKIP_1) | instid1(VALU_DEP_2)
	v_dual_lshlrev_b32 v2, 8, v17 :: v_dual_lshlrev_b32 v24, 20, v24
	v_lshl_add_u32 v0, v0, 23, 0x3c000000
	v_and_b32_e32 v2, 0x80000000, v2
	s_delay_alu instid0(VALU_DEP_1)
	v_or3_b32 v26, v24, v2, v0
.LBB6_9137:                             ;   in Loop: Header=BB6_7947 Depth=3
	s_or_b32 exec_lo, exec_lo, s45
.LBB6_9138:                             ;   in Loop: Header=BB6_7947 Depth=3
	s_delay_alu instid0(SALU_CYCLE_1)
	s_or_b32 exec_lo, exec_lo, s44
.LBB6_9139:                             ;   in Loop: Header=BB6_7947 Depth=3
	s_delay_alu instid0(SALU_CYCLE_1) | instskip(NEXT) | instid1(VALU_DEP_1)
	s_or_b32 exec_lo, exec_lo, s13
	v_add_f32_e32 v0, v27, v26
                                        ; implicit-def: $vgpr24
	s_mov_b32 s13, exec_lo
	s_delay_alu instid0(VALU_DEP_1) | instskip(SKIP_1) | instid1(VALU_DEP_2)
	v_and_b32_e32 v2, 0x7f800000, v0
	v_lshrrev_b32_e32 v25, 24, v0
	v_cmpx_ne_u64_e32 0x7f800000, v[2:3]
	s_xor_b32 s44, exec_lo, s13
	s_cbranch_execz .LBB6_9153
; %bb.9140:                             ;   in Loop: Header=BB6_7947 Depth=3
	v_and_b32_e32 v2, 0x7fffffff, v0
	v_and_b32_e32 v66, 0x80, v25
                                        ; implicit-def: $vgpr24
	s_mov_b32 s13, exec_lo
	s_delay_alu instid0(VALU_DEP_2)
	v_cmpx_gt_u64_e32 0x43e00001, v[2:3]
	s_xor_b32 s45, exec_lo, s13
	s_cbranch_execz .LBB6_9150
; %bb.9141:                             ;   in Loop: Header=BB6_7947 Depth=3
	v_mov_b32_e32 v24, 0
	s_mov_b32 s74, exec_lo
	v_cmpx_ne_u32_e32 0, v0
	s_cbranch_execz .LBB6_9149
; %bb.9142:                             ;   in Loop: Header=BB6_7947 Depth=3
	v_bfe_u32 v67, v0, 23, 8
	v_and_b32_e32 v2, 0x7fffff, v0
	s_delay_alu instid0(VALU_DEP_2) | instskip(SKIP_2) | instid1(VALU_DEP_4)
	v_cmp_gt_u32_e64 s13, 0x7a, v67
	v_sub_nc_u32_e32 v0, 0x79, v67
	v_cmp_eq_u32_e32 vcc_lo, 0, v67
	v_or_b32_e32 v24, 0x800000, v2
	s_delay_alu instid0(VALU_DEP_1) | instskip(NEXT) | instid1(VALU_DEP_1)
	v_dual_cndmask_b32 v0, 0, v0, s13 :: v_dual_cndmask_b32 v2, v24, v2, vcc_lo
	v_cndmask_b32_e64 v0, v0, 0x78, vcc_lo
	s_delay_alu instid0(VALU_DEP_1) | instskip(NEXT) | instid1(VALU_DEP_1)
	v_dual_add_nc_u32 v24, 20, v0 :: v_dual_add_nc_u32 v26, 19, v0
	v_lshlrev_b64_e64 v[24:25], v24, -1
	s_delay_alu instid0(VALU_DEP_2) | instskip(NEXT) | instid1(VALU_DEP_2)
	v_lshlrev_b64_e64 v[26:27], v26, 1
	v_bfi_b32 v25, v25, 0, 0
	s_delay_alu instid0(VALU_DEP_3) | instskip(NEXT) | instid1(VALU_DEP_1)
	v_bfi_b32 v24, v24, 0, v2
	v_cmp_eq_u64_e64 s13, v[24:25], v[26:27]
	v_lshrrev_b64 v[24:25], v0, v[2:3]
	s_delay_alu instid0(VALU_DEP_1)
	v_mov_b64_e32 v[26:27], v[24:25]
	s_and_saveexec_b32 s75, s13
; %bb.9143:                             ;   in Loop: Header=BB6_7947 Depth=3
	v_bfe_u32 v2, v24, 20, 1
	s_delay_alu instid0(VALU_DEP_1) | instskip(NEXT) | instid1(VALU_DEP_1)
	v_add_nc_u64_e32 v[26:27], v[24:25], v[2:3]
	v_add_nc_u64_e32 v[26:27], -1, v[26:27]
; %bb.9144:                             ;   in Loop: Header=BB6_7947 Depth=3
	s_or_b32 exec_lo, exec_lo, s75
	v_add_nc_u32_e32 v2, 0xffffff81, v67
	v_lshrrev_b32_e32 v25, 23, v24
	s_mov_b32 s13, exec_lo
	s_delay_alu instid0(VALU_DEP_2) | instskip(NEXT) | instid1(VALU_DEP_1)
	v_cndmask_b32_e64 v2, v2, 0xffffff82, vcc_lo
	v_add3_u32 v27, v0, v2, v25
	v_and_b32_e32 v0, 0xfffff, v26
	s_delay_alu instid0(VALU_DEP_1) | instskip(NEXT) | instid1(VALU_DEP_1)
	v_dual_add_nc_u32 v26, 6, v27 :: v_dual_add_nc_u32 v2, v0, v24
                                        ; implicit-def: $vgpr24_vgpr25
                                        ; implicit-def: $vgpr0
	v_cmpx_ne_u32_e32 0, v26
	s_xor_b32 s13, exec_lo, s13
; %bb.9145:                             ;   in Loop: Header=BB6_7947 Depth=3
	s_delay_alu instid0(VALU_DEP_2) | instskip(SKIP_2) | instid1(VALU_DEP_2)
	v_cmp_lt_u64_e32 vcc_lo, 0xffffff, v[2:3]
	v_add_nc_u32_e32 v0, 7, v27
	v_cndmask_b32_e64 v24, 0, 1, vcc_lo
	v_cndmask_b32_e32 v0, v26, v0, vcc_lo
	s_delay_alu instid0(VALU_DEP_2)
	v_lshrrev_b64 v[24:25], v24, v[2:3]
; %bb.9146:                             ;   in Loop: Header=BB6_7947 Depth=3
	s_and_not1_saveexec_b32 s13, s13
; %bb.9147:                             ;   in Loop: Header=BB6_7947 Depth=3
	v_mov_b64_e32 v[24:25], v[2:3]
	v_bfe_u32 v0, v2, 23, 1
; %bb.9148:                             ;   in Loop: Header=BB6_7947 Depth=3
	s_or_b32 exec_lo, exec_lo, s13
	s_delay_alu instid0(VALU_DEP_2) | instskip(NEXT) | instid1(VALU_DEP_2)
	v_lshrrev_b64 v[24:25], 20, v[24:25]
	v_cmp_gt_i32_e32 vcc_lo, 16, v0
	v_min_i32_e32 v2, 15, v0
	v_cmp_eq_u32_e64 s13, 0, v0
	s_delay_alu instid0(VALU_DEP_2) | instskip(SKIP_1) | instid1(VALU_DEP_2)
	v_dual_cndmask_b32 v25, 0, v25 :: v_dual_lshlrev_b32 v2, 3, v2
	v_cndmask_b32_e32 v24, 7, v24, vcc_lo
	v_and_b32_e32 v2, 0xf8, v2
	s_delay_alu instid0(VALU_DEP_2) | instskip(NEXT) | instid1(VALU_DEP_2)
	v_cmp_eq_u64_e32 vcc_lo, 0, v[24:25]
	v_and_or_b32 v0, v24, 7, v2
	s_and_b32 s13, s13, vcc_lo
	s_delay_alu instid0(VALU_DEP_1) | instid1(SALU_CYCLE_1)
	v_cndmask_b32_e64 v0, v0, 0, s13
	s_delay_alu instid0(VALU_DEP_1)
	v_or_b32_e32 v24, v0, v66
.LBB6_9149:                             ;   in Loop: Header=BB6_7947 Depth=3
	s_or_b32 exec_lo, exec_lo, s74
                                        ; implicit-def: $vgpr66
.LBB6_9150:                             ;   in Loop: Header=BB6_7947 Depth=3
	s_and_not1_saveexec_b32 s13, s45
; %bb.9151:                             ;   in Loop: Header=BB6_7947 Depth=3
	v_or_b32_e32 v24, 0x7e, v66
; %bb.9152:                             ;   in Loop: Header=BB6_7947 Depth=3
	s_or_b32 exec_lo, exec_lo, s13
                                        ; implicit-def: $vgpr25
.LBB6_9153:                             ;   in Loop: Header=BB6_7947 Depth=3
	s_and_not1_saveexec_b32 s13, s44
; %bb.9154:                             ;   in Loop: Header=BB6_7947 Depth=3
	v_or_b32_e32 v24, 0x7f, v25
; %bb.9155:                             ;   in Loop: Header=BB6_7947 Depth=3
	s_or_b32 exec_lo, exec_lo, s13
	v_cmp_lt_u64_e32 vcc_lo, s[22:23], v[20:21]
	v_dual_mov_b32 v25, 0 :: v_dual_mov_b32 v20, 0
	s_and_saveexec_b32 s13, vcc_lo
	s_cbranch_execz .LBB6_9163
; %bb.9156:                             ;   in Loop: Header=BB6_7947 Depth=3
	v_lshrrev_b32_e32 v0, 24, v21
	v_bfrev_b32_e32 v20, 1
	s_mov_b32 s44, exec_lo
	s_delay_alu instid0(VALU_DEP_2)
	v_cmpx_ne_u32_e32 0x80, v0
	s_cbranch_execz .LBB6_9162
; %bb.9157:                             ;   in Loop: Header=BB6_7947 Depth=3
	v_bfe_u32 v21, v21, 24, 7
	v_mov_b32_e32 v20, 0x7f800001
	s_mov_b32 s45, exec_lo
	s_delay_alu instid0(VALU_DEP_2)
	v_cmpx_ne_u32_e32 0x7f, v21
	s_cbranch_execz .LBB6_9161
; %bb.9158:                             ;   in Loop: Header=BB6_7947 Depth=3
	v_dual_lshrrev_b32 v26, 3, v21 :: v_dual_bitop2_b32 v2, 7, v0 bitop3:0x40
	v_cmp_gt_u32_e32 vcc_lo, 8, v21
	s_delay_alu instid0(VALU_DEP_2)
	v_mov_b64_e32 v[20:21], v[2:3]
	s_and_saveexec_b32 s74, vcc_lo
; %bb.9159:                             ;   in Loop: Header=BB6_7947 Depth=3
	v_clz_i32_u32_e32 v20, v2
	s_delay_alu instid0(VALU_DEP_1) | instskip(NEXT) | instid1(VALU_DEP_1)
	v_min_u32_e32 v26, 32, v20
	v_subrev_nc_u32_e32 v20, 28, v26
	s_delay_alu instid0(VALU_DEP_1) | instskip(NEXT) | instid1(VALU_DEP_1)
	v_lshlrev_b64_e32 v[20:21], v20, v[2:3]
	v_dual_sub_nc_u32 v26, 29, v26 :: v_dual_bitop2_b32 v20, 7, v20 bitop3:0x40
; %bb.9160:                             ;   in Loop: Header=BB6_7947 Depth=3
	s_or_b32 exec_lo, exec_lo, s74
	v_lshlrev_b32_e32 v0, 24, v0
	s_delay_alu instid0(VALU_DEP_2) | instskip(NEXT) | instid1(VALU_DEP_3)
	v_lshlrev_b32_e32 v2, 20, v20
	v_lshl_add_u32 v20, v26, 23, 0x3c000000
	s_delay_alu instid0(VALU_DEP_3) | instskip(NEXT) | instid1(VALU_DEP_1)
	v_and_b32_e32 v0, 0x80000000, v0
	v_or3_b32 v20, v2, v0, v20
.LBB6_9161:                             ;   in Loop: Header=BB6_7947 Depth=3
	s_or_b32 exec_lo, exec_lo, s45
.LBB6_9162:                             ;   in Loop: Header=BB6_7947 Depth=3
	s_delay_alu instid0(SALU_CYCLE_1)
	s_or_b32 exec_lo, exec_lo, s44
.LBB6_9163:                             ;   in Loop: Header=BB6_7947 Depth=3
	s_delay_alu instid0(SALU_CYCLE_1) | instskip(NEXT) | instid1(SALU_CYCLE_1)
	s_or_b32 exec_lo, exec_lo, s13
	s_mov_b32 s13, exec_lo
	v_cmpx_lt_u64_e64 s[22:23], v[16:17]
	s_cbranch_execz .LBB6_9171
; %bb.9164:                             ;   in Loop: Header=BB6_7947 Depth=3
	v_lshrrev_b32_e32 v0, 24, v17
	v_bfrev_b32_e32 v25, 1
	s_mov_b32 s44, exec_lo
	s_delay_alu instid0(VALU_DEP_2)
	v_cmpx_ne_u32_e32 0x80, v0
	s_cbranch_execz .LBB6_9170
; %bb.9165:                             ;   in Loop: Header=BB6_7947 Depth=3
	v_bfe_u32 v16, v17, 24, 7
	v_mov_b32_e32 v25, 0x7f800001
	s_mov_b32 s45, exec_lo
	s_delay_alu instid0(VALU_DEP_2)
	v_cmpx_ne_u32_e32 0x7f, v16
	s_cbranch_execz .LBB6_9169
; %bb.9166:                             ;   in Loop: Header=BB6_7947 Depth=3
	v_and_b32_e32 v2, 7, v0
	v_lshrrev_b32_e32 v21, 3, v16
	v_cmp_gt_u32_e32 vcc_lo, 8, v16
	s_delay_alu instid0(VALU_DEP_3)
	v_mov_b64_e32 v[16:17], v[2:3]
	s_and_saveexec_b32 s74, vcc_lo
; %bb.9167:                             ;   in Loop: Header=BB6_7947 Depth=3
	v_clz_i32_u32_e32 v16, v2
	s_delay_alu instid0(VALU_DEP_1) | instskip(NEXT) | instid1(VALU_DEP_1)
	v_min_u32_e32 v21, 32, v16
	v_subrev_nc_u32_e32 v16, 28, v21
	s_delay_alu instid0(VALU_DEP_1) | instskip(NEXT) | instid1(VALU_DEP_1)
	v_lshlrev_b64_e32 v[16:17], v16, v[2:3]
	v_dual_sub_nc_u32 v21, 29, v21 :: v_dual_bitop2_b32 v16, 7, v16 bitop3:0x40
; %bb.9168:                             ;   in Loop: Header=BB6_7947 Depth=3
	s_or_b32 exec_lo, exec_lo, s74
	v_lshlrev_b32_e32 v0, 24, v0
	s_delay_alu instid0(VALU_DEP_2) | instskip(NEXT) | instid1(VALU_DEP_3)
	v_lshlrev_b32_e32 v2, 20, v16
	v_lshl_add_u32 v16, v21, 23, 0x3c000000
	s_delay_alu instid0(VALU_DEP_3) | instskip(NEXT) | instid1(VALU_DEP_1)
	v_and_b32_e32 v0, 0x80000000, v0
	v_or3_b32 v25, v2, v0, v16
.LBB6_9169:                             ;   in Loop: Header=BB6_7947 Depth=3
	s_or_b32 exec_lo, exec_lo, s45
.LBB6_9170:                             ;   in Loop: Header=BB6_7947 Depth=3
	s_delay_alu instid0(SALU_CYCLE_1)
	s_or_b32 exec_lo, exec_lo, s44
.LBB6_9171:                             ;   in Loop: Header=BB6_7947 Depth=3
	s_delay_alu instid0(SALU_CYCLE_1) | instskip(NEXT) | instid1(VALU_DEP_1)
	s_or_b32 exec_lo, exec_lo, s13
	v_add_f32_e32 v0, v20, v25
                                        ; implicit-def: $vgpr25
	s_mov_b32 s13, exec_lo
	s_delay_alu instid0(VALU_DEP_1) | instskip(SKIP_1) | instid1(VALU_DEP_2)
	v_and_b32_e32 v2, 0x7f800000, v0
	v_lshrrev_b32_e32 v16, 24, v0
	v_cmpx_ne_u64_e32 0x7f800000, v[2:3]
	s_xor_b32 s44, exec_lo, s13
	s_cbranch_execz .LBB6_9185
; %bb.9172:                             ;   in Loop: Header=BB6_7947 Depth=3
	v_and_b32_e32 v2, 0x7fffffff, v0
	v_and_b32_e32 v26, 0x80, v16
                                        ; implicit-def: $vgpr25
	s_mov_b32 s13, exec_lo
	s_delay_alu instid0(VALU_DEP_2)
	v_cmpx_gt_u64_e32 0x43e00001, v[2:3]
	s_xor_b32 s45, exec_lo, s13
	s_cbranch_execz .LBB6_9182
; %bb.9173:                             ;   in Loop: Header=BB6_7947 Depth=3
	v_mov_b32_e32 v25, 0
	s_mov_b32 s74, exec_lo
	v_cmpx_ne_u32_e32 0, v0
	s_cbranch_execz .LBB6_9181
; %bb.9174:                             ;   in Loop: Header=BB6_7947 Depth=3
	v_bfe_u32 v25, v0, 23, 8
	v_and_b32_e32 v2, 0x7fffff, v0
	s_delay_alu instid0(VALU_DEP_2) | instskip(SKIP_2) | instid1(VALU_DEP_4)
	v_cmp_gt_u32_e64 s13, 0x7a, v25
	v_sub_nc_u32_e32 v0, 0x79, v25
	v_cmp_eq_u32_e32 vcc_lo, 0, v25
	v_or_b32_e32 v16, 0x800000, v2
	s_delay_alu instid0(VALU_DEP_1) | instskip(NEXT) | instid1(VALU_DEP_1)
	v_dual_cndmask_b32 v0, 0, v0, s13 :: v_dual_cndmask_b32 v2, v16, v2, vcc_lo
	v_cndmask_b32_e64 v0, v0, 0x78, vcc_lo
	s_delay_alu instid0(VALU_DEP_1) | instskip(NEXT) | instid1(VALU_DEP_1)
	v_dual_add_nc_u32 v16, 20, v0 :: v_dual_add_nc_u32 v20, 19, v0
	v_lshlrev_b64_e64 v[16:17], v16, -1
	s_delay_alu instid0(VALU_DEP_2) | instskip(NEXT) | instid1(VALU_DEP_2)
	v_lshlrev_b64_e64 v[20:21], v20, 1
	v_bfi_b32 v17, v17, 0, 0
	s_delay_alu instid0(VALU_DEP_3) | instskip(NEXT) | instid1(VALU_DEP_1)
	v_bfi_b32 v16, v16, 0, v2
	v_cmp_eq_u64_e64 s13, v[16:17], v[20:21]
	v_lshrrev_b64 v[16:17], v0, v[2:3]
	s_delay_alu instid0(VALU_DEP_1)
	v_mov_b64_e32 v[20:21], v[16:17]
	s_and_saveexec_b32 s75, s13
; %bb.9175:                             ;   in Loop: Header=BB6_7947 Depth=3
	v_bfe_u32 v2, v16, 20, 1
	s_delay_alu instid0(VALU_DEP_1) | instskip(NEXT) | instid1(VALU_DEP_1)
	v_add_nc_u64_e32 v[20:21], v[16:17], v[2:3]
	v_add_nc_u64_e32 v[20:21], -1, v[20:21]
; %bb.9176:                             ;   in Loop: Header=BB6_7947 Depth=3
	s_or_b32 exec_lo, exec_lo, s75
	v_add_nc_u32_e32 v2, 0xffffff81, v25
	v_lshrrev_b32_e32 v17, 23, v16
	s_mov_b32 s13, exec_lo
	s_delay_alu instid0(VALU_DEP_2) | instskip(NEXT) | instid1(VALU_DEP_1)
	v_cndmask_b32_e64 v2, v2, 0xffffff82, vcc_lo
	v_add3_u32 v21, v0, v2, v17
	v_and_b32_e32 v0, 0xfffff, v20
	s_delay_alu instid0(VALU_DEP_1) | instskip(NEXT) | instid1(VALU_DEP_1)
	v_dual_add_nc_u32 v20, 6, v21 :: v_dual_add_nc_u32 v2, v0, v16
                                        ; implicit-def: $vgpr16_vgpr17
                                        ; implicit-def: $vgpr0
	v_cmpx_ne_u32_e32 0, v20
	s_xor_b32 s13, exec_lo, s13
; %bb.9177:                             ;   in Loop: Header=BB6_7947 Depth=3
	s_delay_alu instid0(VALU_DEP_2) | instskip(SKIP_2) | instid1(VALU_DEP_2)
	v_cmp_lt_u64_e32 vcc_lo, 0xffffff, v[2:3]
	v_add_nc_u32_e32 v0, 7, v21
	v_cndmask_b32_e64 v16, 0, 1, vcc_lo
	v_cndmask_b32_e32 v0, v20, v0, vcc_lo
	s_delay_alu instid0(VALU_DEP_2)
	v_lshrrev_b64 v[16:17], v16, v[2:3]
; %bb.9178:                             ;   in Loop: Header=BB6_7947 Depth=3
	s_and_not1_saveexec_b32 s13, s13
; %bb.9179:                             ;   in Loop: Header=BB6_7947 Depth=3
	v_mov_b64_e32 v[16:17], v[2:3]
	v_bfe_u32 v0, v2, 23, 1
; %bb.9180:                             ;   in Loop: Header=BB6_7947 Depth=3
	s_or_b32 exec_lo, exec_lo, s13
	s_delay_alu instid0(VALU_DEP_2) | instskip(NEXT) | instid1(VALU_DEP_2)
	v_lshrrev_b64 v[16:17], 20, v[16:17]
	v_cmp_gt_i32_e32 vcc_lo, 16, v0
	v_min_i32_e32 v2, 15, v0
	v_cmp_eq_u32_e64 s13, 0, v0
	s_delay_alu instid0(VALU_DEP_2) | instskip(SKIP_1) | instid1(VALU_DEP_2)
	v_dual_cndmask_b32 v17, 0, v17 :: v_dual_lshlrev_b32 v2, 3, v2
	v_cndmask_b32_e32 v16, 7, v16, vcc_lo
	v_and_b32_e32 v2, 0xf8, v2
	s_delay_alu instid0(VALU_DEP_2) | instskip(NEXT) | instid1(VALU_DEP_2)
	v_cmp_eq_u64_e32 vcc_lo, 0, v[16:17]
	v_and_or_b32 v0, v16, 7, v2
	s_and_b32 s13, s13, vcc_lo
	s_delay_alu instid0(VALU_DEP_1) | instid1(SALU_CYCLE_1)
	v_cndmask_b32_e64 v0, v0, 0, s13
	s_delay_alu instid0(VALU_DEP_1)
	v_or_b32_e32 v25, v0, v26
.LBB6_9181:                             ;   in Loop: Header=BB6_7947 Depth=3
	s_or_b32 exec_lo, exec_lo, s74
                                        ; implicit-def: $vgpr26
.LBB6_9182:                             ;   in Loop: Header=BB6_7947 Depth=3
	s_and_not1_saveexec_b32 s13, s45
; %bb.9183:                             ;   in Loop: Header=BB6_7947 Depth=3
	v_or_b32_e32 v25, 0x7e, v26
; %bb.9184:                             ;   in Loop: Header=BB6_7947 Depth=3
	s_or_b32 exec_lo, exec_lo, s13
                                        ; implicit-def: $vgpr16
.LBB6_9185:                             ;   in Loop: Header=BB6_7947 Depth=3
	s_and_not1_saveexec_b32 s13, s44
; %bb.9186:                             ;   in Loop: Header=BB6_7947 Depth=3
	v_or_b32_e32 v25, 0x7f, v16
; %bb.9187:                             ;   in Loop: Header=BB6_7947 Depth=3
	s_or_b32 exec_lo, exec_lo, s13
	v_and_b32_e32 v0, 0xff, v22
	v_dual_mov_b32 v2, 0 :: v_dual_mov_b32 v16, 0
	s_mov_b32 s13, exec_lo
	s_delay_alu instid0(VALU_DEP_2)
	v_cmpx_ne_u16_e32 0, v0
	s_cbranch_execz .LBB6_9193
; %bb.9188:                             ;   in Loop: Header=BB6_7947 Depth=3
	v_bfrev_b32_e32 v16, 1
	s_mov_b32 s44, exec_lo
	v_cmpx_ne_u16_e32 0x80, v0
	s_cbranch_execz .LBB6_9192
; %bb.9189:                             ;   in Loop: Header=BB6_7947 Depth=3
	v_and_b32_e32 v0, 0x7f, v22
	v_mov_b32_e32 v16, 0x7f800001
	s_mov_b32 s45, exec_lo
	s_delay_alu instid0(VALU_DEP_2)
	v_cmpx_ne_u32_e32 0x7f, v0
	s_cbranch_execz .LBB6_9191
; %bb.9190:                             ;   in Loop: Header=BB6_7947 Depth=3
	v_dual_lshrrev_b32 v17, 3, v0 :: v_dual_bitop2_b32 v16, 7, v22 bitop3:0x40
	v_cmp_gt_u32_e32 vcc_lo, 8, v0
	s_delay_alu instid0(VALU_DEP_2) | instskip(NEXT) | instid1(VALU_DEP_1)
	v_clz_i32_u32_e32 v0, v16
	v_min_u32_e32 v0, 32, v0
	s_delay_alu instid0(VALU_DEP_1) | instskip(SKIP_1) | instid1(VALU_DEP_2)
	v_subrev_nc_u32_e32 v16, 28, v0
	v_sub_nc_u32_e32 v0, 29, v0
	v_cndmask_b32_e32 v16, 0, v16, vcc_lo
	s_delay_alu instid0(VALU_DEP_2) | instskip(NEXT) | instid1(VALU_DEP_2)
	v_cndmask_b32_e32 v0, v17, v0, vcc_lo
	v_lshlrev_b64_e32 v[16:17], v16, v[22:23]
	v_lshlrev_b32_e32 v17, 24, v22
	s_delay_alu instid0(VALU_DEP_3) | instskip(NEXT) | instid1(VALU_DEP_2)
	v_lshl_add_u32 v0, v0, 23, 0x3c000000
	v_and_b32_e32 v17, 0x80000000, v17
	s_delay_alu instid0(VALU_DEP_4) | instskip(NEXT) | instid1(VALU_DEP_1)
	v_lshlrev_b32_e32 v16, 20, v16
	v_and_b32_e32 v16, 0x700000, v16
	s_delay_alu instid0(VALU_DEP_1)
	v_or3_b32 v16, v16, v17, v0
.LBB6_9191:                             ;   in Loop: Header=BB6_7947 Depth=3
	s_or_b32 exec_lo, exec_lo, s45
.LBB6_9192:                             ;   in Loop: Header=BB6_7947 Depth=3
	s_delay_alu instid0(SALU_CYCLE_1)
	s_or_b32 exec_lo, exec_lo, s44
.LBB6_9193:                             ;   in Loop: Header=BB6_7947 Depth=3
	s_delay_alu instid0(SALU_CYCLE_1) | instskip(SKIP_2) | instid1(VALU_DEP_1)
	s_or_b32 exec_lo, exec_lo, s13
	v_and_b32_e32 v0, 0xff, v18
	s_mov_b32 s13, exec_lo
	v_cmpx_ne_u16_e32 0, v0
	s_cbranch_execz .LBB6_9199
; %bb.9194:                             ;   in Loop: Header=BB6_7947 Depth=3
	v_bfrev_b32_e32 v2, 1
	s_mov_b32 s44, exec_lo
	v_cmpx_ne_u16_e32 0x80, v0
	s_cbranch_execz .LBB6_9198
; %bb.9195:                             ;   in Loop: Header=BB6_7947 Depth=3
	v_and_b32_e32 v0, 0x7f, v18
	v_mov_b32_e32 v2, 0x7f800001
	s_mov_b32 s45, exec_lo
	s_delay_alu instid0(VALU_DEP_2)
	v_cmpx_ne_u32_e32 0x7f, v0
	s_cbranch_execz .LBB6_9197
; %bb.9196:                             ;   in Loop: Header=BB6_7947 Depth=3
	v_dual_lshrrev_b32 v17, 3, v0 :: v_dual_bitop2_b32 v2, 7, v18 bitop3:0x40
	v_cmp_gt_u32_e32 vcc_lo, 8, v0
	s_delay_alu instid0(VALU_DEP_2) | instskip(NEXT) | instid1(VALU_DEP_1)
	v_clz_i32_u32_e32 v0, v2
	v_min_u32_e32 v0, 32, v0
	s_delay_alu instid0(VALU_DEP_1) | instskip(NEXT) | instid1(VALU_DEP_1)
	v_subrev_nc_u32_e32 v2, 28, v0
	v_dual_sub_nc_u32 v0, 29, v0 :: v_dual_cndmask_b32 v2, 0, v2, vcc_lo
	s_delay_alu instid0(VALU_DEP_1) | instskip(NEXT) | instid1(VALU_DEP_2)
	v_dual_cndmask_b32 v0, v17, v0 :: v_dual_lshlrev_b32 v17, 24, v18
	v_lshlrev_b64_e32 v[20:21], v2, v[18:19]
	s_delay_alu instid0(VALU_DEP_2) | instskip(NEXT) | instid1(VALU_DEP_3)
	v_lshl_add_u32 v0, v0, 23, 0x3c000000
	v_and_b32_e32 v17, 0x80000000, v17
	s_delay_alu instid0(VALU_DEP_3) | instskip(NEXT) | instid1(VALU_DEP_1)
	v_lshlrev_b32_e32 v2, 20, v20
	v_and_b32_e32 v2, 0x700000, v2
	s_delay_alu instid0(VALU_DEP_1)
	v_or3_b32 v2, v2, v17, v0
.LBB6_9197:                             ;   in Loop: Header=BB6_7947 Depth=3
	s_or_b32 exec_lo, exec_lo, s45
.LBB6_9198:                             ;   in Loop: Header=BB6_7947 Depth=3
	s_delay_alu instid0(SALU_CYCLE_1)
	s_or_b32 exec_lo, exec_lo, s44
.LBB6_9199:                             ;   in Loop: Header=BB6_7947 Depth=3
	s_delay_alu instid0(SALU_CYCLE_1) | instskip(NEXT) | instid1(VALU_DEP_1)
	s_or_b32 exec_lo, exec_lo, s13
	v_add_f32_e32 v0, v16, v2
                                        ; implicit-def: $vgpr26
	s_mov_b32 s13, exec_lo
	s_delay_alu instid0(VALU_DEP_1) | instskip(SKIP_1) | instid1(VALU_DEP_2)
	v_and_b32_e32 v2, 0x7f800000, v0
	v_lshrrev_b32_e32 v16, 24, v0
	v_cmpx_ne_u64_e32 0x7f800000, v[2:3]
	s_xor_b32 s44, exec_lo, s13
	s_cbranch_execz .LBB6_9213
; %bb.9200:                             ;   in Loop: Header=BB6_7947 Depth=3
	v_and_b32_e32 v2, 0x7fffffff, v0
	v_and_b32_e32 v27, 0x80, v16
                                        ; implicit-def: $vgpr26
	s_mov_b32 s13, exec_lo
	s_delay_alu instid0(VALU_DEP_2)
	v_cmpx_gt_u64_e32 0x43e00001, v[2:3]
	s_xor_b32 s45, exec_lo, s13
	s_cbranch_execz .LBB6_9210
; %bb.9201:                             ;   in Loop: Header=BB6_7947 Depth=3
	v_mov_b32_e32 v26, 0
	s_mov_b32 s74, exec_lo
	v_cmpx_ne_u32_e32 0, v0
	s_cbranch_execz .LBB6_9209
; %bb.9202:                             ;   in Loop: Header=BB6_7947 Depth=3
	v_bfe_u32 v26, v0, 23, 8
	v_and_b32_e32 v2, 0x7fffff, v0
	s_delay_alu instid0(VALU_DEP_2) | instskip(SKIP_2) | instid1(VALU_DEP_4)
	v_cmp_gt_u32_e64 s13, 0x7a, v26
	v_sub_nc_u32_e32 v0, 0x79, v26
	v_cmp_eq_u32_e32 vcc_lo, 0, v26
	v_or_b32_e32 v16, 0x800000, v2
	s_delay_alu instid0(VALU_DEP_1) | instskip(NEXT) | instid1(VALU_DEP_1)
	v_dual_cndmask_b32 v0, 0, v0, s13 :: v_dual_cndmask_b32 v2, v16, v2, vcc_lo
	v_cndmask_b32_e64 v0, v0, 0x78, vcc_lo
	s_delay_alu instid0(VALU_DEP_1) | instskip(NEXT) | instid1(VALU_DEP_1)
	v_dual_add_nc_u32 v16, 20, v0 :: v_dual_add_nc_u32 v20, 19, v0
	v_lshlrev_b64_e64 v[16:17], v16, -1
	s_delay_alu instid0(VALU_DEP_2) | instskip(NEXT) | instid1(VALU_DEP_2)
	v_lshlrev_b64_e64 v[20:21], v20, 1
	v_bfi_b32 v17, v17, 0, 0
	s_delay_alu instid0(VALU_DEP_3) | instskip(NEXT) | instid1(VALU_DEP_1)
	v_bfi_b32 v16, v16, 0, v2
	v_cmp_eq_u64_e64 s13, v[16:17], v[20:21]
	v_lshrrev_b64 v[16:17], v0, v[2:3]
	s_delay_alu instid0(VALU_DEP_1)
	v_mov_b64_e32 v[20:21], v[16:17]
	s_and_saveexec_b32 s75, s13
; %bb.9203:                             ;   in Loop: Header=BB6_7947 Depth=3
	v_bfe_u32 v2, v16, 20, 1
	s_delay_alu instid0(VALU_DEP_1) | instskip(NEXT) | instid1(VALU_DEP_1)
	v_add_nc_u64_e32 v[20:21], v[16:17], v[2:3]
	v_add_nc_u64_e32 v[20:21], -1, v[20:21]
; %bb.9204:                             ;   in Loop: Header=BB6_7947 Depth=3
	s_or_b32 exec_lo, exec_lo, s75
	v_add_nc_u32_e32 v2, 0xffffff81, v26
	v_lshrrev_b32_e32 v17, 23, v16
	s_mov_b32 s13, exec_lo
	s_delay_alu instid0(VALU_DEP_2) | instskip(NEXT) | instid1(VALU_DEP_1)
	v_cndmask_b32_e64 v2, v2, 0xffffff82, vcc_lo
	v_add3_u32 v21, v0, v2, v17
	v_and_b32_e32 v0, 0xfffff, v20
	s_delay_alu instid0(VALU_DEP_1) | instskip(NEXT) | instid1(VALU_DEP_1)
	v_dual_add_nc_u32 v20, 6, v21 :: v_dual_add_nc_u32 v2, v0, v16
                                        ; implicit-def: $vgpr16_vgpr17
                                        ; implicit-def: $vgpr0
	v_cmpx_ne_u32_e32 0, v20
	s_xor_b32 s13, exec_lo, s13
; %bb.9205:                             ;   in Loop: Header=BB6_7947 Depth=3
	s_delay_alu instid0(VALU_DEP_2) | instskip(SKIP_2) | instid1(VALU_DEP_2)
	v_cmp_lt_u64_e32 vcc_lo, 0xffffff, v[2:3]
	v_add_nc_u32_e32 v0, 7, v21
	v_cndmask_b32_e64 v16, 0, 1, vcc_lo
	v_cndmask_b32_e32 v0, v20, v0, vcc_lo
	s_delay_alu instid0(VALU_DEP_2)
	v_lshrrev_b64 v[16:17], v16, v[2:3]
; %bb.9206:                             ;   in Loop: Header=BB6_7947 Depth=3
	s_and_not1_saveexec_b32 s13, s13
; %bb.9207:                             ;   in Loop: Header=BB6_7947 Depth=3
	v_mov_b64_e32 v[16:17], v[2:3]
	v_bfe_u32 v0, v2, 23, 1
; %bb.9208:                             ;   in Loop: Header=BB6_7947 Depth=3
	s_or_b32 exec_lo, exec_lo, s13
	s_delay_alu instid0(VALU_DEP_2) | instskip(NEXT) | instid1(VALU_DEP_2)
	v_lshrrev_b64 v[16:17], 20, v[16:17]
	v_cmp_gt_i32_e32 vcc_lo, 16, v0
	v_min_i32_e32 v2, 15, v0
	v_cmp_eq_u32_e64 s13, 0, v0
	s_delay_alu instid0(VALU_DEP_2) | instskip(SKIP_1) | instid1(VALU_DEP_2)
	v_dual_cndmask_b32 v17, 0, v17 :: v_dual_lshlrev_b32 v2, 3, v2
	v_cndmask_b32_e32 v16, 7, v16, vcc_lo
	v_and_b32_e32 v2, 0xf8, v2
	s_delay_alu instid0(VALU_DEP_2) | instskip(NEXT) | instid1(VALU_DEP_2)
	v_cmp_eq_u64_e32 vcc_lo, 0, v[16:17]
	v_and_or_b32 v0, v16, 7, v2
	s_and_b32 s13, s13, vcc_lo
	s_delay_alu instid0(VALU_DEP_1) | instid1(SALU_CYCLE_1)
	v_cndmask_b32_e64 v0, v0, 0, s13
	s_delay_alu instid0(VALU_DEP_1)
	v_or_b32_e32 v26, v0, v27
.LBB6_9209:                             ;   in Loop: Header=BB6_7947 Depth=3
	s_or_b32 exec_lo, exec_lo, s74
                                        ; implicit-def: $vgpr27
.LBB6_9210:                             ;   in Loop: Header=BB6_7947 Depth=3
	s_and_not1_saveexec_b32 s13, s45
; %bb.9211:                             ;   in Loop: Header=BB6_7947 Depth=3
	v_or_b32_e32 v26, 0x7e, v27
; %bb.9212:                             ;   in Loop: Header=BB6_7947 Depth=3
	s_or_b32 exec_lo, exec_lo, s13
                                        ; implicit-def: $vgpr16
.LBB6_9213:                             ;   in Loop: Header=BB6_7947 Depth=3
	s_and_not1_saveexec_b32 s13, s44
; %bb.9214:                             ;   in Loop: Header=BB6_7947 Depth=3
	v_or_b32_e32 v26, 0x7f, v16
; %bb.9215:                             ;   in Loop: Header=BB6_7947 Depth=3
	s_or_b32 exec_lo, exec_lo, s13
	v_lshrrev_b16 v0, 8, v22
	v_dual_mov_b32 v20, 0 :: v_dual_mov_b32 v21, 0
	s_mov_b32 s13, exec_lo
	s_delay_alu instid0(VALU_DEP_2)
	v_cmpx_ne_u16_e32 0, v0
	s_cbranch_execz .LBB6_9223
; %bb.9216:                             ;   in Loop: Header=BB6_7947 Depth=3
	v_bfrev_b32_e32 v21, 1
	s_mov_b32 s44, exec_lo
	v_cmpx_ne_u16_e32 0x80, v0
	s_cbranch_execz .LBB6_9222
; %bb.9217:                             ;   in Loop: Header=BB6_7947 Depth=3
	v_and_b32_e32 v0, 0xffff, v0
	v_mov_b32_e32 v21, 0x7f800001
	s_mov_b32 s45, exec_lo
	s_delay_alu instid0(VALU_DEP_2) | instskip(NEXT) | instid1(VALU_DEP_1)
	v_and_b32_e32 v16, 0x7f, v0
	v_cmpx_ne_u32_e32 0x7f, v16
	s_cbranch_execz .LBB6_9221
; %bb.9218:                             ;   in Loop: Header=BB6_7947 Depth=3
	v_and_b32_e32 v2, 7, v0
	v_lshrrev_b32_e32 v0, 3, v16
	v_cmp_gt_u32_e32 vcc_lo, 8, v16
	s_delay_alu instid0(VALU_DEP_3)
	v_mov_b64_e32 v[16:17], v[2:3]
	s_and_saveexec_b32 s74, vcc_lo
; %bb.9219:                             ;   in Loop: Header=BB6_7947 Depth=3
	v_clz_i32_u32_e32 v0, v2
	s_delay_alu instid0(VALU_DEP_1) | instskip(NEXT) | instid1(VALU_DEP_1)
	v_min_u32_e32 v0, 32, v0
	v_subrev_nc_u32_e32 v16, 28, v0
	v_sub_nc_u32_e32 v0, 29, v0
	s_delay_alu instid0(VALU_DEP_2) | instskip(NEXT) | instid1(VALU_DEP_1)
	v_lshlrev_b64_e32 v[16:17], v16, v[2:3]
	v_and_b32_e32 v16, 7, v16
; %bb.9220:                             ;   in Loop: Header=BB6_7947 Depth=3
	s_or_b32 exec_lo, exec_lo, s74
	s_delay_alu instid0(VALU_DEP_1) | instskip(SKIP_1) | instid1(VALU_DEP_2)
	v_dual_lshlrev_b32 v2, 16, v22 :: v_dual_lshlrev_b32 v16, 20, v16
	v_lshl_add_u32 v0, v0, 23, 0x3c000000
	v_and_b32_e32 v2, 0x80000000, v2
	s_delay_alu instid0(VALU_DEP_1)
	v_or3_b32 v21, v16, v2, v0
.LBB6_9221:                             ;   in Loop: Header=BB6_7947 Depth=3
	s_or_b32 exec_lo, exec_lo, s45
.LBB6_9222:                             ;   in Loop: Header=BB6_7947 Depth=3
	s_delay_alu instid0(SALU_CYCLE_1)
	s_or_b32 exec_lo, exec_lo, s44
.LBB6_9223:                             ;   in Loop: Header=BB6_7947 Depth=3
	s_delay_alu instid0(SALU_CYCLE_1) | instskip(SKIP_2) | instid1(VALU_DEP_1)
	s_or_b32 exec_lo, exec_lo, s13
	v_lshrrev_b16 v0, 8, v18
	s_mov_b32 s13, exec_lo
	v_cmpx_ne_u16_e32 0, v0
	s_cbranch_execz .LBB6_9231
; %bb.9224:                             ;   in Loop: Header=BB6_7947 Depth=3
	v_bfrev_b32_e32 v20, 1
	s_mov_b32 s44, exec_lo
	v_cmpx_ne_u16_e32 0x80, v0
	s_cbranch_execz .LBB6_9230
; %bb.9225:                             ;   in Loop: Header=BB6_7947 Depth=3
	v_and_b32_e32 v0, 0xffff, v0
	v_mov_b32_e32 v20, 0x7f800001
	s_mov_b32 s45, exec_lo
	s_delay_alu instid0(VALU_DEP_2) | instskip(NEXT) | instid1(VALU_DEP_1)
	v_and_b32_e32 v16, 0x7f, v0
	v_cmpx_ne_u32_e32 0x7f, v16
	s_cbranch_execz .LBB6_9229
; %bb.9226:                             ;   in Loop: Header=BB6_7947 Depth=3
	v_and_b32_e32 v2, 7, v0
	v_lshrrev_b32_e32 v0, 3, v16
	v_cmp_gt_u32_e32 vcc_lo, 8, v16
	s_delay_alu instid0(VALU_DEP_3)
	v_mov_b64_e32 v[16:17], v[2:3]
	s_and_saveexec_b32 s74, vcc_lo
; %bb.9227:                             ;   in Loop: Header=BB6_7947 Depth=3
	v_clz_i32_u32_e32 v0, v2
	s_delay_alu instid0(VALU_DEP_1) | instskip(NEXT) | instid1(VALU_DEP_1)
	v_min_u32_e32 v0, 32, v0
	v_subrev_nc_u32_e32 v16, 28, v0
	v_sub_nc_u32_e32 v0, 29, v0
	s_delay_alu instid0(VALU_DEP_2) | instskip(NEXT) | instid1(VALU_DEP_1)
	v_lshlrev_b64_e32 v[16:17], v16, v[2:3]
	v_and_b32_e32 v16, 7, v16
; %bb.9228:                             ;   in Loop: Header=BB6_7947 Depth=3
	s_or_b32 exec_lo, exec_lo, s74
	s_delay_alu instid0(VALU_DEP_1) | instskip(SKIP_1) | instid1(VALU_DEP_2)
	v_dual_lshlrev_b32 v2, 16, v18 :: v_dual_lshlrev_b32 v16, 20, v16
	v_lshl_add_u32 v0, v0, 23, 0x3c000000
	v_and_b32_e32 v2, 0x80000000, v2
	s_delay_alu instid0(VALU_DEP_1)
	v_or3_b32 v20, v16, v2, v0
.LBB6_9229:                             ;   in Loop: Header=BB6_7947 Depth=3
	s_or_b32 exec_lo, exec_lo, s45
.LBB6_9230:                             ;   in Loop: Header=BB6_7947 Depth=3
	s_delay_alu instid0(SALU_CYCLE_1)
	s_or_b32 exec_lo, exec_lo, s44
.LBB6_9231:                             ;   in Loop: Header=BB6_7947 Depth=3
	s_delay_alu instid0(SALU_CYCLE_1) | instskip(NEXT) | instid1(VALU_DEP_1)
	s_or_b32 exec_lo, exec_lo, s13
	v_add_f32_e32 v0, v21, v20
                                        ; implicit-def: $vgpr27
	s_mov_b32 s13, exec_lo
	s_delay_alu instid0(VALU_DEP_1) | instskip(SKIP_1) | instid1(VALU_DEP_2)
	v_and_b32_e32 v2, 0x7f800000, v0
	v_lshrrev_b32_e32 v16, 24, v0
	v_cmpx_ne_u64_e32 0x7f800000, v[2:3]
	s_xor_b32 s44, exec_lo, s13
	s_cbranch_execz .LBB6_9245
; %bb.9232:                             ;   in Loop: Header=BB6_7947 Depth=3
	v_and_b32_e32 v2, 0x7fffffff, v0
	v_and_b32_e32 v66, 0x80, v16
                                        ; implicit-def: $vgpr27
	s_mov_b32 s13, exec_lo
	s_delay_alu instid0(VALU_DEP_2)
	v_cmpx_gt_u64_e32 0x43e00001, v[2:3]
	s_xor_b32 s45, exec_lo, s13
	s_cbranch_execz .LBB6_9242
; %bb.9233:                             ;   in Loop: Header=BB6_7947 Depth=3
	v_mov_b32_e32 v27, 0
	s_mov_b32 s74, exec_lo
	v_cmpx_ne_u32_e32 0, v0
	s_cbranch_execz .LBB6_9241
; %bb.9234:                             ;   in Loop: Header=BB6_7947 Depth=3
	v_bfe_u32 v27, v0, 23, 8
	v_and_b32_e32 v2, 0x7fffff, v0
	s_delay_alu instid0(VALU_DEP_2) | instskip(SKIP_2) | instid1(VALU_DEP_4)
	v_cmp_gt_u32_e64 s13, 0x7a, v27
	v_sub_nc_u32_e32 v0, 0x79, v27
	v_cmp_eq_u32_e32 vcc_lo, 0, v27
	v_or_b32_e32 v16, 0x800000, v2
	s_delay_alu instid0(VALU_DEP_1) | instskip(NEXT) | instid1(VALU_DEP_1)
	v_dual_cndmask_b32 v0, 0, v0, s13 :: v_dual_cndmask_b32 v2, v16, v2, vcc_lo
	v_cndmask_b32_e64 v0, v0, 0x78, vcc_lo
	s_delay_alu instid0(VALU_DEP_1) | instskip(NEXT) | instid1(VALU_DEP_1)
	v_dual_add_nc_u32 v16, 20, v0 :: v_dual_add_nc_u32 v20, 19, v0
	v_lshlrev_b64_e64 v[16:17], v16, -1
	s_delay_alu instid0(VALU_DEP_2) | instskip(NEXT) | instid1(VALU_DEP_2)
	v_lshlrev_b64_e64 v[20:21], v20, 1
	v_bfi_b32 v17, v17, 0, 0
	s_delay_alu instid0(VALU_DEP_3) | instskip(NEXT) | instid1(VALU_DEP_1)
	v_bfi_b32 v16, v16, 0, v2
	v_cmp_eq_u64_e64 s13, v[16:17], v[20:21]
	v_lshrrev_b64 v[16:17], v0, v[2:3]
	s_delay_alu instid0(VALU_DEP_1)
	v_mov_b64_e32 v[20:21], v[16:17]
	s_and_saveexec_b32 s75, s13
; %bb.9235:                             ;   in Loop: Header=BB6_7947 Depth=3
	v_bfe_u32 v2, v16, 20, 1
	s_delay_alu instid0(VALU_DEP_1) | instskip(NEXT) | instid1(VALU_DEP_1)
	v_add_nc_u64_e32 v[20:21], v[16:17], v[2:3]
	v_add_nc_u64_e32 v[20:21], -1, v[20:21]
; %bb.9236:                             ;   in Loop: Header=BB6_7947 Depth=3
	s_or_b32 exec_lo, exec_lo, s75
	v_add_nc_u32_e32 v2, 0xffffff81, v27
	v_lshrrev_b32_e32 v17, 23, v16
	s_mov_b32 s13, exec_lo
	s_delay_alu instid0(VALU_DEP_2) | instskip(NEXT) | instid1(VALU_DEP_1)
	v_cndmask_b32_e64 v2, v2, 0xffffff82, vcc_lo
	v_add3_u32 v21, v0, v2, v17
	v_and_b32_e32 v0, 0xfffff, v20
	s_delay_alu instid0(VALU_DEP_1) | instskip(NEXT) | instid1(VALU_DEP_1)
	v_dual_add_nc_u32 v20, 6, v21 :: v_dual_add_nc_u32 v2, v0, v16
                                        ; implicit-def: $vgpr16_vgpr17
                                        ; implicit-def: $vgpr0
	v_cmpx_ne_u32_e32 0, v20
	s_xor_b32 s13, exec_lo, s13
; %bb.9237:                             ;   in Loop: Header=BB6_7947 Depth=3
	s_delay_alu instid0(VALU_DEP_2) | instskip(SKIP_2) | instid1(VALU_DEP_2)
	v_cmp_lt_u64_e32 vcc_lo, 0xffffff, v[2:3]
	v_add_nc_u32_e32 v0, 7, v21
	v_cndmask_b32_e64 v16, 0, 1, vcc_lo
	v_cndmask_b32_e32 v0, v20, v0, vcc_lo
	s_delay_alu instid0(VALU_DEP_2)
	v_lshrrev_b64 v[16:17], v16, v[2:3]
; %bb.9238:                             ;   in Loop: Header=BB6_7947 Depth=3
	s_and_not1_saveexec_b32 s13, s13
; %bb.9239:                             ;   in Loop: Header=BB6_7947 Depth=3
	v_mov_b64_e32 v[16:17], v[2:3]
	v_bfe_u32 v0, v2, 23, 1
; %bb.9240:                             ;   in Loop: Header=BB6_7947 Depth=3
	s_or_b32 exec_lo, exec_lo, s13
	s_delay_alu instid0(VALU_DEP_2) | instskip(NEXT) | instid1(VALU_DEP_2)
	v_lshrrev_b64 v[16:17], 20, v[16:17]
	v_cmp_gt_i32_e32 vcc_lo, 16, v0
	v_min_i32_e32 v2, 15, v0
	v_cmp_eq_u32_e64 s13, 0, v0
	s_delay_alu instid0(VALU_DEP_2) | instskip(SKIP_1) | instid1(VALU_DEP_2)
	v_dual_cndmask_b32 v17, 0, v17 :: v_dual_lshlrev_b32 v2, 3, v2
	v_cndmask_b32_e32 v16, 7, v16, vcc_lo
	v_and_b32_e32 v2, 0xf8, v2
	s_delay_alu instid0(VALU_DEP_2) | instskip(NEXT) | instid1(VALU_DEP_2)
	v_cmp_eq_u64_e32 vcc_lo, 0, v[16:17]
	v_and_or_b32 v0, v16, 7, v2
	s_and_b32 s13, s13, vcc_lo
	s_delay_alu instid0(VALU_DEP_1) | instid1(SALU_CYCLE_1)
	v_cndmask_b32_e64 v0, v0, 0, s13
	s_delay_alu instid0(VALU_DEP_1)
	v_or_b32_e32 v27, v0, v66
.LBB6_9241:                             ;   in Loop: Header=BB6_7947 Depth=3
	s_or_b32 exec_lo, exec_lo, s74
                                        ; implicit-def: $vgpr66
.LBB6_9242:                             ;   in Loop: Header=BB6_7947 Depth=3
	s_and_not1_saveexec_b32 s13, s45
; %bb.9243:                             ;   in Loop: Header=BB6_7947 Depth=3
	v_or_b32_e32 v27, 0x7e, v66
; %bb.9244:                             ;   in Loop: Header=BB6_7947 Depth=3
	s_or_b32 exec_lo, exec_lo, s13
                                        ; implicit-def: $vgpr16
.LBB6_9245:                             ;   in Loop: Header=BB6_7947 Depth=3
	s_and_not1_saveexec_b32 s13, s44
; %bb.9246:                             ;   in Loop: Header=BB6_7947 Depth=3
	v_or_b32_e32 v27, 0x7f, v16
; %bb.9247:                             ;   in Loop: Header=BB6_7947 Depth=3
	s_or_b32 exec_lo, exec_lo, s13
	v_dual_lshrrev_b32 v0, 16, v22 :: v_dual_mov_b32 v20, 0
	v_mov_b32_e32 v21, 0
	s_mov_b32 s13, exec_lo
	s_delay_alu instid0(VALU_DEP_2) | instskip(NEXT) | instid1(VALU_DEP_1)
	v_and_b32_e32 v2, 0xff, v0
	v_cmpx_ne_u16_e32 0, v2
	s_cbranch_execz .LBB6_9255
; %bb.9248:                             ;   in Loop: Header=BB6_7947 Depth=3
	v_bfrev_b32_e32 v21, 1
	s_mov_b32 s44, exec_lo
	v_cmpx_ne_u16_e32 0x80, v2
	s_cbranch_execz .LBB6_9254
; %bb.9249:                             ;   in Loop: Header=BB6_7947 Depth=3
	v_bfe_u32 v16, v22, 16, 7
	v_mov_b32_e32 v21, 0x7f800001
	s_mov_b32 s45, exec_lo
	s_delay_alu instid0(VALU_DEP_2)
	v_cmpx_ne_u32_e32 0x7f, v16
	s_cbranch_execz .LBB6_9253
; %bb.9250:                             ;   in Loop: Header=BB6_7947 Depth=3
	v_and_b32_e32 v2, 7, v0
	v_lshrrev_b32_e32 v21, 3, v16
	v_cmp_gt_u32_e32 vcc_lo, 8, v16
	s_delay_alu instid0(VALU_DEP_3)
	v_mov_b64_e32 v[16:17], v[2:3]
	s_and_saveexec_b32 s74, vcc_lo
; %bb.9251:                             ;   in Loop: Header=BB6_7947 Depth=3
	v_clz_i32_u32_e32 v16, v2
	s_delay_alu instid0(VALU_DEP_1) | instskip(NEXT) | instid1(VALU_DEP_1)
	v_min_u32_e32 v21, 32, v16
	v_subrev_nc_u32_e32 v16, 28, v21
	s_delay_alu instid0(VALU_DEP_1) | instskip(NEXT) | instid1(VALU_DEP_1)
	v_lshlrev_b64_e32 v[16:17], v16, v[2:3]
	v_dual_sub_nc_u32 v21, 29, v21 :: v_dual_bitop2_b32 v16, 7, v16 bitop3:0x40
; %bb.9252:                             ;   in Loop: Header=BB6_7947 Depth=3
	s_or_b32 exec_lo, exec_lo, s74
	v_lshlrev_b32_e32 v0, 24, v0
	s_delay_alu instid0(VALU_DEP_2) | instskip(NEXT) | instid1(VALU_DEP_3)
	v_lshlrev_b32_e32 v2, 20, v16
	v_lshl_add_u32 v16, v21, 23, 0x3c000000
	s_delay_alu instid0(VALU_DEP_3) | instskip(NEXT) | instid1(VALU_DEP_1)
	v_and_b32_e32 v0, 0x80000000, v0
	v_or3_b32 v21, v2, v0, v16
.LBB6_9253:                             ;   in Loop: Header=BB6_7947 Depth=3
	s_or_b32 exec_lo, exec_lo, s45
.LBB6_9254:                             ;   in Loop: Header=BB6_7947 Depth=3
	s_delay_alu instid0(SALU_CYCLE_1)
	s_or_b32 exec_lo, exec_lo, s44
.LBB6_9255:                             ;   in Loop: Header=BB6_7947 Depth=3
	s_delay_alu instid0(SALU_CYCLE_1) | instskip(SKIP_2) | instid1(VALU_DEP_1)
	s_or_b32 exec_lo, exec_lo, s13
	v_lshrrev_b32_e32 v0, 16, v18
	s_mov_b32 s13, exec_lo
	v_and_b32_e32 v2, 0xff, v0
	s_delay_alu instid0(VALU_DEP_1)
	v_cmpx_ne_u16_e32 0, v2
	s_cbranch_execz .LBB6_9263
; %bb.9256:                             ;   in Loop: Header=BB6_7947 Depth=3
	v_bfrev_b32_e32 v20, 1
	s_mov_b32 s44, exec_lo
	v_cmpx_ne_u16_e32 0x80, v2
	s_cbranch_execz .LBB6_9262
; %bb.9257:                             ;   in Loop: Header=BB6_7947 Depth=3
	v_bfe_u32 v16, v18, 16, 7
	v_mov_b32_e32 v20, 0x7f800001
	s_mov_b32 s45, exec_lo
	s_delay_alu instid0(VALU_DEP_2)
	v_cmpx_ne_u32_e32 0x7f, v16
	s_cbranch_execz .LBB6_9261
; %bb.9258:                             ;   in Loop: Header=BB6_7947 Depth=3
	v_and_b32_e32 v2, 7, v0
	v_lshrrev_b32_e32 v0, 3, v16
	v_cmp_gt_u32_e32 vcc_lo, 8, v16
	s_delay_alu instid0(VALU_DEP_3)
	v_mov_b64_e32 v[16:17], v[2:3]
	s_and_saveexec_b32 s74, vcc_lo
; %bb.9259:                             ;   in Loop: Header=BB6_7947 Depth=3
	v_clz_i32_u32_e32 v0, v2
	s_delay_alu instid0(VALU_DEP_1) | instskip(NEXT) | instid1(VALU_DEP_1)
	v_min_u32_e32 v0, 32, v0
	v_subrev_nc_u32_e32 v16, 28, v0
	v_sub_nc_u32_e32 v0, 29, v0
	s_delay_alu instid0(VALU_DEP_2) | instskip(NEXT) | instid1(VALU_DEP_1)
	v_lshlrev_b64_e32 v[16:17], v16, v[2:3]
	v_and_b32_e32 v16, 7, v16
; %bb.9260:                             ;   in Loop: Header=BB6_7947 Depth=3
	s_or_b32 exec_lo, exec_lo, s74
	s_delay_alu instid0(VALU_DEP_1) | instskip(SKIP_1) | instid1(VALU_DEP_2)
	v_dual_lshlrev_b32 v2, 8, v18 :: v_dual_lshlrev_b32 v16, 20, v16
	v_lshl_add_u32 v0, v0, 23, 0x3c000000
	v_and_b32_e32 v2, 0x80000000, v2
	s_delay_alu instid0(VALU_DEP_1)
	v_or3_b32 v20, v16, v2, v0
.LBB6_9261:                             ;   in Loop: Header=BB6_7947 Depth=3
	s_or_b32 exec_lo, exec_lo, s45
.LBB6_9262:                             ;   in Loop: Header=BB6_7947 Depth=3
	s_delay_alu instid0(SALU_CYCLE_1)
	s_or_b32 exec_lo, exec_lo, s44
.LBB6_9263:                             ;   in Loop: Header=BB6_7947 Depth=3
	s_delay_alu instid0(SALU_CYCLE_1) | instskip(NEXT) | instid1(VALU_DEP_1)
	s_or_b32 exec_lo, exec_lo, s13
	v_add_f32_e32 v0, v21, v20
                                        ; implicit-def: $vgpr59
	s_mov_b32 s13, exec_lo
	s_delay_alu instid0(VALU_DEP_1) | instskip(SKIP_1) | instid1(VALU_DEP_2)
	v_and_b32_e32 v2, 0x7f800000, v0
	v_lshrrev_b32_e32 v16, 24, v0
	v_cmpx_ne_u64_e32 0x7f800000, v[2:3]
	s_xor_b32 s44, exec_lo, s13
	s_cbranch_execz .LBB6_9277
; %bb.9264:                             ;   in Loop: Header=BB6_7947 Depth=3
	v_and_b32_e32 v2, 0x7fffffff, v0
	v_and_b32_e32 v66, 0x80, v16
                                        ; implicit-def: $vgpr59
	s_mov_b32 s13, exec_lo
	s_delay_alu instid0(VALU_DEP_2)
	v_cmpx_gt_u64_e32 0x43e00001, v[2:3]
	s_xor_b32 s45, exec_lo, s13
	s_cbranch_execz .LBB6_9274
; %bb.9265:                             ;   in Loop: Header=BB6_7947 Depth=3
	v_mov_b32_e32 v59, 0
	s_mov_b32 s74, exec_lo
	v_cmpx_ne_u32_e32 0, v0
	s_cbranch_execz .LBB6_9273
; %bb.9266:                             ;   in Loop: Header=BB6_7947 Depth=3
	v_bfe_u32 v67, v0, 23, 8
	v_and_b32_e32 v2, 0x7fffff, v0
	s_delay_alu instid0(VALU_DEP_2) | instskip(SKIP_2) | instid1(VALU_DEP_4)
	v_cmp_gt_u32_e64 s13, 0x7a, v67
	v_sub_nc_u32_e32 v0, 0x79, v67
	v_cmp_eq_u32_e32 vcc_lo, 0, v67
	v_or_b32_e32 v16, 0x800000, v2
	s_delay_alu instid0(VALU_DEP_1) | instskip(NEXT) | instid1(VALU_DEP_1)
	v_dual_cndmask_b32 v0, 0, v0, s13 :: v_dual_cndmask_b32 v2, v16, v2, vcc_lo
	v_cndmask_b32_e64 v0, v0, 0x78, vcc_lo
	s_delay_alu instid0(VALU_DEP_1) | instskip(NEXT) | instid1(VALU_DEP_1)
	v_dual_add_nc_u32 v16, 20, v0 :: v_dual_add_nc_u32 v20, 19, v0
	v_lshlrev_b64_e64 v[16:17], v16, -1
	s_delay_alu instid0(VALU_DEP_2) | instskip(NEXT) | instid1(VALU_DEP_2)
	v_lshlrev_b64_e64 v[20:21], v20, 1
	v_bfi_b32 v17, v17, 0, 0
	s_delay_alu instid0(VALU_DEP_3) | instskip(NEXT) | instid1(VALU_DEP_1)
	v_bfi_b32 v16, v16, 0, v2
	v_cmp_eq_u64_e64 s13, v[16:17], v[20:21]
	v_lshrrev_b64 v[16:17], v0, v[2:3]
	s_delay_alu instid0(VALU_DEP_1)
	v_mov_b64_e32 v[20:21], v[16:17]
	s_and_saveexec_b32 s75, s13
; %bb.9267:                             ;   in Loop: Header=BB6_7947 Depth=3
	v_bfe_u32 v2, v16, 20, 1
	s_delay_alu instid0(VALU_DEP_1) | instskip(NEXT) | instid1(VALU_DEP_1)
	v_add_nc_u64_e32 v[20:21], v[16:17], v[2:3]
	v_add_nc_u64_e32 v[20:21], -1, v[20:21]
; %bb.9268:                             ;   in Loop: Header=BB6_7947 Depth=3
	s_or_b32 exec_lo, exec_lo, s75
	v_add_nc_u32_e32 v2, 0xffffff81, v67
	v_lshrrev_b32_e32 v17, 23, v16
	s_mov_b32 s13, exec_lo
	s_delay_alu instid0(VALU_DEP_2) | instskip(NEXT) | instid1(VALU_DEP_1)
	v_cndmask_b32_e64 v2, v2, 0xffffff82, vcc_lo
	v_add3_u32 v21, v0, v2, v17
	v_and_b32_e32 v0, 0xfffff, v20
	s_delay_alu instid0(VALU_DEP_1) | instskip(NEXT) | instid1(VALU_DEP_1)
	v_dual_add_nc_u32 v20, 6, v21 :: v_dual_add_nc_u32 v2, v0, v16
                                        ; implicit-def: $vgpr16_vgpr17
                                        ; implicit-def: $vgpr0
	v_cmpx_ne_u32_e32 0, v20
	s_xor_b32 s13, exec_lo, s13
; %bb.9269:                             ;   in Loop: Header=BB6_7947 Depth=3
	s_delay_alu instid0(VALU_DEP_2) | instskip(SKIP_2) | instid1(VALU_DEP_2)
	v_cmp_lt_u64_e32 vcc_lo, 0xffffff, v[2:3]
	v_add_nc_u32_e32 v0, 7, v21
	v_cndmask_b32_e64 v16, 0, 1, vcc_lo
	v_cndmask_b32_e32 v0, v20, v0, vcc_lo
	s_delay_alu instid0(VALU_DEP_2)
	v_lshrrev_b64 v[16:17], v16, v[2:3]
; %bb.9270:                             ;   in Loop: Header=BB6_7947 Depth=3
	s_and_not1_saveexec_b32 s13, s13
; %bb.9271:                             ;   in Loop: Header=BB6_7947 Depth=3
	v_mov_b64_e32 v[16:17], v[2:3]
	v_bfe_u32 v0, v2, 23, 1
; %bb.9272:                             ;   in Loop: Header=BB6_7947 Depth=3
	s_or_b32 exec_lo, exec_lo, s13
	s_delay_alu instid0(VALU_DEP_2) | instskip(NEXT) | instid1(VALU_DEP_2)
	v_lshrrev_b64 v[16:17], 20, v[16:17]
	v_cmp_gt_i32_e32 vcc_lo, 16, v0
	v_min_i32_e32 v2, 15, v0
	v_cmp_eq_u32_e64 s13, 0, v0
	s_delay_alu instid0(VALU_DEP_2) | instskip(SKIP_1) | instid1(VALU_DEP_2)
	v_dual_cndmask_b32 v17, 0, v17 :: v_dual_lshlrev_b32 v2, 3, v2
	v_cndmask_b32_e32 v16, 7, v16, vcc_lo
	v_and_b32_e32 v2, 0xf8, v2
	s_delay_alu instid0(VALU_DEP_2) | instskip(NEXT) | instid1(VALU_DEP_2)
	v_cmp_eq_u64_e32 vcc_lo, 0, v[16:17]
	v_and_or_b32 v0, v16, 7, v2
	s_and_b32 s13, s13, vcc_lo
	s_delay_alu instid0(VALU_DEP_1) | instid1(SALU_CYCLE_1)
	v_cndmask_b32_e64 v0, v0, 0, s13
	s_delay_alu instid0(VALU_DEP_1)
	v_or_b32_e32 v59, v0, v66
.LBB6_9273:                             ;   in Loop: Header=BB6_7947 Depth=3
	s_or_b32 exec_lo, exec_lo, s74
                                        ; implicit-def: $vgpr66
.LBB6_9274:                             ;   in Loop: Header=BB6_7947 Depth=3
	s_and_not1_saveexec_b32 s13, s45
; %bb.9275:                             ;   in Loop: Header=BB6_7947 Depth=3
	v_or_b32_e32 v59, 0x7e, v66
; %bb.9276:                             ;   in Loop: Header=BB6_7947 Depth=3
	s_or_b32 exec_lo, exec_lo, s13
                                        ; implicit-def: $vgpr16
.LBB6_9277:                             ;   in Loop: Header=BB6_7947 Depth=3
	s_and_not1_saveexec_b32 s13, s44
; %bb.9278:                             ;   in Loop: Header=BB6_7947 Depth=3
	v_or_b32_e32 v59, 0x7f, v16
; %bb.9279:                             ;   in Loop: Header=BB6_7947 Depth=3
	s_or_b32 exec_lo, exec_lo, s13
	v_dual_mov_b32 v20, 0 :: v_dual_mov_b32 v21, 0
	s_mov_b32 s13, exec_lo
	v_cmpx_lt_u32_e32 0xffffff, v22
	s_cbranch_execz .LBB6_9287
; %bb.9280:                             ;   in Loop: Header=BB6_7947 Depth=3
	v_lshrrev_b32_e32 v0, 24, v22
	v_bfrev_b32_e32 v21, 1
	s_mov_b32 s44, exec_lo
	s_delay_alu instid0(VALU_DEP_2)
	v_cmpx_ne_u32_e32 0x80, v0
	s_cbranch_execz .LBB6_9286
; %bb.9281:                             ;   in Loop: Header=BB6_7947 Depth=3
	v_bfe_u32 v16, v22, 24, 7
	v_mov_b32_e32 v21, 0x7f800001
	s_mov_b32 s45, exec_lo
	s_delay_alu instid0(VALU_DEP_2)
	v_cmpx_ne_u32_e32 0x7f, v16
	s_cbranch_execz .LBB6_9285
; %bb.9282:                             ;   in Loop: Header=BB6_7947 Depth=3
	v_and_b32_e32 v2, 7, v0
	v_lshrrev_b32_e32 v21, 3, v16
	v_cmp_gt_u32_e32 vcc_lo, 8, v16
	s_delay_alu instid0(VALU_DEP_3)
	v_mov_b64_e32 v[16:17], v[2:3]
	s_and_saveexec_b32 s74, vcc_lo
; %bb.9283:                             ;   in Loop: Header=BB6_7947 Depth=3
	v_clz_i32_u32_e32 v16, v2
	s_delay_alu instid0(VALU_DEP_1) | instskip(NEXT) | instid1(VALU_DEP_1)
	v_min_u32_e32 v21, 32, v16
	v_subrev_nc_u32_e32 v16, 28, v21
	s_delay_alu instid0(VALU_DEP_1) | instskip(NEXT) | instid1(VALU_DEP_1)
	v_lshlrev_b64_e32 v[16:17], v16, v[2:3]
	v_dual_sub_nc_u32 v21, 29, v21 :: v_dual_bitop2_b32 v16, 7, v16 bitop3:0x40
; %bb.9284:                             ;   in Loop: Header=BB6_7947 Depth=3
	s_or_b32 exec_lo, exec_lo, s74
	v_lshlrev_b32_e32 v0, 24, v0
	s_delay_alu instid0(VALU_DEP_2) | instskip(NEXT) | instid1(VALU_DEP_3)
	v_lshlrev_b32_e32 v2, 20, v16
	v_lshl_add_u32 v16, v21, 23, 0x3c000000
	s_delay_alu instid0(VALU_DEP_3) | instskip(NEXT) | instid1(VALU_DEP_1)
	v_and_b32_e32 v0, 0x80000000, v0
	v_or3_b32 v21, v2, v0, v16
.LBB6_9285:                             ;   in Loop: Header=BB6_7947 Depth=3
	s_or_b32 exec_lo, exec_lo, s45
.LBB6_9286:                             ;   in Loop: Header=BB6_7947 Depth=3
	s_delay_alu instid0(SALU_CYCLE_1)
	s_or_b32 exec_lo, exec_lo, s44
.LBB6_9287:                             ;   in Loop: Header=BB6_7947 Depth=3
	s_delay_alu instid0(SALU_CYCLE_1) | instskip(NEXT) | instid1(SALU_CYCLE_1)
	s_or_b32 exec_lo, exec_lo, s13
	s_mov_b32 s13, exec_lo
	v_cmpx_lt_u32_e32 0xffffff, v18
	s_cbranch_execz .LBB6_9295
; %bb.9288:                             ;   in Loop: Header=BB6_7947 Depth=3
	v_lshrrev_b32_e32 v0, 24, v18
	v_bfrev_b32_e32 v20, 1
	s_mov_b32 s44, exec_lo
	s_delay_alu instid0(VALU_DEP_2)
	v_cmpx_ne_u32_e32 0x80, v0
	s_cbranch_execz .LBB6_9294
; %bb.9289:                             ;   in Loop: Header=BB6_7947 Depth=3
	v_bfe_u32 v16, v18, 24, 7
	v_mov_b32_e32 v20, 0x7f800001
	s_mov_b32 s45, exec_lo
	s_delay_alu instid0(VALU_DEP_2)
	v_cmpx_ne_u32_e32 0x7f, v16
	s_cbranch_execz .LBB6_9293
; %bb.9290:                             ;   in Loop: Header=BB6_7947 Depth=3
	v_and_b32_e32 v2, 7, v0
	v_lshrrev_b32_e32 v20, 3, v16
	v_cmp_gt_u32_e32 vcc_lo, 8, v16
	s_delay_alu instid0(VALU_DEP_3)
	v_mov_b64_e32 v[16:17], v[2:3]
	s_and_saveexec_b32 s74, vcc_lo
; %bb.9291:                             ;   in Loop: Header=BB6_7947 Depth=3
	v_clz_i32_u32_e32 v16, v2
	s_delay_alu instid0(VALU_DEP_1) | instskip(NEXT) | instid1(VALU_DEP_1)
	v_min_u32_e32 v20, 32, v16
	v_subrev_nc_u32_e32 v16, 28, v20
	v_sub_nc_u32_e32 v20, 29, v20
	s_delay_alu instid0(VALU_DEP_2) | instskip(NEXT) | instid1(VALU_DEP_1)
	v_lshlrev_b64_e32 v[16:17], v16, v[2:3]
	v_and_b32_e32 v16, 7, v16
; %bb.9292:                             ;   in Loop: Header=BB6_7947 Depth=3
	s_or_b32 exec_lo, exec_lo, s74
	v_lshlrev_b32_e32 v0, 24, v0
	s_delay_alu instid0(VALU_DEP_2) | instskip(SKIP_1) | instid1(VALU_DEP_3)
	v_lshlrev_b32_e32 v2, 20, v16
	v_lshl_add_u32 v16, v20, 23, 0x3c000000
	v_and_b32_e32 v0, 0x80000000, v0
	s_delay_alu instid0(VALU_DEP_1)
	v_or3_b32 v20, v2, v0, v16
.LBB6_9293:                             ;   in Loop: Header=BB6_7947 Depth=3
	s_or_b32 exec_lo, exec_lo, s45
.LBB6_9294:                             ;   in Loop: Header=BB6_7947 Depth=3
	s_delay_alu instid0(SALU_CYCLE_1)
	s_or_b32 exec_lo, exec_lo, s44
.LBB6_9295:                             ;   in Loop: Header=BB6_7947 Depth=3
	s_delay_alu instid0(SALU_CYCLE_1) | instskip(NEXT) | instid1(VALU_DEP_1)
	s_or_b32 exec_lo, exec_lo, s13
	v_add_f32_e32 v0, v21, v20
                                        ; implicit-def: $vgpr72
	s_mov_b32 s13, exec_lo
	s_delay_alu instid0(VALU_DEP_1) | instskip(SKIP_1) | instid1(VALU_DEP_2)
	v_and_b32_e32 v2, 0x7f800000, v0
	v_lshrrev_b32_e32 v16, 24, v0
	v_cmpx_ne_u64_e32 0x7f800000, v[2:3]
	s_xor_b32 s44, exec_lo, s13
	s_cbranch_execz .LBB6_9309
; %bb.9296:                             ;   in Loop: Header=BB6_7947 Depth=3
	v_and_b32_e32 v2, 0x7fffffff, v0
	v_and_b32_e32 v66, 0x80, v16
                                        ; implicit-def: $vgpr72
	s_mov_b32 s13, exec_lo
	s_delay_alu instid0(VALU_DEP_2)
	v_cmpx_gt_u64_e32 0x43e00001, v[2:3]
	s_xor_b32 s45, exec_lo, s13
	s_cbranch_execz .LBB6_9306
; %bb.9297:                             ;   in Loop: Header=BB6_7947 Depth=3
	v_mov_b32_e32 v72, 0
	s_mov_b32 s74, exec_lo
	v_cmpx_ne_u32_e32 0, v0
	s_cbranch_execz .LBB6_9305
; %bb.9298:                             ;   in Loop: Header=BB6_7947 Depth=3
	v_bfe_u32 v67, v0, 23, 8
	v_and_b32_e32 v2, 0x7fffff, v0
	s_delay_alu instid0(VALU_DEP_2) | instskip(SKIP_2) | instid1(VALU_DEP_4)
	v_cmp_gt_u32_e64 s13, 0x7a, v67
	v_sub_nc_u32_e32 v0, 0x79, v67
	v_cmp_eq_u32_e32 vcc_lo, 0, v67
	v_or_b32_e32 v16, 0x800000, v2
	s_delay_alu instid0(VALU_DEP_1) | instskip(NEXT) | instid1(VALU_DEP_1)
	v_dual_cndmask_b32 v0, 0, v0, s13 :: v_dual_cndmask_b32 v2, v16, v2, vcc_lo
	v_cndmask_b32_e64 v0, v0, 0x78, vcc_lo
	s_delay_alu instid0(VALU_DEP_1) | instskip(NEXT) | instid1(VALU_DEP_1)
	v_dual_add_nc_u32 v16, 20, v0 :: v_dual_add_nc_u32 v20, 19, v0
	v_lshlrev_b64_e64 v[16:17], v16, -1
	s_delay_alu instid0(VALU_DEP_2) | instskip(NEXT) | instid1(VALU_DEP_2)
	v_lshlrev_b64_e64 v[20:21], v20, 1
	v_bfi_b32 v17, v17, 0, 0
	s_delay_alu instid0(VALU_DEP_3) | instskip(NEXT) | instid1(VALU_DEP_1)
	v_bfi_b32 v16, v16, 0, v2
	v_cmp_eq_u64_e64 s13, v[16:17], v[20:21]
	v_lshrrev_b64 v[16:17], v0, v[2:3]
	s_delay_alu instid0(VALU_DEP_1)
	v_mov_b64_e32 v[20:21], v[16:17]
	s_and_saveexec_b32 s75, s13
; %bb.9299:                             ;   in Loop: Header=BB6_7947 Depth=3
	v_bfe_u32 v2, v16, 20, 1
	s_delay_alu instid0(VALU_DEP_1) | instskip(NEXT) | instid1(VALU_DEP_1)
	v_add_nc_u64_e32 v[20:21], v[16:17], v[2:3]
	v_add_nc_u64_e32 v[20:21], -1, v[20:21]
; %bb.9300:                             ;   in Loop: Header=BB6_7947 Depth=3
	s_or_b32 exec_lo, exec_lo, s75
	v_add_nc_u32_e32 v2, 0xffffff81, v67
	v_lshrrev_b32_e32 v17, 23, v16
	s_mov_b32 s13, exec_lo
	s_delay_alu instid0(VALU_DEP_2) | instskip(NEXT) | instid1(VALU_DEP_1)
	v_cndmask_b32_e64 v2, v2, 0xffffff82, vcc_lo
	v_add3_u32 v21, v0, v2, v17
	v_and_b32_e32 v0, 0xfffff, v20
	s_delay_alu instid0(VALU_DEP_1) | instskip(NEXT) | instid1(VALU_DEP_1)
	v_dual_add_nc_u32 v20, 6, v21 :: v_dual_add_nc_u32 v2, v0, v16
                                        ; implicit-def: $vgpr16_vgpr17
                                        ; implicit-def: $vgpr0
	v_cmpx_ne_u32_e32 0, v20
	s_xor_b32 s13, exec_lo, s13
; %bb.9301:                             ;   in Loop: Header=BB6_7947 Depth=3
	s_delay_alu instid0(VALU_DEP_2) | instskip(SKIP_2) | instid1(VALU_DEP_2)
	v_cmp_lt_u64_e32 vcc_lo, 0xffffff, v[2:3]
	v_add_nc_u32_e32 v0, 7, v21
	v_cndmask_b32_e64 v16, 0, 1, vcc_lo
	v_cndmask_b32_e32 v0, v20, v0, vcc_lo
	s_delay_alu instid0(VALU_DEP_2)
	v_lshrrev_b64 v[16:17], v16, v[2:3]
; %bb.9302:                             ;   in Loop: Header=BB6_7947 Depth=3
	s_and_not1_saveexec_b32 s13, s13
; %bb.9303:                             ;   in Loop: Header=BB6_7947 Depth=3
	v_mov_b64_e32 v[16:17], v[2:3]
	v_bfe_u32 v0, v2, 23, 1
; %bb.9304:                             ;   in Loop: Header=BB6_7947 Depth=3
	s_or_b32 exec_lo, exec_lo, s13
	s_delay_alu instid0(VALU_DEP_2) | instskip(NEXT) | instid1(VALU_DEP_2)
	v_lshrrev_b64 v[16:17], 20, v[16:17]
	v_cmp_gt_i32_e32 vcc_lo, 16, v0
	v_min_i32_e32 v2, 15, v0
	v_cmp_eq_u32_e64 s13, 0, v0
	s_delay_alu instid0(VALU_DEP_2) | instskip(SKIP_1) | instid1(VALU_DEP_2)
	v_dual_cndmask_b32 v17, 0, v17 :: v_dual_lshlrev_b32 v2, 3, v2
	v_cndmask_b32_e32 v16, 7, v16, vcc_lo
	v_and_b32_e32 v2, 0xf8, v2
	s_delay_alu instid0(VALU_DEP_2) | instskip(NEXT) | instid1(VALU_DEP_2)
	v_cmp_eq_u64_e32 vcc_lo, 0, v[16:17]
	v_and_or_b32 v0, v16, 7, v2
	s_and_b32 s13, s13, vcc_lo
	s_delay_alu instid0(VALU_DEP_1) | instid1(SALU_CYCLE_1)
	v_cndmask_b32_e64 v0, v0, 0, s13
	s_delay_alu instid0(VALU_DEP_1)
	v_or_b32_e32 v72, v0, v66
.LBB6_9305:                             ;   in Loop: Header=BB6_7947 Depth=3
	s_or_b32 exec_lo, exec_lo, s74
                                        ; implicit-def: $vgpr66
.LBB6_9306:                             ;   in Loop: Header=BB6_7947 Depth=3
	s_and_not1_saveexec_b32 s13, s45
; %bb.9307:                             ;   in Loop: Header=BB6_7947 Depth=3
	v_or_b32_e32 v72, 0x7e, v66
; %bb.9308:                             ;   in Loop: Header=BB6_7947 Depth=3
	s_or_b32 exec_lo, exec_lo, s13
                                        ; implicit-def: $vgpr16
.LBB6_9309:                             ;   in Loop: Header=BB6_7947 Depth=3
	s_and_not1_saveexec_b32 s13, s44
; %bb.9310:                             ;   in Loop: Header=BB6_7947 Depth=3
	v_or_b32_e32 v72, 0x7f, v16
; %bb.9311:                             ;   in Loop: Header=BB6_7947 Depth=3
	s_or_b32 exec_lo, exec_lo, s13
	v_and_b32_e32 v0, 0xff, v23
	v_dual_mov_b32 v2, v23 :: v_dual_mov_b32 v16, 0
	v_mov_b32_e32 v17, 0
	s_mov_b32 s13, exec_lo
	s_delay_alu instid0(VALU_DEP_3)
	v_cmpx_ne_u16_e32 0, v0
	s_cbranch_execz .LBB6_9317
; %bb.9312:                             ;   in Loop: Header=BB6_7947 Depth=3
	v_bfrev_b32_e32 v17, 1
	s_mov_b32 s44, exec_lo
	v_cmpx_ne_u16_e32 0x80, v0
	s_cbranch_execz .LBB6_9316
; %bb.9313:                             ;   in Loop: Header=BB6_7947 Depth=3
	v_and_b32_e32 v0, 0x7f, v23
	v_mov_b32_e32 v17, 0x7f800001
	s_mov_b32 s45, exec_lo
	s_delay_alu instid0(VALU_DEP_2)
	v_cmpx_ne_u32_e32 0x7f, v0
	s_cbranch_execz .LBB6_9315
; %bb.9314:                             ;   in Loop: Header=BB6_7947 Depth=3
	v_dual_lshrrev_b32 v20, 3, v0 :: v_dual_bitop2_b32 v17, 7, v23 bitop3:0x40
	v_cmp_gt_u32_e32 vcc_lo, 8, v0
	s_delay_alu instid0(VALU_DEP_2) | instskip(NEXT) | instid1(VALU_DEP_1)
	v_clz_i32_u32_e32 v0, v17
	v_min_u32_e32 v0, 32, v0
	s_delay_alu instid0(VALU_DEP_1) | instskip(NEXT) | instid1(VALU_DEP_1)
	v_subrev_nc_u32_e32 v17, 28, v0
	v_dual_cndmask_b32 v17, 0, v17 :: v_dual_sub_nc_u32 v0, 29, v0
	s_delay_alu instid0(VALU_DEP_1) | instskip(NEXT) | instid1(VALU_DEP_2)
	v_cndmask_b32_e32 v0, v20, v0, vcc_lo
	v_lshlrev_b64_e32 v[20:21], v17, v[2:3]
	s_delay_alu instid0(VALU_DEP_1) | instskip(NEXT) | instid1(VALU_DEP_3)
	v_dual_lshlrev_b32 v17, 20, v20 :: v_dual_lshlrev_b32 v20, 24, v2
	v_lshl_add_u32 v0, v0, 23, 0x3c000000
	s_delay_alu instid0(VALU_DEP_2) | instskip(NEXT) | instid1(VALU_DEP_3)
	v_and_b32_e32 v17, 0x700000, v17
	v_and_b32_e32 v20, 0x80000000, v20
	s_delay_alu instid0(VALU_DEP_1)
	v_or3_b32 v17, v17, v20, v0
.LBB6_9315:                             ;   in Loop: Header=BB6_7947 Depth=3
	s_or_b32 exec_lo, exec_lo, s45
.LBB6_9316:                             ;   in Loop: Header=BB6_7947 Depth=3
	s_delay_alu instid0(SALU_CYCLE_1)
	s_or_b32 exec_lo, exec_lo, s44
.LBB6_9317:                             ;   in Loop: Header=BB6_7947 Depth=3
	s_delay_alu instid0(SALU_CYCLE_1) | instskip(SKIP_2) | instid1(VALU_DEP_1)
	s_or_b32 exec_lo, exec_lo, s13
	v_and_b32_e32 v0, 0xff, v19
	s_mov_b32 s13, exec_lo
	v_cmpx_ne_u16_e32 0, v0
	s_cbranch_execz .LBB6_9323
; %bb.9318:                             ;   in Loop: Header=BB6_7947 Depth=3
	v_bfrev_b32_e32 v16, 1
	s_mov_b32 s44, exec_lo
	v_cmpx_ne_u16_e32 0x80, v0
	s_cbranch_execz .LBB6_9322
; %bb.9319:                             ;   in Loop: Header=BB6_7947 Depth=3
	v_and_b32_e32 v0, 0x7f, v19
	v_mov_b32_e32 v16, 0x7f800001
	s_mov_b32 s45, exec_lo
	s_delay_alu instid0(VALU_DEP_2)
	v_cmpx_ne_u32_e32 0x7f, v0
	s_cbranch_execz .LBB6_9321
; %bb.9320:                             ;   in Loop: Header=BB6_7947 Depth=3
	v_dual_lshrrev_b32 v52, 3, v0 :: v_dual_bitop2_b32 v16, 7, v19 bitop3:0x40
	v_cmp_gt_u32_e32 vcc_lo, 8, v0
	v_mov_b32_e32 v20, v19
	s_delay_alu instid0(VALU_DEP_3) | instskip(NEXT) | instid1(VALU_DEP_1)
	v_clz_i32_u32_e32 v16, v16
	v_min_u32_e32 v16, 32, v16
	s_delay_alu instid0(VALU_DEP_1) | instskip(SKIP_1) | instid1(VALU_DEP_1)
	v_subrev_nc_u32_e32 v0, 28, v16
	v_dual_mov_b32 v21, v3 :: v_dual_sub_nc_u32 v66, 29, v16
	v_dual_cndmask_b32 v0, 0, v0, vcc_lo :: v_dual_cndmask_b32 v16, v52, v66, vcc_lo
	s_delay_alu instid0(VALU_DEP_1) | instskip(SKIP_1) | instid1(VALU_DEP_3)
	v_lshlrev_b64_e32 v[66:67], v0, v[20:21]
	v_lshlrev_b32_e32 v0, 24, v20
	v_lshl_add_u32 v16, v16, 23, 0x3c000000
	s_delay_alu instid0(VALU_DEP_2) | instskip(NEXT) | instid1(VALU_DEP_4)
	v_and_b32_e32 v0, 0x80000000, v0
	v_lshlrev_b32_e32 v20, 20, v66
	s_delay_alu instid0(VALU_DEP_1) | instskip(NEXT) | instid1(VALU_DEP_1)
	v_and_b32_e32 v20, 0x700000, v20
	v_or3_b32 v16, v20, v0, v16
.LBB6_9321:                             ;   in Loop: Header=BB6_7947 Depth=3
	s_or_b32 exec_lo, exec_lo, s45
.LBB6_9322:                             ;   in Loop: Header=BB6_7947 Depth=3
	s_delay_alu instid0(SALU_CYCLE_1)
	s_or_b32 exec_lo, exec_lo, s44
.LBB6_9323:                             ;   in Loop: Header=BB6_7947 Depth=3
	s_delay_alu instid0(SALU_CYCLE_1) | instskip(NEXT) | instid1(VALU_DEP_1)
	s_or_b32 exec_lo, exec_lo, s13
	v_dual_add_f32 v0, v17, v16 :: v_dual_mov_b32 v17, v3
                                        ; implicit-def: $vgpr73
	s_delay_alu instid0(VALU_DEP_1) | instskip(NEXT) | instid1(VALU_DEP_1)
	v_and_b32_e32 v16, 0x7f800000, v0
	v_cmp_ne_u64_e32 vcc_lo, 0x7f800000, v[16:17]
	v_lshrrev_b32_e32 v16, 24, v0
	s_and_saveexec_b32 s13, vcc_lo
	s_delay_alu instid0(SALU_CYCLE_1)
	s_xor_b32 s44, exec_lo, s13
	s_cbranch_execz .LBB6_9337
; %bb.9324:                             ;   in Loop: Header=BB6_7947 Depth=3
	v_and_b32_e32 v20, 0x7fffffff, v0
	v_mov_b32_e32 v21, v3
	v_and_b32_e32 v66, 0x80, v16
                                        ; implicit-def: $vgpr73
	s_mov_b32 s13, exec_lo
	s_delay_alu instid0(VALU_DEP_2)
	v_cmpx_gt_u64_e32 0x43e00001, v[20:21]
	s_xor_b32 s45, exec_lo, s13
	s_cbranch_execz .LBB6_9334
; %bb.9325:                             ;   in Loop: Header=BB6_7947 Depth=3
	v_mov_b32_e32 v73, 0
	s_mov_b32 s74, exec_lo
	v_cmpx_ne_u32_e32 0, v0
	s_cbranch_execz .LBB6_9333
; %bb.9326:                             ;   in Loop: Header=BB6_7947 Depth=3
	v_and_b32_e32 v16, 0x7fffff, v0
	v_bfe_u32 v67, v0, 23, 8
	s_delay_alu instid0(VALU_DEP_2) | instskip(NEXT) | instid1(VALU_DEP_2)
	v_or_b32_e32 v17, 0x800000, v16
	v_cmp_eq_u32_e32 vcc_lo, 0, v67
	v_cmp_gt_u32_e64 s13, 0x7a, v67
	v_sub_nc_u32_e32 v0, 0x79, v67
	s_delay_alu instid0(VALU_DEP_4) | instskip(NEXT) | instid1(VALU_DEP_2)
	v_dual_cndmask_b32 v16, v17, v16 :: v_dual_mov_b32 v17, v3
	v_cndmask_b32_e64 v0, 0, v0, s13
	s_delay_alu instid0(VALU_DEP_1) | instskip(NEXT) | instid1(VALU_DEP_1)
	v_cndmask_b32_e64 v0, v0, 0x78, vcc_lo
	v_dual_add_nc_u32 v20, 20, v0 :: v_dual_add_nc_u32 v52, 19, v0
	s_delay_alu instid0(VALU_DEP_1) | instskip(NEXT) | instid1(VALU_DEP_2)
	v_lshlrev_b64_e64 v[20:21], v20, -1
	v_lshlrev_b64_e64 v[42:43], v52, 1
	s_delay_alu instid0(VALU_DEP_2) | instskip(SKIP_1) | instid1(VALU_DEP_4)
	v_bfi_b32 v20, v20, 0, v16
	v_lshrrev_b64 v[16:17], v0, v[16:17]
	v_bfi_b32 v21, v21, 0, 0
	s_delay_alu instid0(VALU_DEP_1) | instskip(NEXT) | instid1(VALU_DEP_3)
	v_cmp_eq_u64_e64 s13, v[20:21], v[42:43]
	v_mov_b64_e32 v[20:21], v[16:17]
	s_and_saveexec_b32 s75, s13
; %bb.9327:                             ;   in Loop: Header=BB6_7947 Depth=3
	v_bfe_u32 v20, v16, 20, 1
	v_mov_b32_e32 v21, v3
	s_delay_alu instid0(VALU_DEP_1) | instskip(NEXT) | instid1(VALU_DEP_1)
	v_add_nc_u64_e32 v[20:21], v[16:17], v[20:21]
	v_add_nc_u64_e32 v[20:21], -1, v[20:21]
; %bb.9328:                             ;   in Loop: Header=BB6_7947 Depth=3
	s_or_b32 exec_lo, exec_lo, s75
	v_add_nc_u32_e32 v17, 0xffffff81, v67
	v_lshrrev_b32_e32 v21, 23, v16
	s_mov_b32 s13, exec_lo
	s_delay_alu instid0(VALU_DEP_2) | instskip(NEXT) | instid1(VALU_DEP_1)
	v_cndmask_b32_e64 v17, v17, 0xffffff82, vcc_lo
	v_add3_u32 v21, v0, v17, v21
	v_and_b32_e32 v0, 0xfffff, v20
	s_delay_alu instid0(VALU_DEP_2) | instskip(NEXT) | instid1(VALU_DEP_2)
	v_dual_mov_b32 v17, v3 :: v_dual_add_nc_u32 v20, 6, v21
	v_add_nc_u32_e32 v16, v0, v16
                                        ; implicit-def: $vgpr0
	s_delay_alu instid0(VALU_DEP_2)
	v_cmpx_ne_u32_e32 0, v20
	s_xor_b32 s13, exec_lo, s13
; %bb.9329:                             ;   in Loop: Header=BB6_7947 Depth=3
	s_delay_alu instid0(VALU_DEP_2) | instskip(SKIP_1) | instid1(VALU_DEP_1)
	v_cmp_lt_u64_e32 vcc_lo, 0xffffff, v[16:17]
	v_add_nc_u32_e32 v0, 7, v21
	v_cndmask_b32_e32 v0, v20, v0, vcc_lo
	v_cndmask_b32_e64 v20, 0, 1, vcc_lo
	s_delay_alu instid0(VALU_DEP_1)
	v_lshrrev_b64 v[16:17], v20, v[16:17]
; %bb.9330:                             ;   in Loop: Header=BB6_7947 Depth=3
	s_and_not1_saveexec_b32 s13, s13
; %bb.9331:                             ;   in Loop: Header=BB6_7947 Depth=3
	s_delay_alu instid0(VALU_DEP_1)
	v_bfe_u32 v0, v16, 23, 1
; %bb.9332:                             ;   in Loop: Header=BB6_7947 Depth=3
	s_or_b32 exec_lo, exec_lo, s13
	s_delay_alu instid0(VALU_DEP_2) | instskip(NEXT) | instid1(VALU_DEP_2)
	v_lshrrev_b64 v[16:17], 20, v[16:17]
	v_cmp_gt_i32_e32 vcc_lo, 16, v0
	v_min_i32_e32 v20, 15, v0
	v_cmp_eq_u32_e64 s13, 0, v0
	s_delay_alu instid0(VALU_DEP_2) | instskip(SKIP_1) | instid1(VALU_DEP_2)
	v_dual_cndmask_b32 v17, 0, v17 :: v_dual_lshlrev_b32 v20, 3, v20
	v_cndmask_b32_e32 v16, 7, v16, vcc_lo
	v_and_b32_e32 v20, 0xf8, v20
	s_delay_alu instid0(VALU_DEP_2) | instskip(NEXT) | instid1(VALU_DEP_2)
	v_cmp_eq_u64_e32 vcc_lo, 0, v[16:17]
	v_and_or_b32 v0, v16, 7, v20
	s_and_b32 s13, s13, vcc_lo
	s_delay_alu instid0(VALU_DEP_1) | instid1(SALU_CYCLE_1)
	v_cndmask_b32_e64 v0, v0, 0, s13
	s_delay_alu instid0(VALU_DEP_1)
	v_or_b32_e32 v73, v0, v66
.LBB6_9333:                             ;   in Loop: Header=BB6_7947 Depth=3
	s_or_b32 exec_lo, exec_lo, s74
                                        ; implicit-def: $vgpr66
.LBB6_9334:                             ;   in Loop: Header=BB6_7947 Depth=3
	s_and_not1_saveexec_b32 s13, s45
; %bb.9335:                             ;   in Loop: Header=BB6_7947 Depth=3
	v_or_b32_e32 v73, 0x7e, v66
; %bb.9336:                             ;   in Loop: Header=BB6_7947 Depth=3
	s_or_b32 exec_lo, exec_lo, s13
                                        ; implicit-def: $vgpr16
.LBB6_9337:                             ;   in Loop: Header=BB6_7947 Depth=3
	s_and_not1_saveexec_b32 s13, s44
; %bb.9338:                             ;   in Loop: Header=BB6_7947 Depth=3
	v_or_b32_e32 v73, 0x7f, v16
; %bb.9339:                             ;   in Loop: Header=BB6_7947 Depth=3
	s_or_b32 exec_lo, exec_lo, s13
	v_lshrrev_b16 v0, 8, v2
	v_dual_mov_b32 v20, 0 :: v_dual_mov_b32 v21, 0
	s_mov_b32 s13, exec_lo
	s_delay_alu instid0(VALU_DEP_2)
	v_cmpx_ne_u16_e32 0, v0
	s_cbranch_execz .LBB6_9347
; %bb.9340:                             ;   in Loop: Header=BB6_7947 Depth=3
	v_bfrev_b32_e32 v21, 1
	s_mov_b32 s44, exec_lo
	v_cmpx_ne_u16_e32 0x80, v0
	s_cbranch_execz .LBB6_9346
; %bb.9341:                             ;   in Loop: Header=BB6_7947 Depth=3
	v_and_b32_e32 v0, 0xffff, v0
	v_mov_b32_e32 v21, 0x7f800001
	s_mov_b32 s45, exec_lo
	s_delay_alu instid0(VALU_DEP_2) | instskip(NEXT) | instid1(VALU_DEP_1)
	v_and_b32_e32 v52, 0x7f, v0
	v_cmpx_ne_u32_e32 0x7f, v52
	s_cbranch_execz .LBB6_9345
; %bb.9342:                             ;   in Loop: Header=BB6_7947 Depth=3
	v_dual_mov_b32 v17, v3 :: v_dual_bitop2_b32 v16, 7, v0 bitop3:0x40
	v_lshrrev_b32_e32 v0, 3, v52
	s_mov_b32 s74, exec_lo
	v_cmpx_gt_u32_e32 8, v52
; %bb.9343:                             ;   in Loop: Header=BB6_7947 Depth=3
	s_delay_alu instid0(VALU_DEP_3) | instskip(NEXT) | instid1(VALU_DEP_1)
	v_clz_i32_u32_e32 v0, v16
	v_min_u32_e32 v0, 32, v0
	s_delay_alu instid0(VALU_DEP_1) | instskip(SKIP_1) | instid1(VALU_DEP_2)
	v_subrev_nc_u32_e32 v21, 28, v0
	v_sub_nc_u32_e32 v0, 29, v0
	v_lshlrev_b64_e32 v[16:17], v21, v[16:17]
	s_delay_alu instid0(VALU_DEP_1)
	v_and_b32_e32 v16, 7, v16
; %bb.9344:                             ;   in Loop: Header=BB6_7947 Depth=3
	s_or_b32 exec_lo, exec_lo, s74
	s_delay_alu instid0(VALU_DEP_1) | instskip(SKIP_1) | instid1(VALU_DEP_2)
	v_dual_lshlrev_b32 v2, 16, v2 :: v_dual_lshlrev_b32 v16, 20, v16
	v_lshl_add_u32 v0, v0, 23, 0x3c000000
	v_and_b32_e32 v2, 0x80000000, v2
	s_delay_alu instid0(VALU_DEP_1)
	v_or3_b32 v21, v16, v2, v0
.LBB6_9345:                             ;   in Loop: Header=BB6_7947 Depth=3
	s_or_b32 exec_lo, exec_lo, s45
.LBB6_9346:                             ;   in Loop: Header=BB6_7947 Depth=3
	s_delay_alu instid0(SALU_CYCLE_1)
	s_or_b32 exec_lo, exec_lo, s44
.LBB6_9347:                             ;   in Loop: Header=BB6_7947 Depth=3
	s_delay_alu instid0(SALU_CYCLE_1) | instskip(SKIP_2) | instid1(VALU_DEP_1)
	s_or_b32 exec_lo, exec_lo, s13
	v_lshrrev_b16 v0, 8, v19
	s_mov_b32 s13, exec_lo
	v_cmpx_ne_u16_e32 0, v0
	s_cbranch_execz .LBB6_9355
; %bb.9348:                             ;   in Loop: Header=BB6_7947 Depth=3
	v_bfrev_b32_e32 v20, 1
	s_mov_b32 s44, exec_lo
	v_cmpx_ne_u16_e32 0x80, v0
	s_cbranch_execz .LBB6_9354
; %bb.9349:                             ;   in Loop: Header=BB6_7947 Depth=3
	v_and_b32_e32 v0, 0xffff, v0
	v_mov_b32_e32 v20, 0x7f800001
	s_mov_b32 s45, exec_lo
	s_delay_alu instid0(VALU_DEP_2) | instskip(NEXT) | instid1(VALU_DEP_1)
	v_and_b32_e32 v16, 0x7f, v0
	v_cmpx_ne_u32_e32 0x7f, v16
	s_cbranch_execz .LBB6_9353
; %bb.9350:                             ;   in Loop: Header=BB6_7947 Depth=3
	v_and_b32_e32 v2, 7, v0
	v_lshrrev_b32_e32 v0, 3, v16
	v_cmp_gt_u32_e32 vcc_lo, 8, v16
	s_delay_alu instid0(VALU_DEP_3)
	v_mov_b64_e32 v[16:17], v[2:3]
	s_and_saveexec_b32 s74, vcc_lo
; %bb.9351:                             ;   in Loop: Header=BB6_7947 Depth=3
	v_clz_i32_u32_e32 v0, v2
	s_delay_alu instid0(VALU_DEP_1) | instskip(NEXT) | instid1(VALU_DEP_1)
	v_min_u32_e32 v0, 32, v0
	v_subrev_nc_u32_e32 v16, 28, v0
	v_sub_nc_u32_e32 v0, 29, v0
	s_delay_alu instid0(VALU_DEP_2) | instskip(NEXT) | instid1(VALU_DEP_1)
	v_lshlrev_b64_e32 v[16:17], v16, v[2:3]
	v_and_b32_e32 v16, 7, v16
; %bb.9352:                             ;   in Loop: Header=BB6_7947 Depth=3
	s_or_b32 exec_lo, exec_lo, s74
	s_delay_alu instid0(VALU_DEP_1) | instskip(SKIP_1) | instid1(VALU_DEP_2)
	v_dual_lshlrev_b32 v2, 16, v19 :: v_dual_lshlrev_b32 v16, 20, v16
	v_lshl_add_u32 v0, v0, 23, 0x3c000000
	v_and_b32_e32 v2, 0x80000000, v2
	s_delay_alu instid0(VALU_DEP_1)
	v_or3_b32 v20, v16, v2, v0
.LBB6_9353:                             ;   in Loop: Header=BB6_7947 Depth=3
	s_or_b32 exec_lo, exec_lo, s45
.LBB6_9354:                             ;   in Loop: Header=BB6_7947 Depth=3
	s_delay_alu instid0(SALU_CYCLE_1)
	s_or_b32 exec_lo, exec_lo, s44
.LBB6_9355:                             ;   in Loop: Header=BB6_7947 Depth=3
	s_delay_alu instid0(SALU_CYCLE_1) | instskip(NEXT) | instid1(VALU_DEP_1)
	s_or_b32 exec_lo, exec_lo, s13
	v_add_f32_e32 v0, v21, v20
                                        ; implicit-def: $vgpr56
	s_mov_b32 s13, exec_lo
	s_delay_alu instid0(VALU_DEP_1) | instskip(SKIP_1) | instid1(VALU_DEP_2)
	v_and_b32_e32 v2, 0x7f800000, v0
	v_lshrrev_b32_e32 v16, 24, v0
	v_cmpx_ne_u64_e32 0x7f800000, v[2:3]
	s_xor_b32 s44, exec_lo, s13
	s_cbranch_execz .LBB6_9369
; %bb.9356:                             ;   in Loop: Header=BB6_7947 Depth=3
	v_and_b32_e32 v2, 0x7fffffff, v0
	v_and_b32_e32 v66, 0x80, v16
                                        ; implicit-def: $vgpr56
	s_mov_b32 s13, exec_lo
	s_delay_alu instid0(VALU_DEP_2)
	v_cmpx_gt_u64_e32 0x43e00001, v[2:3]
	s_xor_b32 s45, exec_lo, s13
	s_cbranch_execz .LBB6_9366
; %bb.9357:                             ;   in Loop: Header=BB6_7947 Depth=3
	v_mov_b32_e32 v56, 0
	s_mov_b32 s74, exec_lo
	v_cmpx_ne_u32_e32 0, v0
	s_cbranch_execz .LBB6_9365
; %bb.9358:                             ;   in Loop: Header=BB6_7947 Depth=3
	v_bfe_u32 v67, v0, 23, 8
	v_and_b32_e32 v2, 0x7fffff, v0
	s_delay_alu instid0(VALU_DEP_2) | instskip(SKIP_2) | instid1(VALU_DEP_4)
	v_cmp_gt_u32_e64 s13, 0x7a, v67
	v_sub_nc_u32_e32 v0, 0x79, v67
	v_cmp_eq_u32_e32 vcc_lo, 0, v67
	v_or_b32_e32 v16, 0x800000, v2
	s_delay_alu instid0(VALU_DEP_1) | instskip(NEXT) | instid1(VALU_DEP_1)
	v_dual_cndmask_b32 v0, 0, v0, s13 :: v_dual_cndmask_b32 v2, v16, v2, vcc_lo
	v_cndmask_b32_e64 v0, v0, 0x78, vcc_lo
	s_delay_alu instid0(VALU_DEP_1) | instskip(NEXT) | instid1(VALU_DEP_1)
	v_dual_add_nc_u32 v16, 20, v0 :: v_dual_add_nc_u32 v20, 19, v0
	v_lshlrev_b64_e64 v[16:17], v16, -1
	s_delay_alu instid0(VALU_DEP_2) | instskip(NEXT) | instid1(VALU_DEP_2)
	v_lshlrev_b64_e64 v[20:21], v20, 1
	v_bfi_b32 v17, v17, 0, 0
	s_delay_alu instid0(VALU_DEP_3) | instskip(NEXT) | instid1(VALU_DEP_1)
	v_bfi_b32 v16, v16, 0, v2
	v_cmp_eq_u64_e64 s13, v[16:17], v[20:21]
	v_lshrrev_b64 v[16:17], v0, v[2:3]
	s_delay_alu instid0(VALU_DEP_1)
	v_mov_b64_e32 v[20:21], v[16:17]
	s_and_saveexec_b32 s75, s13
; %bb.9359:                             ;   in Loop: Header=BB6_7947 Depth=3
	v_bfe_u32 v2, v16, 20, 1
	s_delay_alu instid0(VALU_DEP_1) | instskip(NEXT) | instid1(VALU_DEP_1)
	v_add_nc_u64_e32 v[20:21], v[16:17], v[2:3]
	v_add_nc_u64_e32 v[20:21], -1, v[20:21]
; %bb.9360:                             ;   in Loop: Header=BB6_7947 Depth=3
	s_or_b32 exec_lo, exec_lo, s75
	v_add_nc_u32_e32 v2, 0xffffff81, v67
	v_lshrrev_b32_e32 v17, 23, v16
	s_mov_b32 s13, exec_lo
	s_delay_alu instid0(VALU_DEP_2) | instskip(NEXT) | instid1(VALU_DEP_1)
	v_cndmask_b32_e64 v2, v2, 0xffffff82, vcc_lo
	v_add3_u32 v21, v0, v2, v17
	v_and_b32_e32 v0, 0xfffff, v20
	s_delay_alu instid0(VALU_DEP_1) | instskip(NEXT) | instid1(VALU_DEP_1)
	v_dual_add_nc_u32 v20, 6, v21 :: v_dual_add_nc_u32 v2, v0, v16
                                        ; implicit-def: $vgpr16_vgpr17
                                        ; implicit-def: $vgpr0
	v_cmpx_ne_u32_e32 0, v20
	s_xor_b32 s13, exec_lo, s13
; %bb.9361:                             ;   in Loop: Header=BB6_7947 Depth=3
	s_delay_alu instid0(VALU_DEP_2) | instskip(SKIP_2) | instid1(VALU_DEP_2)
	v_cmp_lt_u64_e32 vcc_lo, 0xffffff, v[2:3]
	v_add_nc_u32_e32 v0, 7, v21
	v_cndmask_b32_e64 v16, 0, 1, vcc_lo
	v_cndmask_b32_e32 v0, v20, v0, vcc_lo
	s_delay_alu instid0(VALU_DEP_2)
	v_lshrrev_b64 v[16:17], v16, v[2:3]
; %bb.9362:                             ;   in Loop: Header=BB6_7947 Depth=3
	s_and_not1_saveexec_b32 s13, s13
; %bb.9363:                             ;   in Loop: Header=BB6_7947 Depth=3
	v_mov_b64_e32 v[16:17], v[2:3]
	v_bfe_u32 v0, v2, 23, 1
; %bb.9364:                             ;   in Loop: Header=BB6_7947 Depth=3
	s_or_b32 exec_lo, exec_lo, s13
	s_delay_alu instid0(VALU_DEP_2) | instskip(NEXT) | instid1(VALU_DEP_2)
	v_lshrrev_b64 v[16:17], 20, v[16:17]
	v_cmp_gt_i32_e32 vcc_lo, 16, v0
	v_min_i32_e32 v2, 15, v0
	v_cmp_eq_u32_e64 s13, 0, v0
	s_delay_alu instid0(VALU_DEP_2) | instskip(SKIP_1) | instid1(VALU_DEP_2)
	v_dual_cndmask_b32 v17, 0, v17 :: v_dual_lshlrev_b32 v2, 3, v2
	v_cndmask_b32_e32 v16, 7, v16, vcc_lo
	v_and_b32_e32 v2, 0xf8, v2
	s_delay_alu instid0(VALU_DEP_2) | instskip(NEXT) | instid1(VALU_DEP_2)
	v_cmp_eq_u64_e32 vcc_lo, 0, v[16:17]
	v_and_or_b32 v0, v16, 7, v2
	s_and_b32 s13, s13, vcc_lo
	s_delay_alu instid0(VALU_DEP_1) | instid1(SALU_CYCLE_1)
	v_cndmask_b32_e64 v0, v0, 0, s13
	s_delay_alu instid0(VALU_DEP_1)
	v_or_b32_e32 v56, v0, v66
.LBB6_9365:                             ;   in Loop: Header=BB6_7947 Depth=3
	s_or_b32 exec_lo, exec_lo, s74
                                        ; implicit-def: $vgpr66
.LBB6_9366:                             ;   in Loop: Header=BB6_7947 Depth=3
	s_and_not1_saveexec_b32 s13, s45
; %bb.9367:                             ;   in Loop: Header=BB6_7947 Depth=3
	v_or_b32_e32 v56, 0x7e, v66
; %bb.9368:                             ;   in Loop: Header=BB6_7947 Depth=3
	s_or_b32 exec_lo, exec_lo, s13
                                        ; implicit-def: $vgpr16
.LBB6_9369:                             ;   in Loop: Header=BB6_7947 Depth=3
	s_and_not1_saveexec_b32 s13, s44
; %bb.9370:                             ;   in Loop: Header=BB6_7947 Depth=3
	v_or_b32_e32 v56, 0x7f, v16
; %bb.9371:                             ;   in Loop: Header=BB6_7947 Depth=3
	s_or_b32 exec_lo, exec_lo, s13
	v_dual_lshrrev_b32 v0, 16, v23 :: v_dual_mov_b32 v20, 0
	v_mov_b32_e32 v21, 0
	s_mov_b32 s13, exec_lo
	s_delay_alu instid0(VALU_DEP_2) | instskip(NEXT) | instid1(VALU_DEP_1)
	v_and_b32_e32 v2, 0xff, v0
	v_cmpx_ne_u16_e32 0, v2
	s_cbranch_execz .LBB6_9379
; %bb.9372:                             ;   in Loop: Header=BB6_7947 Depth=3
	v_bfrev_b32_e32 v21, 1
	s_mov_b32 s44, exec_lo
	v_cmpx_ne_u16_e32 0x80, v2
	s_cbranch_execz .LBB6_9378
; %bb.9373:                             ;   in Loop: Header=BB6_7947 Depth=3
	v_bfe_u32 v16, v23, 16, 7
	v_mov_b32_e32 v21, 0x7f800001
	s_mov_b32 s45, exec_lo
	s_delay_alu instid0(VALU_DEP_2)
	v_cmpx_ne_u32_e32 0x7f, v16
	s_cbranch_execz .LBB6_9377
; %bb.9374:                             ;   in Loop: Header=BB6_7947 Depth=3
	v_and_b32_e32 v2, 7, v0
	v_lshrrev_b32_e32 v21, 3, v16
	v_cmp_gt_u32_e32 vcc_lo, 8, v16
	s_delay_alu instid0(VALU_DEP_3)
	v_mov_b64_e32 v[16:17], v[2:3]
	s_and_saveexec_b32 s74, vcc_lo
; %bb.9375:                             ;   in Loop: Header=BB6_7947 Depth=3
	v_clz_i32_u32_e32 v16, v2
	s_delay_alu instid0(VALU_DEP_1) | instskip(NEXT) | instid1(VALU_DEP_1)
	v_min_u32_e32 v21, 32, v16
	v_subrev_nc_u32_e32 v16, 28, v21
	s_delay_alu instid0(VALU_DEP_1) | instskip(NEXT) | instid1(VALU_DEP_1)
	v_lshlrev_b64_e32 v[16:17], v16, v[2:3]
	v_dual_sub_nc_u32 v21, 29, v21 :: v_dual_bitop2_b32 v16, 7, v16 bitop3:0x40
; %bb.9376:                             ;   in Loop: Header=BB6_7947 Depth=3
	s_or_b32 exec_lo, exec_lo, s74
	v_lshlrev_b32_e32 v0, 24, v0
	s_delay_alu instid0(VALU_DEP_2) | instskip(NEXT) | instid1(VALU_DEP_3)
	v_lshlrev_b32_e32 v2, 20, v16
	v_lshl_add_u32 v16, v21, 23, 0x3c000000
	s_delay_alu instid0(VALU_DEP_3) | instskip(NEXT) | instid1(VALU_DEP_1)
	v_and_b32_e32 v0, 0x80000000, v0
	v_or3_b32 v21, v2, v0, v16
.LBB6_9377:                             ;   in Loop: Header=BB6_7947 Depth=3
	s_or_b32 exec_lo, exec_lo, s45
.LBB6_9378:                             ;   in Loop: Header=BB6_7947 Depth=3
	s_delay_alu instid0(SALU_CYCLE_1)
	s_or_b32 exec_lo, exec_lo, s44
.LBB6_9379:                             ;   in Loop: Header=BB6_7947 Depth=3
	s_delay_alu instid0(SALU_CYCLE_1) | instskip(SKIP_2) | instid1(VALU_DEP_1)
	s_or_b32 exec_lo, exec_lo, s13
	v_lshrrev_b32_e32 v0, 16, v19
	s_mov_b32 s13, exec_lo
	v_and_b32_e32 v2, 0xff, v0
	s_delay_alu instid0(VALU_DEP_1)
	v_cmpx_ne_u16_e32 0, v2
	s_cbranch_execz .LBB6_9387
; %bb.9380:                             ;   in Loop: Header=BB6_7947 Depth=3
	v_bfrev_b32_e32 v20, 1
	s_mov_b32 s44, exec_lo
	v_cmpx_ne_u16_e32 0x80, v2
	s_cbranch_execz .LBB6_9386
; %bb.9381:                             ;   in Loop: Header=BB6_7947 Depth=3
	v_bfe_u32 v16, v19, 16, 7
	v_mov_b32_e32 v20, 0x7f800001
	s_mov_b32 s45, exec_lo
	s_delay_alu instid0(VALU_DEP_2)
	v_cmpx_ne_u32_e32 0x7f, v16
	s_cbranch_execz .LBB6_9385
; %bb.9382:                             ;   in Loop: Header=BB6_7947 Depth=3
	v_and_b32_e32 v2, 7, v0
	v_lshrrev_b32_e32 v0, 3, v16
	v_cmp_gt_u32_e32 vcc_lo, 8, v16
	s_delay_alu instid0(VALU_DEP_3)
	v_mov_b64_e32 v[16:17], v[2:3]
	s_and_saveexec_b32 s74, vcc_lo
; %bb.9383:                             ;   in Loop: Header=BB6_7947 Depth=3
	v_clz_i32_u32_e32 v0, v2
	s_delay_alu instid0(VALU_DEP_1) | instskip(NEXT) | instid1(VALU_DEP_1)
	v_min_u32_e32 v0, 32, v0
	v_subrev_nc_u32_e32 v16, 28, v0
	v_sub_nc_u32_e32 v0, 29, v0
	s_delay_alu instid0(VALU_DEP_2) | instskip(NEXT) | instid1(VALU_DEP_1)
	v_lshlrev_b64_e32 v[16:17], v16, v[2:3]
	v_and_b32_e32 v16, 7, v16
; %bb.9384:                             ;   in Loop: Header=BB6_7947 Depth=3
	s_or_b32 exec_lo, exec_lo, s74
	s_delay_alu instid0(VALU_DEP_1) | instskip(SKIP_1) | instid1(VALU_DEP_2)
	v_dual_lshlrev_b32 v2, 8, v19 :: v_dual_lshlrev_b32 v16, 20, v16
	v_lshl_add_u32 v0, v0, 23, 0x3c000000
	v_and_b32_e32 v2, 0x80000000, v2
	s_delay_alu instid0(VALU_DEP_1)
	v_or3_b32 v20, v16, v2, v0
.LBB6_9385:                             ;   in Loop: Header=BB6_7947 Depth=3
	s_or_b32 exec_lo, exec_lo, s45
.LBB6_9386:                             ;   in Loop: Header=BB6_7947 Depth=3
	s_delay_alu instid0(SALU_CYCLE_1)
	s_or_b32 exec_lo, exec_lo, s44
.LBB6_9387:                             ;   in Loop: Header=BB6_7947 Depth=3
	s_delay_alu instid0(SALU_CYCLE_1) | instskip(NEXT) | instid1(VALU_DEP_1)
	s_or_b32 exec_lo, exec_lo, s13
	v_add_f32_e32 v0, v21, v20
                                        ; implicit-def: $vgpr20
	s_mov_b32 s13, exec_lo
	s_delay_alu instid0(VALU_DEP_1) | instskip(SKIP_1) | instid1(VALU_DEP_2)
	v_and_b32_e32 v2, 0x7f800000, v0
	v_lshrrev_b32_e32 v16, 24, v0
	v_cmpx_ne_u64_e32 0x7f800000, v[2:3]
	s_xor_b32 s44, exec_lo, s13
	s_cbranch_execz .LBB6_9401
; %bb.9388:                             ;   in Loop: Header=BB6_7947 Depth=3
	v_and_b32_e32 v2, 0x7fffffff, v0
	v_and_b32_e32 v66, 0x80, v16
                                        ; implicit-def: $vgpr20
	s_mov_b32 s13, exec_lo
	s_delay_alu instid0(VALU_DEP_2)
	v_cmpx_gt_u64_e32 0x43e00001, v[2:3]
	s_xor_b32 s45, exec_lo, s13
	s_cbranch_execz .LBB6_9398
; %bb.9389:                             ;   in Loop: Header=BB6_7947 Depth=3
	v_mov_b32_e32 v20, 0
	s_mov_b32 s74, exec_lo
	v_cmpx_ne_u32_e32 0, v0
	s_cbranch_execz .LBB6_9397
; %bb.9390:                             ;   in Loop: Header=BB6_7947 Depth=3
	v_bfe_u32 v67, v0, 23, 8
	v_and_b32_e32 v2, 0x7fffff, v0
	s_delay_alu instid0(VALU_DEP_2) | instskip(SKIP_2) | instid1(VALU_DEP_4)
	v_cmp_gt_u32_e64 s13, 0x7a, v67
	v_sub_nc_u32_e32 v0, 0x79, v67
	v_cmp_eq_u32_e32 vcc_lo, 0, v67
	v_or_b32_e32 v16, 0x800000, v2
	s_delay_alu instid0(VALU_DEP_1) | instskip(NEXT) | instid1(VALU_DEP_1)
	v_dual_cndmask_b32 v0, 0, v0, s13 :: v_dual_cndmask_b32 v2, v16, v2, vcc_lo
	v_cndmask_b32_e64 v0, v0, 0x78, vcc_lo
	s_delay_alu instid0(VALU_DEP_1) | instskip(NEXT) | instid1(VALU_DEP_1)
	v_dual_add_nc_u32 v16, 20, v0 :: v_dual_add_nc_u32 v20, 19, v0
	v_lshlrev_b64_e64 v[16:17], v16, -1
	s_delay_alu instid0(VALU_DEP_2) | instskip(NEXT) | instid1(VALU_DEP_2)
	v_lshlrev_b64_e64 v[20:21], v20, 1
	v_bfi_b32 v17, v17, 0, 0
	s_delay_alu instid0(VALU_DEP_3) | instskip(NEXT) | instid1(VALU_DEP_1)
	v_bfi_b32 v16, v16, 0, v2
	v_cmp_eq_u64_e64 s13, v[16:17], v[20:21]
	v_lshrrev_b64 v[16:17], v0, v[2:3]
	s_delay_alu instid0(VALU_DEP_1)
	v_mov_b64_e32 v[20:21], v[16:17]
	s_and_saveexec_b32 s75, s13
; %bb.9391:                             ;   in Loop: Header=BB6_7947 Depth=3
	v_bfe_u32 v2, v16, 20, 1
	s_delay_alu instid0(VALU_DEP_1) | instskip(NEXT) | instid1(VALU_DEP_1)
	v_add_nc_u64_e32 v[20:21], v[16:17], v[2:3]
	v_add_nc_u64_e32 v[20:21], -1, v[20:21]
; %bb.9392:                             ;   in Loop: Header=BB6_7947 Depth=3
	s_or_b32 exec_lo, exec_lo, s75
	v_add_nc_u32_e32 v2, 0xffffff81, v67
	v_lshrrev_b32_e32 v17, 23, v16
	s_mov_b32 s13, exec_lo
	s_delay_alu instid0(VALU_DEP_2) | instskip(NEXT) | instid1(VALU_DEP_1)
	v_cndmask_b32_e64 v2, v2, 0xffffff82, vcc_lo
	v_add3_u32 v21, v0, v2, v17
	v_and_b32_e32 v0, 0xfffff, v20
	s_delay_alu instid0(VALU_DEP_1) | instskip(NEXT) | instid1(VALU_DEP_1)
	v_dual_add_nc_u32 v20, 6, v21 :: v_dual_add_nc_u32 v2, v0, v16
                                        ; implicit-def: $vgpr16_vgpr17
                                        ; implicit-def: $vgpr0
	v_cmpx_ne_u32_e32 0, v20
	s_xor_b32 s13, exec_lo, s13
; %bb.9393:                             ;   in Loop: Header=BB6_7947 Depth=3
	s_delay_alu instid0(VALU_DEP_2) | instskip(SKIP_2) | instid1(VALU_DEP_2)
	v_cmp_lt_u64_e32 vcc_lo, 0xffffff, v[2:3]
	v_add_nc_u32_e32 v0, 7, v21
	v_cndmask_b32_e64 v16, 0, 1, vcc_lo
	v_cndmask_b32_e32 v0, v20, v0, vcc_lo
	s_delay_alu instid0(VALU_DEP_2)
	v_lshrrev_b64 v[16:17], v16, v[2:3]
; %bb.9394:                             ;   in Loop: Header=BB6_7947 Depth=3
	s_and_not1_saveexec_b32 s13, s13
; %bb.9395:                             ;   in Loop: Header=BB6_7947 Depth=3
	v_mov_b64_e32 v[16:17], v[2:3]
	v_bfe_u32 v0, v2, 23, 1
; %bb.9396:                             ;   in Loop: Header=BB6_7947 Depth=3
	s_or_b32 exec_lo, exec_lo, s13
	s_delay_alu instid0(VALU_DEP_2) | instskip(NEXT) | instid1(VALU_DEP_2)
	v_lshrrev_b64 v[16:17], 20, v[16:17]
	v_cmp_gt_i32_e32 vcc_lo, 16, v0
	v_min_i32_e32 v2, 15, v0
	v_cmp_eq_u32_e64 s13, 0, v0
	s_delay_alu instid0(VALU_DEP_2) | instskip(SKIP_1) | instid1(VALU_DEP_2)
	v_dual_cndmask_b32 v17, 0, v17 :: v_dual_lshlrev_b32 v2, 3, v2
	v_cndmask_b32_e32 v16, 7, v16, vcc_lo
	v_and_b32_e32 v2, 0xf8, v2
	s_delay_alu instid0(VALU_DEP_2) | instskip(NEXT) | instid1(VALU_DEP_2)
	v_cmp_eq_u64_e32 vcc_lo, 0, v[16:17]
	v_and_or_b32 v0, v16, 7, v2
	s_and_b32 s13, s13, vcc_lo
	s_delay_alu instid0(VALU_DEP_1) | instid1(SALU_CYCLE_1)
	v_cndmask_b32_e64 v0, v0, 0, s13
	s_delay_alu instid0(VALU_DEP_1)
	v_or_b32_e32 v20, v0, v66
.LBB6_9397:                             ;   in Loop: Header=BB6_7947 Depth=3
	s_or_b32 exec_lo, exec_lo, s74
                                        ; implicit-def: $vgpr66
.LBB6_9398:                             ;   in Loop: Header=BB6_7947 Depth=3
	s_and_not1_saveexec_b32 s13, s45
; %bb.9399:                             ;   in Loop: Header=BB6_7947 Depth=3
	v_or_b32_e32 v20, 0x7e, v66
; %bb.9400:                             ;   in Loop: Header=BB6_7947 Depth=3
	s_or_b32 exec_lo, exec_lo, s13
                                        ; implicit-def: $vgpr16
.LBB6_9401:                             ;   in Loop: Header=BB6_7947 Depth=3
	s_and_not1_saveexec_b32 s13, s44
; %bb.9402:                             ;   in Loop: Header=BB6_7947 Depth=3
	v_or_b32_e32 v20, 0x7f, v16
; %bb.9403:                             ;   in Loop: Header=BB6_7947 Depth=3
	s_or_b32 exec_lo, exec_lo, s13
	v_cmp_lt_u64_e32 vcc_lo, s[22:23], v[22:23]
	v_dual_mov_b32 v21, 0 :: v_dual_mov_b32 v22, 0
	s_and_saveexec_b32 s13, vcc_lo
	s_cbranch_execz .LBB6_9411
; %bb.9404:                             ;   in Loop: Header=BB6_7947 Depth=3
	v_lshrrev_b32_e32 v0, 24, v23
	v_bfrev_b32_e32 v22, 1
	s_mov_b32 s44, exec_lo
	s_delay_alu instid0(VALU_DEP_2)
	v_cmpx_ne_u32_e32 0x80, v0
	s_cbranch_execz .LBB6_9410
; %bb.9405:                             ;   in Loop: Header=BB6_7947 Depth=3
	v_bfe_u32 v16, v23, 24, 7
	v_mov_b32_e32 v22, 0x7f800001
	s_mov_b32 s45, exec_lo
	s_delay_alu instid0(VALU_DEP_2)
	v_cmpx_ne_u32_e32 0x7f, v16
	s_cbranch_execz .LBB6_9409
; %bb.9406:                             ;   in Loop: Header=BB6_7947 Depth=3
	v_and_b32_e32 v2, 7, v0
	v_lshrrev_b32_e32 v22, 3, v16
	v_cmp_gt_u32_e32 vcc_lo, 8, v16
	s_delay_alu instid0(VALU_DEP_3)
	v_mov_b64_e32 v[16:17], v[2:3]
	s_and_saveexec_b32 s74, vcc_lo
; %bb.9407:                             ;   in Loop: Header=BB6_7947 Depth=3
	v_clz_i32_u32_e32 v16, v2
	s_delay_alu instid0(VALU_DEP_1) | instskip(NEXT) | instid1(VALU_DEP_1)
	v_min_u32_e32 v22, 32, v16
	v_subrev_nc_u32_e32 v16, 28, v22
	s_delay_alu instid0(VALU_DEP_1) | instskip(NEXT) | instid1(VALU_DEP_1)
	v_lshlrev_b64_e32 v[16:17], v16, v[2:3]
	v_dual_sub_nc_u32 v22, 29, v22 :: v_dual_bitop2_b32 v16, 7, v16 bitop3:0x40
; %bb.9408:                             ;   in Loop: Header=BB6_7947 Depth=3
	s_or_b32 exec_lo, exec_lo, s74
	v_lshlrev_b32_e32 v0, 24, v0
	s_delay_alu instid0(VALU_DEP_2) | instskip(NEXT) | instid1(VALU_DEP_3)
	v_lshlrev_b32_e32 v2, 20, v16
	v_lshl_add_u32 v16, v22, 23, 0x3c000000
	s_delay_alu instid0(VALU_DEP_3) | instskip(NEXT) | instid1(VALU_DEP_1)
	v_and_b32_e32 v0, 0x80000000, v0
	v_or3_b32 v22, v2, v0, v16
.LBB6_9409:                             ;   in Loop: Header=BB6_7947 Depth=3
	s_or_b32 exec_lo, exec_lo, s45
.LBB6_9410:                             ;   in Loop: Header=BB6_7947 Depth=3
	s_delay_alu instid0(SALU_CYCLE_1)
	s_or_b32 exec_lo, exec_lo, s44
.LBB6_9411:                             ;   in Loop: Header=BB6_7947 Depth=3
	s_delay_alu instid0(SALU_CYCLE_1) | instskip(NEXT) | instid1(SALU_CYCLE_1)
	s_or_b32 exec_lo, exec_lo, s13
	s_mov_b32 s13, exec_lo
	v_cmpx_lt_u64_e64 s[22:23], v[18:19]
	s_cbranch_execz .LBB6_9419
; %bb.9412:                             ;   in Loop: Header=BB6_7947 Depth=3
	v_lshrrev_b32_e32 v0, 24, v19
	v_bfrev_b32_e32 v21, 1
	s_mov_b32 s44, exec_lo
	s_delay_alu instid0(VALU_DEP_2)
	v_cmpx_ne_u32_e32 0x80, v0
	s_cbranch_execz .LBB6_9418
; %bb.9413:                             ;   in Loop: Header=BB6_7947 Depth=3
	v_bfe_u32 v16, v19, 24, 7
	v_mov_b32_e32 v21, 0x7f800001
	s_mov_b32 s45, exec_lo
	s_delay_alu instid0(VALU_DEP_2)
	v_cmpx_ne_u32_e32 0x7f, v16
	s_cbranch_execz .LBB6_9417
; %bb.9414:                             ;   in Loop: Header=BB6_7947 Depth=3
	v_and_b32_e32 v2, 7, v0
	v_lshrrev_b32_e32 v18, 3, v16
	v_cmp_gt_u32_e32 vcc_lo, 8, v16
	s_delay_alu instid0(VALU_DEP_3)
	v_mov_b64_e32 v[16:17], v[2:3]
	s_and_saveexec_b32 s74, vcc_lo
; %bb.9415:                             ;   in Loop: Header=BB6_7947 Depth=3
	v_clz_i32_u32_e32 v16, v2
	s_delay_alu instid0(VALU_DEP_1) | instskip(NEXT) | instid1(VALU_DEP_1)
	v_min_u32_e32 v18, 32, v16
	v_subrev_nc_u32_e32 v16, 28, v18
	s_delay_alu instid0(VALU_DEP_1) | instskip(NEXT) | instid1(VALU_DEP_1)
	v_lshlrev_b64_e32 v[16:17], v16, v[2:3]
	v_dual_sub_nc_u32 v18, 29, v18 :: v_dual_bitop2_b32 v16, 7, v16 bitop3:0x40
; %bb.9416:                             ;   in Loop: Header=BB6_7947 Depth=3
	s_or_b32 exec_lo, exec_lo, s74
	v_lshlrev_b32_e32 v0, 24, v0
	s_delay_alu instid0(VALU_DEP_2) | instskip(NEXT) | instid1(VALU_DEP_3)
	v_lshlrev_b32_e32 v2, 20, v16
	v_lshl_add_u32 v16, v18, 23, 0x3c000000
	s_delay_alu instid0(VALU_DEP_3) | instskip(NEXT) | instid1(VALU_DEP_1)
	v_and_b32_e32 v0, 0x80000000, v0
	v_or3_b32 v21, v2, v0, v16
.LBB6_9417:                             ;   in Loop: Header=BB6_7947 Depth=3
	s_or_b32 exec_lo, exec_lo, s45
.LBB6_9418:                             ;   in Loop: Header=BB6_7947 Depth=3
	s_delay_alu instid0(SALU_CYCLE_1)
	s_or_b32 exec_lo, exec_lo, s44
.LBB6_9419:                             ;   in Loop: Header=BB6_7947 Depth=3
	s_delay_alu instid0(SALU_CYCLE_1) | instskip(NEXT) | instid1(VALU_DEP_1)
	s_or_b32 exec_lo, exec_lo, s13
	v_add_f32_e32 v0, v22, v21
                                        ; implicit-def: $vgpr21
	s_mov_b32 s13, exec_lo
	s_delay_alu instid0(VALU_DEP_1) | instskip(SKIP_1) | instid1(VALU_DEP_2)
	v_and_b32_e32 v2, 0x7f800000, v0
	v_lshrrev_b32_e32 v16, 24, v0
	v_cmpx_ne_u64_e32 0x7f800000, v[2:3]
	s_xor_b32 s44, exec_lo, s13
	s_cbranch_execz .LBB6_9433
; %bb.9420:                             ;   in Loop: Header=BB6_7947 Depth=3
	v_and_b32_e32 v2, 0x7fffffff, v0
	v_and_b32_e32 v22, 0x80, v16
                                        ; implicit-def: $vgpr21
	s_mov_b32 s13, exec_lo
	s_delay_alu instid0(VALU_DEP_2)
	v_cmpx_gt_u64_e32 0x43e00001, v[2:3]
	s_xor_b32 s45, exec_lo, s13
	s_cbranch_execz .LBB6_9430
; %bb.9421:                             ;   in Loop: Header=BB6_7947 Depth=3
	v_mov_b32_e32 v21, 0
	s_mov_b32 s74, exec_lo
	v_cmpx_ne_u32_e32 0, v0
	s_cbranch_execz .LBB6_9429
; %bb.9422:                             ;   in Loop: Header=BB6_7947 Depth=3
	v_bfe_u32 v21, v0, 23, 8
	v_and_b32_e32 v2, 0x7fffff, v0
	s_delay_alu instid0(VALU_DEP_2) | instskip(SKIP_2) | instid1(VALU_DEP_4)
	v_cmp_gt_u32_e64 s13, 0x7a, v21
	v_sub_nc_u32_e32 v0, 0x79, v21
	v_cmp_eq_u32_e32 vcc_lo, 0, v21
	v_or_b32_e32 v16, 0x800000, v2
	s_delay_alu instid0(VALU_DEP_1) | instskip(NEXT) | instid1(VALU_DEP_1)
	v_dual_cndmask_b32 v0, 0, v0, s13 :: v_dual_cndmask_b32 v2, v16, v2, vcc_lo
	v_cndmask_b32_e64 v0, v0, 0x78, vcc_lo
	s_delay_alu instid0(VALU_DEP_1) | instskip(NEXT) | instid1(VALU_DEP_1)
	v_dual_add_nc_u32 v16, 20, v0 :: v_dual_add_nc_u32 v18, 19, v0
	v_lshlrev_b64_e64 v[16:17], v16, -1
	s_delay_alu instid0(VALU_DEP_2) | instskip(NEXT) | instid1(VALU_DEP_2)
	v_lshlrev_b64_e64 v[18:19], v18, 1
	v_bfi_b32 v17, v17, 0, 0
	s_delay_alu instid0(VALU_DEP_3) | instskip(NEXT) | instid1(VALU_DEP_1)
	v_bfi_b32 v16, v16, 0, v2
	v_cmp_eq_u64_e64 s13, v[16:17], v[18:19]
	v_lshrrev_b64 v[16:17], v0, v[2:3]
	s_delay_alu instid0(VALU_DEP_1)
	v_mov_b64_e32 v[18:19], v[16:17]
	s_and_saveexec_b32 s75, s13
; %bb.9423:                             ;   in Loop: Header=BB6_7947 Depth=3
	v_bfe_u32 v2, v16, 20, 1
	s_delay_alu instid0(VALU_DEP_1) | instskip(NEXT) | instid1(VALU_DEP_1)
	v_add_nc_u64_e32 v[18:19], v[16:17], v[2:3]
	v_add_nc_u64_e32 v[18:19], -1, v[18:19]
; %bb.9424:                             ;   in Loop: Header=BB6_7947 Depth=3
	s_or_b32 exec_lo, exec_lo, s75
	v_add_nc_u32_e32 v2, 0xffffff81, v21
	v_lshrrev_b32_e32 v17, 23, v16
	s_mov_b32 s13, exec_lo
	s_delay_alu instid0(VALU_DEP_2) | instskip(NEXT) | instid1(VALU_DEP_1)
	v_cndmask_b32_e64 v2, v2, 0xffffff82, vcc_lo
	v_add3_u32 v19, v0, v2, v17
	v_and_b32_e32 v0, 0xfffff, v18
	s_delay_alu instid0(VALU_DEP_1) | instskip(NEXT) | instid1(VALU_DEP_1)
	v_dual_add_nc_u32 v18, 6, v19 :: v_dual_add_nc_u32 v2, v0, v16
                                        ; implicit-def: $vgpr16_vgpr17
                                        ; implicit-def: $vgpr0
	v_cmpx_ne_u32_e32 0, v18
	s_xor_b32 s13, exec_lo, s13
; %bb.9425:                             ;   in Loop: Header=BB6_7947 Depth=3
	s_delay_alu instid0(VALU_DEP_2) | instskip(SKIP_2) | instid1(VALU_DEP_2)
	v_cmp_lt_u64_e32 vcc_lo, 0xffffff, v[2:3]
	v_add_nc_u32_e32 v0, 7, v19
	v_cndmask_b32_e64 v16, 0, 1, vcc_lo
	v_cndmask_b32_e32 v0, v18, v0, vcc_lo
	s_delay_alu instid0(VALU_DEP_2)
	v_lshrrev_b64 v[16:17], v16, v[2:3]
; %bb.9426:                             ;   in Loop: Header=BB6_7947 Depth=3
	s_and_not1_saveexec_b32 s13, s13
; %bb.9427:                             ;   in Loop: Header=BB6_7947 Depth=3
	v_mov_b64_e32 v[16:17], v[2:3]
	v_bfe_u32 v0, v2, 23, 1
; %bb.9428:                             ;   in Loop: Header=BB6_7947 Depth=3
	s_or_b32 exec_lo, exec_lo, s13
	s_delay_alu instid0(VALU_DEP_2) | instskip(NEXT) | instid1(VALU_DEP_2)
	v_lshrrev_b64 v[16:17], 20, v[16:17]
	v_cmp_gt_i32_e32 vcc_lo, 16, v0
	v_min_i32_e32 v2, 15, v0
	v_cmp_eq_u32_e64 s13, 0, v0
	s_delay_alu instid0(VALU_DEP_2) | instskip(SKIP_1) | instid1(VALU_DEP_2)
	v_dual_cndmask_b32 v17, 0, v17 :: v_dual_lshlrev_b32 v2, 3, v2
	v_cndmask_b32_e32 v16, 7, v16, vcc_lo
	v_and_b32_e32 v2, 0xf8, v2
	s_delay_alu instid0(VALU_DEP_2) | instskip(NEXT) | instid1(VALU_DEP_2)
	v_cmp_eq_u64_e32 vcc_lo, 0, v[16:17]
	v_and_or_b32 v0, v16, 7, v2
	s_and_b32 s13, s13, vcc_lo
	s_delay_alu instid0(VALU_DEP_1) | instid1(SALU_CYCLE_1)
	v_cndmask_b32_e64 v0, v0, 0, s13
	s_delay_alu instid0(VALU_DEP_1)
	v_or_b32_e32 v21, v0, v22
.LBB6_9429:                             ;   in Loop: Header=BB6_7947 Depth=3
	s_or_b32 exec_lo, exec_lo, s74
                                        ; implicit-def: $vgpr22
.LBB6_9430:                             ;   in Loop: Header=BB6_7947 Depth=3
	s_and_not1_saveexec_b32 s13, s45
; %bb.9431:                             ;   in Loop: Header=BB6_7947 Depth=3
	v_or_b32_e32 v21, 0x7e, v22
; %bb.9432:                             ;   in Loop: Header=BB6_7947 Depth=3
	s_or_b32 exec_lo, exec_lo, s13
                                        ; implicit-def: $vgpr16
.LBB6_9433:                             ;   in Loop: Header=BB6_7947 Depth=3
	s_and_not1_saveexec_b32 s13, s44
; %bb.9434:                             ;   in Loop: Header=BB6_7947 Depth=3
	v_or_b32_e32 v21, 0x7f, v16
; %bb.9435:                             ;   in Loop: Header=BB6_7947 Depth=3
	s_or_b32 exec_lo, exec_lo, s13
	v_and_b32_e32 v0, 0xff, v12
	v_dual_mov_b32 v2, 0 :: v_dual_mov_b32 v16, 0
	s_mov_b32 s13, exec_lo
	s_delay_alu instid0(VALU_DEP_2)
	v_cmpx_ne_u16_e32 0, v0
	s_cbranch_execz .LBB6_9441
; %bb.9436:                             ;   in Loop: Header=BB6_7947 Depth=3
	v_bfrev_b32_e32 v16, 1
	s_mov_b32 s44, exec_lo
	v_cmpx_ne_u16_e32 0x80, v0
	s_cbranch_execz .LBB6_9440
; %bb.9437:                             ;   in Loop: Header=BB6_7947 Depth=3
	v_and_b32_e32 v0, 0x7f, v12
	v_mov_b32_e32 v16, 0x7f800001
	s_mov_b32 s45, exec_lo
	s_delay_alu instid0(VALU_DEP_2)
	v_cmpx_ne_u32_e32 0x7f, v0
	s_cbranch_execz .LBB6_9439
; %bb.9438:                             ;   in Loop: Header=BB6_7947 Depth=3
	v_and_b32_e32 v16, 7, v12
	v_lshrrev_b32_e32 v17, 3, v0
	v_cmp_gt_u32_e32 vcc_lo, 8, v0
	s_delay_alu instid0(VALU_DEP_3) | instskip(NEXT) | instid1(VALU_DEP_1)
	v_clz_i32_u32_e32 v0, v16
	v_min_u32_e32 v0, 32, v0
	s_delay_alu instid0(VALU_DEP_1) | instskip(SKIP_1) | instid1(VALU_DEP_2)
	v_subrev_nc_u32_e32 v16, 28, v0
	v_sub_nc_u32_e32 v0, 29, v0
	v_cndmask_b32_e32 v16, 0, v16, vcc_lo
	s_delay_alu instid0(VALU_DEP_2) | instskip(NEXT) | instid1(VALU_DEP_2)
	v_cndmask_b32_e32 v0, v17, v0, vcc_lo
	v_lshlrev_b64_e32 v[16:17], v16, v[12:13]
	v_lshlrev_b32_e32 v17, 24, v12
	s_delay_alu instid0(VALU_DEP_3) | instskip(NEXT) | instid1(VALU_DEP_2)
	v_lshl_add_u32 v0, v0, 23, 0x3c000000
	v_and_b32_e32 v17, 0x80000000, v17
	s_delay_alu instid0(VALU_DEP_4) | instskip(NEXT) | instid1(VALU_DEP_1)
	v_lshlrev_b32_e32 v16, 20, v16
	v_and_b32_e32 v16, 0x700000, v16
	s_delay_alu instid0(VALU_DEP_1)
	v_or3_b32 v16, v16, v17, v0
.LBB6_9439:                             ;   in Loop: Header=BB6_7947 Depth=3
	s_or_b32 exec_lo, exec_lo, s45
.LBB6_9440:                             ;   in Loop: Header=BB6_7947 Depth=3
	s_delay_alu instid0(SALU_CYCLE_1)
	s_or_b32 exec_lo, exec_lo, s44
.LBB6_9441:                             ;   in Loop: Header=BB6_7947 Depth=3
	s_delay_alu instid0(SALU_CYCLE_1) | instskip(SKIP_3) | instid1(VALU_DEP_1)
	s_or_b32 exec_lo, exec_lo, s13
	s_wait_loadcnt 0x0
	v_and_b32_e32 v0, 0xff, v8
	s_mov_b32 s13, exec_lo
	v_cmpx_ne_u16_e32 0, v0
	s_cbranch_execz .LBB6_9447
; %bb.9442:                             ;   in Loop: Header=BB6_7947 Depth=3
	v_bfrev_b32_e32 v2, 1
	s_mov_b32 s44, exec_lo
	v_cmpx_ne_u16_e32 0x80, v0
	s_cbranch_execz .LBB6_9446
; %bb.9443:                             ;   in Loop: Header=BB6_7947 Depth=3
	v_and_b32_e32 v0, 0x7f, v8
	v_mov_b32_e32 v2, 0x7f800001
	s_mov_b32 s45, exec_lo
	s_delay_alu instid0(VALU_DEP_2)
	v_cmpx_ne_u32_e32 0x7f, v0
	s_cbranch_execz .LBB6_9445
; %bb.9444:                             ;   in Loop: Header=BB6_7947 Depth=3
	v_and_b32_e32 v2, 7, v8
	v_lshrrev_b32_e32 v17, 3, v0
	v_cmp_gt_u32_e32 vcc_lo, 8, v0
	s_delay_alu instid0(VALU_DEP_3) | instskip(NEXT) | instid1(VALU_DEP_1)
	v_clz_i32_u32_e32 v0, v2
	v_min_u32_e32 v0, 32, v0
	s_delay_alu instid0(VALU_DEP_1) | instskip(NEXT) | instid1(VALU_DEP_1)
	v_subrev_nc_u32_e32 v2, 28, v0
	v_dual_sub_nc_u32 v0, 29, v0 :: v_dual_cndmask_b32 v2, 0, v2, vcc_lo
	s_delay_alu instid0(VALU_DEP_1) | instskip(SKIP_1) | instid1(VALU_DEP_3)
	v_cndmask_b32_e32 v0, v17, v0, vcc_lo
	v_lshlrev_b32_e32 v17, 24, v8
	v_lshlrev_b64_e32 v[18:19], v2, v[8:9]
	s_delay_alu instid0(VALU_DEP_3) | instskip(NEXT) | instid1(VALU_DEP_3)
	v_lshl_add_u32 v0, v0, 23, 0x3c000000
	v_and_b32_e32 v17, 0x80000000, v17
	s_delay_alu instid0(VALU_DEP_3) | instskip(NEXT) | instid1(VALU_DEP_1)
	v_lshlrev_b32_e32 v2, 20, v18
	v_and_b32_e32 v2, 0x700000, v2
	s_delay_alu instid0(VALU_DEP_1)
	v_or3_b32 v2, v2, v17, v0
.LBB6_9445:                             ;   in Loop: Header=BB6_7947 Depth=3
	s_or_b32 exec_lo, exec_lo, s45
.LBB6_9446:                             ;   in Loop: Header=BB6_7947 Depth=3
	s_delay_alu instid0(SALU_CYCLE_1)
	s_or_b32 exec_lo, exec_lo, s44
.LBB6_9447:                             ;   in Loop: Header=BB6_7947 Depth=3
	s_delay_alu instid0(SALU_CYCLE_1) | instskip(NEXT) | instid1(VALU_DEP_1)
	s_or_b32 exec_lo, exec_lo, s13
	v_add_f32_e32 v0, v16, v2
                                        ; implicit-def: $vgpr22
	s_mov_b32 s13, exec_lo
	s_delay_alu instid0(VALU_DEP_1) | instskip(SKIP_1) | instid1(VALU_DEP_2)
	v_and_b32_e32 v2, 0x7f800000, v0
	v_lshrrev_b32_e32 v16, 24, v0
	v_cmpx_ne_u64_e32 0x7f800000, v[2:3]
	s_xor_b32 s44, exec_lo, s13
	s_cbranch_execz .LBB6_9461
; %bb.9448:                             ;   in Loop: Header=BB6_7947 Depth=3
	v_and_b32_e32 v2, 0x7fffffff, v0
	v_and_b32_e32 v23, 0x80, v16
                                        ; implicit-def: $vgpr22
	s_mov_b32 s13, exec_lo
	s_delay_alu instid0(VALU_DEP_2)
	v_cmpx_gt_u64_e32 0x43e00001, v[2:3]
	s_xor_b32 s45, exec_lo, s13
	s_cbranch_execz .LBB6_9458
; %bb.9449:                             ;   in Loop: Header=BB6_7947 Depth=3
	v_mov_b32_e32 v22, 0
	s_mov_b32 s74, exec_lo
	v_cmpx_ne_u32_e32 0, v0
	s_cbranch_execz .LBB6_9457
; %bb.9450:                             ;   in Loop: Header=BB6_7947 Depth=3
	v_bfe_u32 v22, v0, 23, 8
	v_and_b32_e32 v2, 0x7fffff, v0
	s_delay_alu instid0(VALU_DEP_2) | instskip(SKIP_2) | instid1(VALU_DEP_4)
	v_cmp_gt_u32_e64 s13, 0x7a, v22
	v_sub_nc_u32_e32 v0, 0x79, v22
	v_cmp_eq_u32_e32 vcc_lo, 0, v22
	v_or_b32_e32 v16, 0x800000, v2
	s_delay_alu instid0(VALU_DEP_1) | instskip(NEXT) | instid1(VALU_DEP_1)
	v_dual_cndmask_b32 v0, 0, v0, s13 :: v_dual_cndmask_b32 v2, v16, v2, vcc_lo
	v_cndmask_b32_e64 v0, v0, 0x78, vcc_lo
	s_delay_alu instid0(VALU_DEP_1) | instskip(NEXT) | instid1(VALU_DEP_1)
	v_dual_add_nc_u32 v16, 20, v0 :: v_dual_add_nc_u32 v18, 19, v0
	v_lshlrev_b64_e64 v[16:17], v16, -1
	s_delay_alu instid0(VALU_DEP_2) | instskip(NEXT) | instid1(VALU_DEP_2)
	v_lshlrev_b64_e64 v[18:19], v18, 1
	v_bfi_b32 v17, v17, 0, 0
	s_delay_alu instid0(VALU_DEP_3) | instskip(NEXT) | instid1(VALU_DEP_1)
	v_bfi_b32 v16, v16, 0, v2
	v_cmp_eq_u64_e64 s13, v[16:17], v[18:19]
	v_lshrrev_b64 v[16:17], v0, v[2:3]
	s_delay_alu instid0(VALU_DEP_1)
	v_mov_b64_e32 v[18:19], v[16:17]
	s_and_saveexec_b32 s75, s13
; %bb.9451:                             ;   in Loop: Header=BB6_7947 Depth=3
	v_bfe_u32 v2, v16, 20, 1
	s_delay_alu instid0(VALU_DEP_1) | instskip(NEXT) | instid1(VALU_DEP_1)
	v_add_nc_u64_e32 v[18:19], v[16:17], v[2:3]
	v_add_nc_u64_e32 v[18:19], -1, v[18:19]
; %bb.9452:                             ;   in Loop: Header=BB6_7947 Depth=3
	s_or_b32 exec_lo, exec_lo, s75
	v_add_nc_u32_e32 v2, 0xffffff81, v22
	v_lshrrev_b32_e32 v17, 23, v16
	s_mov_b32 s13, exec_lo
	s_delay_alu instid0(VALU_DEP_2) | instskip(NEXT) | instid1(VALU_DEP_1)
	v_cndmask_b32_e64 v2, v2, 0xffffff82, vcc_lo
	v_add3_u32 v19, v0, v2, v17
	v_and_b32_e32 v0, 0xfffff, v18
	s_delay_alu instid0(VALU_DEP_1) | instskip(NEXT) | instid1(VALU_DEP_1)
	v_dual_add_nc_u32 v18, 6, v19 :: v_dual_add_nc_u32 v2, v0, v16
                                        ; implicit-def: $vgpr16_vgpr17
                                        ; implicit-def: $vgpr0
	v_cmpx_ne_u32_e32 0, v18
	s_xor_b32 s13, exec_lo, s13
; %bb.9453:                             ;   in Loop: Header=BB6_7947 Depth=3
	s_delay_alu instid0(VALU_DEP_2) | instskip(SKIP_2) | instid1(VALU_DEP_2)
	v_cmp_lt_u64_e32 vcc_lo, 0xffffff, v[2:3]
	v_add_nc_u32_e32 v0, 7, v19
	v_cndmask_b32_e64 v16, 0, 1, vcc_lo
	v_cndmask_b32_e32 v0, v18, v0, vcc_lo
	s_delay_alu instid0(VALU_DEP_2)
	v_lshrrev_b64 v[16:17], v16, v[2:3]
; %bb.9454:                             ;   in Loop: Header=BB6_7947 Depth=3
	s_and_not1_saveexec_b32 s13, s13
; %bb.9455:                             ;   in Loop: Header=BB6_7947 Depth=3
	v_mov_b64_e32 v[16:17], v[2:3]
	v_bfe_u32 v0, v2, 23, 1
; %bb.9456:                             ;   in Loop: Header=BB6_7947 Depth=3
	s_or_b32 exec_lo, exec_lo, s13
	s_delay_alu instid0(VALU_DEP_2) | instskip(NEXT) | instid1(VALU_DEP_2)
	v_lshrrev_b64 v[16:17], 20, v[16:17]
	v_cmp_gt_i32_e32 vcc_lo, 16, v0
	v_min_i32_e32 v2, 15, v0
	v_cmp_eq_u32_e64 s13, 0, v0
	s_delay_alu instid0(VALU_DEP_2) | instskip(SKIP_1) | instid1(VALU_DEP_2)
	v_dual_cndmask_b32 v17, 0, v17 :: v_dual_lshlrev_b32 v2, 3, v2
	v_cndmask_b32_e32 v16, 7, v16, vcc_lo
	v_and_b32_e32 v2, 0xf8, v2
	s_delay_alu instid0(VALU_DEP_2) | instskip(NEXT) | instid1(VALU_DEP_2)
	v_cmp_eq_u64_e32 vcc_lo, 0, v[16:17]
	v_and_or_b32 v0, v16, 7, v2
	s_and_b32 s13, s13, vcc_lo
	s_delay_alu instid0(VALU_DEP_1) | instid1(SALU_CYCLE_1)
	v_cndmask_b32_e64 v0, v0, 0, s13
	s_delay_alu instid0(VALU_DEP_1)
	v_or_b32_e32 v22, v0, v23
.LBB6_9457:                             ;   in Loop: Header=BB6_7947 Depth=3
	s_or_b32 exec_lo, exec_lo, s74
                                        ; implicit-def: $vgpr23
.LBB6_9458:                             ;   in Loop: Header=BB6_7947 Depth=3
	s_and_not1_saveexec_b32 s13, s45
; %bb.9459:                             ;   in Loop: Header=BB6_7947 Depth=3
	v_or_b32_e32 v22, 0x7e, v23
; %bb.9460:                             ;   in Loop: Header=BB6_7947 Depth=3
	s_or_b32 exec_lo, exec_lo, s13
                                        ; implicit-def: $vgpr16
.LBB6_9461:                             ;   in Loop: Header=BB6_7947 Depth=3
	s_and_not1_saveexec_b32 s13, s44
; %bb.9462:                             ;   in Loop: Header=BB6_7947 Depth=3
	v_or_b32_e32 v22, 0x7f, v16
; %bb.9463:                             ;   in Loop: Header=BB6_7947 Depth=3
	s_or_b32 exec_lo, exec_lo, s13
	v_lshrrev_b16 v0, 8, v12
	v_dual_mov_b32 v18, 0 :: v_dual_mov_b32 v19, 0
	s_mov_b32 s13, exec_lo
	s_delay_alu instid0(VALU_DEP_2)
	v_cmpx_ne_u16_e32 0, v0
	s_cbranch_execz .LBB6_9471
; %bb.9464:                             ;   in Loop: Header=BB6_7947 Depth=3
	v_bfrev_b32_e32 v19, 1
	s_mov_b32 s44, exec_lo
	v_cmpx_ne_u16_e32 0x80, v0
	s_cbranch_execz .LBB6_9470
; %bb.9465:                             ;   in Loop: Header=BB6_7947 Depth=3
	v_and_b32_e32 v0, 0xffff, v0
	v_mov_b32_e32 v19, 0x7f800001
	s_mov_b32 s45, exec_lo
	s_delay_alu instid0(VALU_DEP_2) | instskip(NEXT) | instid1(VALU_DEP_1)
	v_and_b32_e32 v16, 0x7f, v0
	v_cmpx_ne_u32_e32 0x7f, v16
	s_cbranch_execz .LBB6_9469
; %bb.9466:                             ;   in Loop: Header=BB6_7947 Depth=3
	v_and_b32_e32 v2, 7, v0
	v_lshrrev_b32_e32 v0, 3, v16
	v_cmp_gt_u32_e32 vcc_lo, 8, v16
	s_delay_alu instid0(VALU_DEP_3)
	v_mov_b64_e32 v[16:17], v[2:3]
	s_and_saveexec_b32 s74, vcc_lo
; %bb.9467:                             ;   in Loop: Header=BB6_7947 Depth=3
	v_clz_i32_u32_e32 v0, v2
	s_delay_alu instid0(VALU_DEP_1) | instskip(NEXT) | instid1(VALU_DEP_1)
	v_min_u32_e32 v0, 32, v0
	v_subrev_nc_u32_e32 v16, 28, v0
	v_sub_nc_u32_e32 v0, 29, v0
	s_delay_alu instid0(VALU_DEP_2) | instskip(NEXT) | instid1(VALU_DEP_1)
	v_lshlrev_b64_e32 v[16:17], v16, v[2:3]
	v_and_b32_e32 v16, 7, v16
; %bb.9468:                             ;   in Loop: Header=BB6_7947 Depth=3
	s_or_b32 exec_lo, exec_lo, s74
	v_lshlrev_b32_e32 v2, 16, v12
	s_delay_alu instid0(VALU_DEP_2) | instskip(SKIP_1) | instid1(VALU_DEP_3)
	v_lshlrev_b32_e32 v16, 20, v16
	v_lshl_add_u32 v0, v0, 23, 0x3c000000
	v_and_b32_e32 v2, 0x80000000, v2
	s_delay_alu instid0(VALU_DEP_1)
	v_or3_b32 v19, v16, v2, v0
.LBB6_9469:                             ;   in Loop: Header=BB6_7947 Depth=3
	s_or_b32 exec_lo, exec_lo, s45
.LBB6_9470:                             ;   in Loop: Header=BB6_7947 Depth=3
	s_delay_alu instid0(SALU_CYCLE_1)
	s_or_b32 exec_lo, exec_lo, s44
.LBB6_9471:                             ;   in Loop: Header=BB6_7947 Depth=3
	s_delay_alu instid0(SALU_CYCLE_1) | instskip(SKIP_2) | instid1(VALU_DEP_1)
	s_or_b32 exec_lo, exec_lo, s13
	v_lshrrev_b16 v0, 8, v8
	s_mov_b32 s13, exec_lo
	v_cmpx_ne_u16_e32 0, v0
	s_cbranch_execz .LBB6_9479
; %bb.9472:                             ;   in Loop: Header=BB6_7947 Depth=3
	v_bfrev_b32_e32 v18, 1
	s_mov_b32 s44, exec_lo
	v_cmpx_ne_u16_e32 0x80, v0
	s_cbranch_execz .LBB6_9478
; %bb.9473:                             ;   in Loop: Header=BB6_7947 Depth=3
	v_and_b32_e32 v0, 0xffff, v0
	v_mov_b32_e32 v18, 0x7f800001
	s_mov_b32 s45, exec_lo
	s_delay_alu instid0(VALU_DEP_2) | instskip(NEXT) | instid1(VALU_DEP_1)
	v_and_b32_e32 v16, 0x7f, v0
	v_cmpx_ne_u32_e32 0x7f, v16
	s_cbranch_execz .LBB6_9477
; %bb.9474:                             ;   in Loop: Header=BB6_7947 Depth=3
	v_and_b32_e32 v2, 7, v0
	v_lshrrev_b32_e32 v0, 3, v16
	v_cmp_gt_u32_e32 vcc_lo, 8, v16
	s_delay_alu instid0(VALU_DEP_3)
	v_mov_b64_e32 v[16:17], v[2:3]
	s_and_saveexec_b32 s74, vcc_lo
; %bb.9475:                             ;   in Loop: Header=BB6_7947 Depth=3
	v_clz_i32_u32_e32 v0, v2
	s_delay_alu instid0(VALU_DEP_1) | instskip(NEXT) | instid1(VALU_DEP_1)
	v_min_u32_e32 v0, 32, v0
	v_subrev_nc_u32_e32 v16, 28, v0
	v_sub_nc_u32_e32 v0, 29, v0
	s_delay_alu instid0(VALU_DEP_2) | instskip(NEXT) | instid1(VALU_DEP_1)
	v_lshlrev_b64_e32 v[16:17], v16, v[2:3]
	v_and_b32_e32 v16, 7, v16
; %bb.9476:                             ;   in Loop: Header=BB6_7947 Depth=3
	s_or_b32 exec_lo, exec_lo, s74
	v_lshlrev_b32_e32 v2, 16, v8
	s_delay_alu instid0(VALU_DEP_2) | instskip(SKIP_1) | instid1(VALU_DEP_3)
	v_lshlrev_b32_e32 v16, 20, v16
	v_lshl_add_u32 v0, v0, 23, 0x3c000000
	v_and_b32_e32 v2, 0x80000000, v2
	s_delay_alu instid0(VALU_DEP_1)
	v_or3_b32 v18, v16, v2, v0
.LBB6_9477:                             ;   in Loop: Header=BB6_7947 Depth=3
	s_or_b32 exec_lo, exec_lo, s45
.LBB6_9478:                             ;   in Loop: Header=BB6_7947 Depth=3
	s_delay_alu instid0(SALU_CYCLE_1)
	s_or_b32 exec_lo, exec_lo, s44
.LBB6_9479:                             ;   in Loop: Header=BB6_7947 Depth=3
	s_delay_alu instid0(SALU_CYCLE_1) | instskip(NEXT) | instid1(VALU_DEP_1)
	s_or_b32 exec_lo, exec_lo, s13
	v_add_f32_e32 v0, v19, v18
                                        ; implicit-def: $vgpr23
	s_mov_b32 s13, exec_lo
	s_delay_alu instid0(VALU_DEP_1) | instskip(SKIP_1) | instid1(VALU_DEP_2)
	v_and_b32_e32 v2, 0x7f800000, v0
	v_lshrrev_b32_e32 v16, 24, v0
	v_cmpx_ne_u64_e32 0x7f800000, v[2:3]
	s_xor_b32 s44, exec_lo, s13
	s_cbranch_execz .LBB6_9493
; %bb.9480:                             ;   in Loop: Header=BB6_7947 Depth=3
	v_and_b32_e32 v2, 0x7fffffff, v0
	v_and_b32_e32 v66, 0x80, v16
                                        ; implicit-def: $vgpr23
	s_mov_b32 s13, exec_lo
	s_delay_alu instid0(VALU_DEP_2)
	v_cmpx_gt_u64_e32 0x43e00001, v[2:3]
	s_xor_b32 s45, exec_lo, s13
	s_cbranch_execz .LBB6_9490
; %bb.9481:                             ;   in Loop: Header=BB6_7947 Depth=3
	v_mov_b32_e32 v23, 0
	s_mov_b32 s74, exec_lo
	v_cmpx_ne_u32_e32 0, v0
	s_cbranch_execz .LBB6_9489
; %bb.9482:                             ;   in Loop: Header=BB6_7947 Depth=3
	v_bfe_u32 v23, v0, 23, 8
	v_and_b32_e32 v2, 0x7fffff, v0
	s_delay_alu instid0(VALU_DEP_2) | instskip(SKIP_2) | instid1(VALU_DEP_4)
	v_cmp_gt_u32_e64 s13, 0x7a, v23
	v_sub_nc_u32_e32 v0, 0x79, v23
	v_cmp_eq_u32_e32 vcc_lo, 0, v23
	v_or_b32_e32 v16, 0x800000, v2
	s_delay_alu instid0(VALU_DEP_1) | instskip(NEXT) | instid1(VALU_DEP_1)
	v_dual_cndmask_b32 v0, 0, v0, s13 :: v_dual_cndmask_b32 v2, v16, v2, vcc_lo
	v_cndmask_b32_e64 v0, v0, 0x78, vcc_lo
	s_delay_alu instid0(VALU_DEP_1) | instskip(NEXT) | instid1(VALU_DEP_1)
	v_dual_add_nc_u32 v16, 20, v0 :: v_dual_add_nc_u32 v18, 19, v0
	v_lshlrev_b64_e64 v[16:17], v16, -1
	s_delay_alu instid0(VALU_DEP_2) | instskip(NEXT) | instid1(VALU_DEP_2)
	v_lshlrev_b64_e64 v[18:19], v18, 1
	v_bfi_b32 v17, v17, 0, 0
	s_delay_alu instid0(VALU_DEP_3) | instskip(NEXT) | instid1(VALU_DEP_1)
	v_bfi_b32 v16, v16, 0, v2
	v_cmp_eq_u64_e64 s13, v[16:17], v[18:19]
	v_lshrrev_b64 v[16:17], v0, v[2:3]
	s_delay_alu instid0(VALU_DEP_1)
	v_mov_b64_e32 v[18:19], v[16:17]
	s_and_saveexec_b32 s75, s13
; %bb.9483:                             ;   in Loop: Header=BB6_7947 Depth=3
	v_bfe_u32 v2, v16, 20, 1
	s_delay_alu instid0(VALU_DEP_1) | instskip(NEXT) | instid1(VALU_DEP_1)
	v_add_nc_u64_e32 v[18:19], v[16:17], v[2:3]
	v_add_nc_u64_e32 v[18:19], -1, v[18:19]
; %bb.9484:                             ;   in Loop: Header=BB6_7947 Depth=3
	s_or_b32 exec_lo, exec_lo, s75
	v_add_nc_u32_e32 v2, 0xffffff81, v23
	v_lshrrev_b32_e32 v17, 23, v16
	s_mov_b32 s13, exec_lo
	s_delay_alu instid0(VALU_DEP_2) | instskip(NEXT) | instid1(VALU_DEP_1)
	v_cndmask_b32_e64 v2, v2, 0xffffff82, vcc_lo
	v_add3_u32 v19, v0, v2, v17
	v_and_b32_e32 v0, 0xfffff, v18
	s_delay_alu instid0(VALU_DEP_1) | instskip(NEXT) | instid1(VALU_DEP_1)
	v_dual_add_nc_u32 v18, 6, v19 :: v_dual_add_nc_u32 v2, v0, v16
                                        ; implicit-def: $vgpr16_vgpr17
                                        ; implicit-def: $vgpr0
	v_cmpx_ne_u32_e32 0, v18
	s_xor_b32 s13, exec_lo, s13
; %bb.9485:                             ;   in Loop: Header=BB6_7947 Depth=3
	s_delay_alu instid0(VALU_DEP_2) | instskip(SKIP_2) | instid1(VALU_DEP_2)
	v_cmp_lt_u64_e32 vcc_lo, 0xffffff, v[2:3]
	v_add_nc_u32_e32 v0, 7, v19
	v_cndmask_b32_e64 v16, 0, 1, vcc_lo
	v_cndmask_b32_e32 v0, v18, v0, vcc_lo
	s_delay_alu instid0(VALU_DEP_2)
	v_lshrrev_b64 v[16:17], v16, v[2:3]
; %bb.9486:                             ;   in Loop: Header=BB6_7947 Depth=3
	s_and_not1_saveexec_b32 s13, s13
; %bb.9487:                             ;   in Loop: Header=BB6_7947 Depth=3
	v_mov_b64_e32 v[16:17], v[2:3]
	v_bfe_u32 v0, v2, 23, 1
; %bb.9488:                             ;   in Loop: Header=BB6_7947 Depth=3
	s_or_b32 exec_lo, exec_lo, s13
	s_delay_alu instid0(VALU_DEP_2) | instskip(NEXT) | instid1(VALU_DEP_2)
	v_lshrrev_b64 v[16:17], 20, v[16:17]
	v_cmp_gt_i32_e32 vcc_lo, 16, v0
	v_min_i32_e32 v2, 15, v0
	v_cmp_eq_u32_e64 s13, 0, v0
	s_delay_alu instid0(VALU_DEP_2) | instskip(SKIP_1) | instid1(VALU_DEP_2)
	v_dual_cndmask_b32 v17, 0, v17 :: v_dual_lshlrev_b32 v2, 3, v2
	v_cndmask_b32_e32 v16, 7, v16, vcc_lo
	v_and_b32_e32 v2, 0xf8, v2
	s_delay_alu instid0(VALU_DEP_2) | instskip(NEXT) | instid1(VALU_DEP_2)
	v_cmp_eq_u64_e32 vcc_lo, 0, v[16:17]
	v_and_or_b32 v0, v16, 7, v2
	s_and_b32 s13, s13, vcc_lo
	s_delay_alu instid0(VALU_DEP_1) | instid1(SALU_CYCLE_1)
	v_cndmask_b32_e64 v0, v0, 0, s13
	s_delay_alu instid0(VALU_DEP_1)
	v_or_b32_e32 v23, v0, v66
.LBB6_9489:                             ;   in Loop: Header=BB6_7947 Depth=3
	s_or_b32 exec_lo, exec_lo, s74
                                        ; implicit-def: $vgpr66
.LBB6_9490:                             ;   in Loop: Header=BB6_7947 Depth=3
	s_and_not1_saveexec_b32 s13, s45
; %bb.9491:                             ;   in Loop: Header=BB6_7947 Depth=3
	v_or_b32_e32 v23, 0x7e, v66
; %bb.9492:                             ;   in Loop: Header=BB6_7947 Depth=3
	s_or_b32 exec_lo, exec_lo, s13
                                        ; implicit-def: $vgpr16
.LBB6_9493:                             ;   in Loop: Header=BB6_7947 Depth=3
	s_and_not1_saveexec_b32 s13, s44
; %bb.9494:                             ;   in Loop: Header=BB6_7947 Depth=3
	v_or_b32_e32 v23, 0x7f, v16
; %bb.9495:                             ;   in Loop: Header=BB6_7947 Depth=3
	s_or_b32 exec_lo, exec_lo, s13
	v_dual_lshrrev_b32 v0, 16, v12 :: v_dual_mov_b32 v18, 0
	v_mov_b32_e32 v19, 0
	s_mov_b32 s13, exec_lo
	s_delay_alu instid0(VALU_DEP_2) | instskip(NEXT) | instid1(VALU_DEP_1)
	v_and_b32_e32 v2, 0xff, v0
	v_cmpx_ne_u16_e32 0, v2
	s_cbranch_execz .LBB6_9503
; %bb.9496:                             ;   in Loop: Header=BB6_7947 Depth=3
	v_bfrev_b32_e32 v19, 1
	s_mov_b32 s44, exec_lo
	v_cmpx_ne_u16_e32 0x80, v2
	s_cbranch_execz .LBB6_9502
; %bb.9497:                             ;   in Loop: Header=BB6_7947 Depth=3
	v_bfe_u32 v16, v12, 16, 7
	v_mov_b32_e32 v19, 0x7f800001
	s_mov_b32 s45, exec_lo
	s_delay_alu instid0(VALU_DEP_2)
	v_cmpx_ne_u32_e32 0x7f, v16
	s_cbranch_execz .LBB6_9501
; %bb.9498:                             ;   in Loop: Header=BB6_7947 Depth=3
	v_and_b32_e32 v2, 7, v0
	v_lshrrev_b32_e32 v19, 3, v16
	v_cmp_gt_u32_e32 vcc_lo, 8, v16
	s_delay_alu instid0(VALU_DEP_3)
	v_mov_b64_e32 v[16:17], v[2:3]
	s_and_saveexec_b32 s74, vcc_lo
; %bb.9499:                             ;   in Loop: Header=BB6_7947 Depth=3
	v_clz_i32_u32_e32 v16, v2
	s_delay_alu instid0(VALU_DEP_1) | instskip(NEXT) | instid1(VALU_DEP_1)
	v_min_u32_e32 v19, 32, v16
	v_subrev_nc_u32_e32 v16, 28, v19
	s_delay_alu instid0(VALU_DEP_1) | instskip(NEXT) | instid1(VALU_DEP_1)
	v_lshlrev_b64_e32 v[16:17], v16, v[2:3]
	v_dual_sub_nc_u32 v19, 29, v19 :: v_dual_bitop2_b32 v16, 7, v16 bitop3:0x40
; %bb.9500:                             ;   in Loop: Header=BB6_7947 Depth=3
	s_or_b32 exec_lo, exec_lo, s74
	v_lshlrev_b32_e32 v0, 24, v0
	s_delay_alu instid0(VALU_DEP_2) | instskip(NEXT) | instid1(VALU_DEP_3)
	v_lshlrev_b32_e32 v2, 20, v16
	v_lshl_add_u32 v16, v19, 23, 0x3c000000
	s_delay_alu instid0(VALU_DEP_3) | instskip(NEXT) | instid1(VALU_DEP_1)
	v_and_b32_e32 v0, 0x80000000, v0
	v_or3_b32 v19, v2, v0, v16
.LBB6_9501:                             ;   in Loop: Header=BB6_7947 Depth=3
	s_or_b32 exec_lo, exec_lo, s45
.LBB6_9502:                             ;   in Loop: Header=BB6_7947 Depth=3
	s_delay_alu instid0(SALU_CYCLE_1)
	s_or_b32 exec_lo, exec_lo, s44
.LBB6_9503:                             ;   in Loop: Header=BB6_7947 Depth=3
	s_delay_alu instid0(SALU_CYCLE_1) | instskip(SKIP_2) | instid1(VALU_DEP_1)
	s_or_b32 exec_lo, exec_lo, s13
	v_lshrrev_b32_e32 v0, 16, v8
	s_mov_b32 s13, exec_lo
	v_and_b32_e32 v2, 0xff, v0
	s_delay_alu instid0(VALU_DEP_1)
	v_cmpx_ne_u16_e32 0, v2
	s_cbranch_execz .LBB6_9511
; %bb.9504:                             ;   in Loop: Header=BB6_7947 Depth=3
	v_bfrev_b32_e32 v18, 1
	s_mov_b32 s44, exec_lo
	v_cmpx_ne_u16_e32 0x80, v2
	s_cbranch_execz .LBB6_9510
; %bb.9505:                             ;   in Loop: Header=BB6_7947 Depth=3
	v_bfe_u32 v16, v8, 16, 7
	v_mov_b32_e32 v18, 0x7f800001
	s_mov_b32 s45, exec_lo
	s_delay_alu instid0(VALU_DEP_2)
	v_cmpx_ne_u32_e32 0x7f, v16
	s_cbranch_execz .LBB6_9509
; %bb.9506:                             ;   in Loop: Header=BB6_7947 Depth=3
	v_and_b32_e32 v2, 7, v0
	v_lshrrev_b32_e32 v0, 3, v16
	v_cmp_gt_u32_e32 vcc_lo, 8, v16
	s_delay_alu instid0(VALU_DEP_3)
	v_mov_b64_e32 v[16:17], v[2:3]
	s_and_saveexec_b32 s74, vcc_lo
; %bb.9507:                             ;   in Loop: Header=BB6_7947 Depth=3
	v_clz_i32_u32_e32 v0, v2
	s_delay_alu instid0(VALU_DEP_1) | instskip(NEXT) | instid1(VALU_DEP_1)
	v_min_u32_e32 v0, 32, v0
	v_subrev_nc_u32_e32 v16, 28, v0
	v_sub_nc_u32_e32 v0, 29, v0
	s_delay_alu instid0(VALU_DEP_2) | instskip(NEXT) | instid1(VALU_DEP_1)
	v_lshlrev_b64_e32 v[16:17], v16, v[2:3]
	v_and_b32_e32 v16, 7, v16
; %bb.9508:                             ;   in Loop: Header=BB6_7947 Depth=3
	s_or_b32 exec_lo, exec_lo, s74
	v_lshlrev_b32_e32 v2, 8, v8
	s_delay_alu instid0(VALU_DEP_2) | instskip(SKIP_1) | instid1(VALU_DEP_3)
	v_lshlrev_b32_e32 v16, 20, v16
	v_lshl_add_u32 v0, v0, 23, 0x3c000000
	v_and_b32_e32 v2, 0x80000000, v2
	s_delay_alu instid0(VALU_DEP_1)
	v_or3_b32 v18, v16, v2, v0
.LBB6_9509:                             ;   in Loop: Header=BB6_7947 Depth=3
	s_or_b32 exec_lo, exec_lo, s45
.LBB6_9510:                             ;   in Loop: Header=BB6_7947 Depth=3
	s_delay_alu instid0(SALU_CYCLE_1)
	s_or_b32 exec_lo, exec_lo, s44
.LBB6_9511:                             ;   in Loop: Header=BB6_7947 Depth=3
	s_delay_alu instid0(SALU_CYCLE_1) | instskip(NEXT) | instid1(VALU_DEP_1)
	s_or_b32 exec_lo, exec_lo, s13
	v_add_f32_e32 v0, v19, v18
                                        ; implicit-def: $vgpr57
	s_mov_b32 s13, exec_lo
	s_delay_alu instid0(VALU_DEP_1) | instskip(SKIP_1) | instid1(VALU_DEP_2)
	v_and_b32_e32 v2, 0x7f800000, v0
	v_lshrrev_b32_e32 v16, 24, v0
	v_cmpx_ne_u64_e32 0x7f800000, v[2:3]
	s_xor_b32 s44, exec_lo, s13
	s_cbranch_execz .LBB6_9525
; %bb.9512:                             ;   in Loop: Header=BB6_7947 Depth=3
	v_and_b32_e32 v2, 0x7fffffff, v0
	v_and_b32_e32 v66, 0x80, v16
                                        ; implicit-def: $vgpr57
	s_mov_b32 s13, exec_lo
	s_delay_alu instid0(VALU_DEP_2)
	v_cmpx_gt_u64_e32 0x43e00001, v[2:3]
	s_xor_b32 s45, exec_lo, s13
	s_cbranch_execz .LBB6_9522
; %bb.9513:                             ;   in Loop: Header=BB6_7947 Depth=3
	v_mov_b32_e32 v57, 0
	s_mov_b32 s74, exec_lo
	v_cmpx_ne_u32_e32 0, v0
	s_cbranch_execz .LBB6_9521
; %bb.9514:                             ;   in Loop: Header=BB6_7947 Depth=3
	v_bfe_u32 v67, v0, 23, 8
	v_and_b32_e32 v2, 0x7fffff, v0
	s_delay_alu instid0(VALU_DEP_2) | instskip(SKIP_2) | instid1(VALU_DEP_4)
	v_cmp_gt_u32_e64 s13, 0x7a, v67
	v_sub_nc_u32_e32 v0, 0x79, v67
	v_cmp_eq_u32_e32 vcc_lo, 0, v67
	v_or_b32_e32 v16, 0x800000, v2
	s_delay_alu instid0(VALU_DEP_1) | instskip(NEXT) | instid1(VALU_DEP_1)
	v_dual_cndmask_b32 v0, 0, v0, s13 :: v_dual_cndmask_b32 v2, v16, v2, vcc_lo
	v_cndmask_b32_e64 v0, v0, 0x78, vcc_lo
	s_delay_alu instid0(VALU_DEP_1) | instskip(NEXT) | instid1(VALU_DEP_1)
	v_dual_add_nc_u32 v16, 20, v0 :: v_dual_add_nc_u32 v18, 19, v0
	v_lshlrev_b64_e64 v[16:17], v16, -1
	s_delay_alu instid0(VALU_DEP_2) | instskip(NEXT) | instid1(VALU_DEP_2)
	v_lshlrev_b64_e64 v[18:19], v18, 1
	v_bfi_b32 v17, v17, 0, 0
	s_delay_alu instid0(VALU_DEP_3) | instskip(NEXT) | instid1(VALU_DEP_1)
	v_bfi_b32 v16, v16, 0, v2
	v_cmp_eq_u64_e64 s13, v[16:17], v[18:19]
	v_lshrrev_b64 v[16:17], v0, v[2:3]
	s_delay_alu instid0(VALU_DEP_1)
	v_mov_b64_e32 v[18:19], v[16:17]
	s_and_saveexec_b32 s75, s13
; %bb.9515:                             ;   in Loop: Header=BB6_7947 Depth=3
	v_bfe_u32 v2, v16, 20, 1
	s_delay_alu instid0(VALU_DEP_1) | instskip(NEXT) | instid1(VALU_DEP_1)
	v_add_nc_u64_e32 v[18:19], v[16:17], v[2:3]
	v_add_nc_u64_e32 v[18:19], -1, v[18:19]
; %bb.9516:                             ;   in Loop: Header=BB6_7947 Depth=3
	s_or_b32 exec_lo, exec_lo, s75
	v_add_nc_u32_e32 v2, 0xffffff81, v67
	v_lshrrev_b32_e32 v17, 23, v16
	s_mov_b32 s13, exec_lo
	s_delay_alu instid0(VALU_DEP_2) | instskip(NEXT) | instid1(VALU_DEP_1)
	v_cndmask_b32_e64 v2, v2, 0xffffff82, vcc_lo
	v_add3_u32 v19, v0, v2, v17
	v_and_b32_e32 v0, 0xfffff, v18
	s_delay_alu instid0(VALU_DEP_1) | instskip(NEXT) | instid1(VALU_DEP_1)
	v_dual_add_nc_u32 v18, 6, v19 :: v_dual_add_nc_u32 v2, v0, v16
                                        ; implicit-def: $vgpr16_vgpr17
                                        ; implicit-def: $vgpr0
	v_cmpx_ne_u32_e32 0, v18
	s_xor_b32 s13, exec_lo, s13
; %bb.9517:                             ;   in Loop: Header=BB6_7947 Depth=3
	s_delay_alu instid0(VALU_DEP_2) | instskip(SKIP_2) | instid1(VALU_DEP_2)
	v_cmp_lt_u64_e32 vcc_lo, 0xffffff, v[2:3]
	v_add_nc_u32_e32 v0, 7, v19
	v_cndmask_b32_e64 v16, 0, 1, vcc_lo
	v_cndmask_b32_e32 v0, v18, v0, vcc_lo
	s_delay_alu instid0(VALU_DEP_2)
	v_lshrrev_b64 v[16:17], v16, v[2:3]
; %bb.9518:                             ;   in Loop: Header=BB6_7947 Depth=3
	s_and_not1_saveexec_b32 s13, s13
; %bb.9519:                             ;   in Loop: Header=BB6_7947 Depth=3
	v_mov_b64_e32 v[16:17], v[2:3]
	v_bfe_u32 v0, v2, 23, 1
; %bb.9520:                             ;   in Loop: Header=BB6_7947 Depth=3
	s_or_b32 exec_lo, exec_lo, s13
	s_delay_alu instid0(VALU_DEP_2) | instskip(NEXT) | instid1(VALU_DEP_2)
	v_lshrrev_b64 v[16:17], 20, v[16:17]
	v_cmp_gt_i32_e32 vcc_lo, 16, v0
	v_min_i32_e32 v2, 15, v0
	v_cmp_eq_u32_e64 s13, 0, v0
	s_delay_alu instid0(VALU_DEP_2) | instskip(SKIP_1) | instid1(VALU_DEP_2)
	v_dual_cndmask_b32 v17, 0, v17 :: v_dual_lshlrev_b32 v2, 3, v2
	v_cndmask_b32_e32 v16, 7, v16, vcc_lo
	v_and_b32_e32 v2, 0xf8, v2
	s_delay_alu instid0(VALU_DEP_2) | instskip(NEXT) | instid1(VALU_DEP_2)
	v_cmp_eq_u64_e32 vcc_lo, 0, v[16:17]
	v_and_or_b32 v0, v16, 7, v2
	s_and_b32 s13, s13, vcc_lo
	s_delay_alu instid0(VALU_DEP_1) | instid1(SALU_CYCLE_1)
	v_cndmask_b32_e64 v0, v0, 0, s13
	s_delay_alu instid0(VALU_DEP_1)
	v_or_b32_e32 v57, v0, v66
.LBB6_9521:                             ;   in Loop: Header=BB6_7947 Depth=3
	s_or_b32 exec_lo, exec_lo, s74
                                        ; implicit-def: $vgpr66
.LBB6_9522:                             ;   in Loop: Header=BB6_7947 Depth=3
	s_and_not1_saveexec_b32 s13, s45
; %bb.9523:                             ;   in Loop: Header=BB6_7947 Depth=3
	v_or_b32_e32 v57, 0x7e, v66
; %bb.9524:                             ;   in Loop: Header=BB6_7947 Depth=3
	s_or_b32 exec_lo, exec_lo, s13
                                        ; implicit-def: $vgpr16
.LBB6_9525:                             ;   in Loop: Header=BB6_7947 Depth=3
	s_and_not1_saveexec_b32 s13, s44
; %bb.9526:                             ;   in Loop: Header=BB6_7947 Depth=3
	v_or_b32_e32 v57, 0x7f, v16
; %bb.9527:                             ;   in Loop: Header=BB6_7947 Depth=3
	s_or_b32 exec_lo, exec_lo, s13
	v_dual_mov_b32 v18, 0 :: v_dual_mov_b32 v19, 0
	s_mov_b32 s13, exec_lo
	v_cmpx_lt_u32_e32 0xffffff, v12
	s_cbranch_execz .LBB6_9535
; %bb.9528:                             ;   in Loop: Header=BB6_7947 Depth=3
	v_lshrrev_b32_e32 v0, 24, v12
	v_bfrev_b32_e32 v19, 1
	s_mov_b32 s44, exec_lo
	s_delay_alu instid0(VALU_DEP_2)
	v_cmpx_ne_u32_e32 0x80, v0
	s_cbranch_execz .LBB6_9534
; %bb.9529:                             ;   in Loop: Header=BB6_7947 Depth=3
	v_bfe_u32 v16, v12, 24, 7
	v_mov_b32_e32 v19, 0x7f800001
	s_mov_b32 s45, exec_lo
	s_delay_alu instid0(VALU_DEP_2)
	v_cmpx_ne_u32_e32 0x7f, v16
	s_cbranch_execz .LBB6_9533
; %bb.9530:                             ;   in Loop: Header=BB6_7947 Depth=3
	v_and_b32_e32 v2, 7, v0
	v_lshrrev_b32_e32 v19, 3, v16
	v_cmp_gt_u32_e32 vcc_lo, 8, v16
	s_delay_alu instid0(VALU_DEP_3)
	v_mov_b64_e32 v[16:17], v[2:3]
	s_and_saveexec_b32 s74, vcc_lo
; %bb.9531:                             ;   in Loop: Header=BB6_7947 Depth=3
	v_clz_i32_u32_e32 v16, v2
	s_delay_alu instid0(VALU_DEP_1) | instskip(NEXT) | instid1(VALU_DEP_1)
	v_min_u32_e32 v19, 32, v16
	v_subrev_nc_u32_e32 v16, 28, v19
	s_delay_alu instid0(VALU_DEP_1) | instskip(NEXT) | instid1(VALU_DEP_1)
	v_lshlrev_b64_e32 v[16:17], v16, v[2:3]
	v_dual_sub_nc_u32 v19, 29, v19 :: v_dual_bitop2_b32 v16, 7, v16 bitop3:0x40
; %bb.9532:                             ;   in Loop: Header=BB6_7947 Depth=3
	s_or_b32 exec_lo, exec_lo, s74
	v_lshlrev_b32_e32 v0, 24, v0
	s_delay_alu instid0(VALU_DEP_2) | instskip(NEXT) | instid1(VALU_DEP_3)
	v_lshlrev_b32_e32 v2, 20, v16
	v_lshl_add_u32 v16, v19, 23, 0x3c000000
	s_delay_alu instid0(VALU_DEP_3) | instskip(NEXT) | instid1(VALU_DEP_1)
	v_and_b32_e32 v0, 0x80000000, v0
	v_or3_b32 v19, v2, v0, v16
.LBB6_9533:                             ;   in Loop: Header=BB6_7947 Depth=3
	s_or_b32 exec_lo, exec_lo, s45
.LBB6_9534:                             ;   in Loop: Header=BB6_7947 Depth=3
	s_delay_alu instid0(SALU_CYCLE_1)
	s_or_b32 exec_lo, exec_lo, s44
.LBB6_9535:                             ;   in Loop: Header=BB6_7947 Depth=3
	s_delay_alu instid0(SALU_CYCLE_1) | instskip(NEXT) | instid1(SALU_CYCLE_1)
	s_or_b32 exec_lo, exec_lo, s13
	s_mov_b32 s13, exec_lo
	v_cmpx_lt_u32_e32 0xffffff, v8
	s_cbranch_execz .LBB6_9543
; %bb.9536:                             ;   in Loop: Header=BB6_7947 Depth=3
	v_lshrrev_b32_e32 v0, 24, v8
	v_bfrev_b32_e32 v18, 1
	s_mov_b32 s44, exec_lo
	s_delay_alu instid0(VALU_DEP_2)
	v_cmpx_ne_u32_e32 0x80, v0
	s_cbranch_execz .LBB6_9542
; %bb.9537:                             ;   in Loop: Header=BB6_7947 Depth=3
	v_bfe_u32 v16, v8, 24, 7
	v_mov_b32_e32 v18, 0x7f800001
	s_mov_b32 s45, exec_lo
	s_delay_alu instid0(VALU_DEP_2)
	v_cmpx_ne_u32_e32 0x7f, v16
	s_cbranch_execz .LBB6_9541
; %bb.9538:                             ;   in Loop: Header=BB6_7947 Depth=3
	v_and_b32_e32 v2, 7, v0
	v_lshrrev_b32_e32 v18, 3, v16
	v_cmp_gt_u32_e32 vcc_lo, 8, v16
	s_delay_alu instid0(VALU_DEP_3)
	v_mov_b64_e32 v[16:17], v[2:3]
	s_and_saveexec_b32 s74, vcc_lo
; %bb.9539:                             ;   in Loop: Header=BB6_7947 Depth=3
	v_clz_i32_u32_e32 v16, v2
	s_delay_alu instid0(VALU_DEP_1) | instskip(NEXT) | instid1(VALU_DEP_1)
	v_min_u32_e32 v18, 32, v16
	v_subrev_nc_u32_e32 v16, 28, v18
	s_delay_alu instid0(VALU_DEP_1) | instskip(NEXT) | instid1(VALU_DEP_1)
	v_lshlrev_b64_e32 v[16:17], v16, v[2:3]
	v_dual_sub_nc_u32 v18, 29, v18 :: v_dual_bitop2_b32 v16, 7, v16 bitop3:0x40
; %bb.9540:                             ;   in Loop: Header=BB6_7947 Depth=3
	s_or_b32 exec_lo, exec_lo, s74
	v_lshlrev_b32_e32 v0, 24, v0
	s_delay_alu instid0(VALU_DEP_2) | instskip(NEXT) | instid1(VALU_DEP_3)
	v_lshlrev_b32_e32 v2, 20, v16
	v_lshl_add_u32 v16, v18, 23, 0x3c000000
	s_delay_alu instid0(VALU_DEP_3) | instskip(NEXT) | instid1(VALU_DEP_1)
	v_and_b32_e32 v0, 0x80000000, v0
	v_or3_b32 v18, v2, v0, v16
.LBB6_9541:                             ;   in Loop: Header=BB6_7947 Depth=3
	s_or_b32 exec_lo, exec_lo, s45
.LBB6_9542:                             ;   in Loop: Header=BB6_7947 Depth=3
	s_delay_alu instid0(SALU_CYCLE_1)
	s_or_b32 exec_lo, exec_lo, s44
.LBB6_9543:                             ;   in Loop: Header=BB6_7947 Depth=3
	s_delay_alu instid0(SALU_CYCLE_1) | instskip(NEXT) | instid1(VALU_DEP_1)
	s_or_b32 exec_lo, exec_lo, s13
	v_add_f32_e32 v0, v19, v18
                                        ; implicit-def: $vgpr46
	s_mov_b32 s13, exec_lo
	s_delay_alu instid0(VALU_DEP_1) | instskip(SKIP_1) | instid1(VALU_DEP_2)
	v_and_b32_e32 v2, 0x7f800000, v0
	v_lshrrev_b32_e32 v16, 24, v0
	v_cmpx_ne_u64_e32 0x7f800000, v[2:3]
	s_xor_b32 s44, exec_lo, s13
	s_cbranch_execz .LBB6_9557
; %bb.9544:                             ;   in Loop: Header=BB6_7947 Depth=3
	v_and_b32_e32 v2, 0x7fffffff, v0
	v_and_b32_e32 v66, 0x80, v16
                                        ; implicit-def: $vgpr46
	s_mov_b32 s13, exec_lo
	s_delay_alu instid0(VALU_DEP_2)
	v_cmpx_gt_u64_e32 0x43e00001, v[2:3]
	s_xor_b32 s45, exec_lo, s13
	s_cbranch_execz .LBB6_9554
; %bb.9545:                             ;   in Loop: Header=BB6_7947 Depth=3
	v_mov_b32_e32 v46, 0
	s_mov_b32 s74, exec_lo
	v_cmpx_ne_u32_e32 0, v0
	s_cbranch_execz .LBB6_9553
; %bb.9546:                             ;   in Loop: Header=BB6_7947 Depth=3
	v_bfe_u32 v67, v0, 23, 8
	v_and_b32_e32 v2, 0x7fffff, v0
	s_delay_alu instid0(VALU_DEP_2) | instskip(SKIP_2) | instid1(VALU_DEP_4)
	v_cmp_gt_u32_e64 s13, 0x7a, v67
	v_sub_nc_u32_e32 v0, 0x79, v67
	v_cmp_eq_u32_e32 vcc_lo, 0, v67
	v_or_b32_e32 v16, 0x800000, v2
	s_delay_alu instid0(VALU_DEP_1) | instskip(NEXT) | instid1(VALU_DEP_1)
	v_dual_cndmask_b32 v0, 0, v0, s13 :: v_dual_cndmask_b32 v2, v16, v2, vcc_lo
	v_cndmask_b32_e64 v0, v0, 0x78, vcc_lo
	s_delay_alu instid0(VALU_DEP_1) | instskip(NEXT) | instid1(VALU_DEP_1)
	v_dual_add_nc_u32 v16, 20, v0 :: v_dual_add_nc_u32 v18, 19, v0
	v_lshlrev_b64_e64 v[16:17], v16, -1
	s_delay_alu instid0(VALU_DEP_2) | instskip(NEXT) | instid1(VALU_DEP_2)
	v_lshlrev_b64_e64 v[18:19], v18, 1
	v_bfi_b32 v17, v17, 0, 0
	s_delay_alu instid0(VALU_DEP_3) | instskip(NEXT) | instid1(VALU_DEP_1)
	v_bfi_b32 v16, v16, 0, v2
	v_cmp_eq_u64_e64 s13, v[16:17], v[18:19]
	v_lshrrev_b64 v[16:17], v0, v[2:3]
	s_delay_alu instid0(VALU_DEP_1)
	v_mov_b64_e32 v[18:19], v[16:17]
	s_and_saveexec_b32 s75, s13
; %bb.9547:                             ;   in Loop: Header=BB6_7947 Depth=3
	v_bfe_u32 v2, v16, 20, 1
	s_delay_alu instid0(VALU_DEP_1) | instskip(NEXT) | instid1(VALU_DEP_1)
	v_add_nc_u64_e32 v[18:19], v[16:17], v[2:3]
	v_add_nc_u64_e32 v[18:19], -1, v[18:19]
; %bb.9548:                             ;   in Loop: Header=BB6_7947 Depth=3
	s_or_b32 exec_lo, exec_lo, s75
	v_add_nc_u32_e32 v2, 0xffffff81, v67
	v_lshrrev_b32_e32 v17, 23, v16
	s_mov_b32 s13, exec_lo
	s_delay_alu instid0(VALU_DEP_2) | instskip(NEXT) | instid1(VALU_DEP_1)
	v_cndmask_b32_e64 v2, v2, 0xffffff82, vcc_lo
	v_add3_u32 v19, v0, v2, v17
	v_and_b32_e32 v0, 0xfffff, v18
	s_delay_alu instid0(VALU_DEP_1) | instskip(NEXT) | instid1(VALU_DEP_1)
	v_dual_add_nc_u32 v18, 6, v19 :: v_dual_add_nc_u32 v2, v0, v16
                                        ; implicit-def: $vgpr16_vgpr17
                                        ; implicit-def: $vgpr0
	v_cmpx_ne_u32_e32 0, v18
	s_xor_b32 s13, exec_lo, s13
; %bb.9549:                             ;   in Loop: Header=BB6_7947 Depth=3
	s_delay_alu instid0(VALU_DEP_2) | instskip(SKIP_2) | instid1(VALU_DEP_2)
	v_cmp_lt_u64_e32 vcc_lo, 0xffffff, v[2:3]
	v_add_nc_u32_e32 v0, 7, v19
	v_cndmask_b32_e64 v16, 0, 1, vcc_lo
	v_cndmask_b32_e32 v0, v18, v0, vcc_lo
	s_delay_alu instid0(VALU_DEP_2)
	v_lshrrev_b64 v[16:17], v16, v[2:3]
; %bb.9550:                             ;   in Loop: Header=BB6_7947 Depth=3
	s_and_not1_saveexec_b32 s13, s13
; %bb.9551:                             ;   in Loop: Header=BB6_7947 Depth=3
	v_mov_b64_e32 v[16:17], v[2:3]
	v_bfe_u32 v0, v2, 23, 1
; %bb.9552:                             ;   in Loop: Header=BB6_7947 Depth=3
	s_or_b32 exec_lo, exec_lo, s13
	s_delay_alu instid0(VALU_DEP_2) | instskip(NEXT) | instid1(VALU_DEP_2)
	v_lshrrev_b64 v[16:17], 20, v[16:17]
	v_cmp_gt_i32_e32 vcc_lo, 16, v0
	v_min_i32_e32 v2, 15, v0
	v_cmp_eq_u32_e64 s13, 0, v0
	s_delay_alu instid0(VALU_DEP_2) | instskip(SKIP_1) | instid1(VALU_DEP_2)
	v_dual_cndmask_b32 v17, 0, v17 :: v_dual_lshlrev_b32 v2, 3, v2
	v_cndmask_b32_e32 v16, 7, v16, vcc_lo
	v_and_b32_e32 v2, 0xf8, v2
	s_delay_alu instid0(VALU_DEP_2) | instskip(NEXT) | instid1(VALU_DEP_2)
	v_cmp_eq_u64_e32 vcc_lo, 0, v[16:17]
	v_and_or_b32 v0, v16, 7, v2
	s_and_b32 s13, s13, vcc_lo
	s_delay_alu instid0(VALU_DEP_1) | instid1(SALU_CYCLE_1)
	v_cndmask_b32_e64 v0, v0, 0, s13
	s_delay_alu instid0(VALU_DEP_1)
	v_or_b32_e32 v46, v0, v66
.LBB6_9553:                             ;   in Loop: Header=BB6_7947 Depth=3
	s_or_b32 exec_lo, exec_lo, s74
                                        ; implicit-def: $vgpr66
.LBB6_9554:                             ;   in Loop: Header=BB6_7947 Depth=3
	s_and_not1_saveexec_b32 s13, s45
; %bb.9555:                             ;   in Loop: Header=BB6_7947 Depth=3
	v_or_b32_e32 v46, 0x7e, v66
; %bb.9556:                             ;   in Loop: Header=BB6_7947 Depth=3
	s_or_b32 exec_lo, exec_lo, s13
                                        ; implicit-def: $vgpr16
.LBB6_9557:                             ;   in Loop: Header=BB6_7947 Depth=3
	s_and_not1_saveexec_b32 s13, s44
; %bb.9558:                             ;   in Loop: Header=BB6_7947 Depth=3
	v_or_b32_e32 v46, 0x7f, v16
; %bb.9559:                             ;   in Loop: Header=BB6_7947 Depth=3
	s_or_b32 exec_lo, exec_lo, s13
	v_and_b32_e32 v0, 0xff, v13
	v_dual_mov_b32 v2, v13 :: v_dual_mov_b32 v16, 0
	v_mov_b32_e32 v17, 0
	s_mov_b32 s13, exec_lo
	s_delay_alu instid0(VALU_DEP_3)
	v_cmpx_ne_u16_e32 0, v0
	s_cbranch_execz .LBB6_9565
; %bb.9560:                             ;   in Loop: Header=BB6_7947 Depth=3
	v_bfrev_b32_e32 v17, 1
	s_mov_b32 s44, exec_lo
	v_cmpx_ne_u16_e32 0x80, v0
	s_cbranch_execz .LBB6_9564
; %bb.9561:                             ;   in Loop: Header=BB6_7947 Depth=3
	v_and_b32_e32 v0, 0x7f, v13
	v_mov_b32_e32 v17, 0x7f800001
	s_mov_b32 s45, exec_lo
	s_delay_alu instid0(VALU_DEP_2)
	v_cmpx_ne_u32_e32 0x7f, v0
	s_cbranch_execz .LBB6_9563
; %bb.9562:                             ;   in Loop: Header=BB6_7947 Depth=3
	v_dual_lshrrev_b32 v18, 3, v0 :: v_dual_bitop2_b32 v17, 7, v13 bitop3:0x40
	v_cmp_gt_u32_e32 vcc_lo, 8, v0
	s_delay_alu instid0(VALU_DEP_2) | instskip(NEXT) | instid1(VALU_DEP_1)
	v_clz_i32_u32_e32 v0, v17
	v_min_u32_e32 v0, 32, v0
	s_delay_alu instid0(VALU_DEP_1) | instskip(NEXT) | instid1(VALU_DEP_1)
	v_subrev_nc_u32_e32 v17, 28, v0
	v_dual_cndmask_b32 v17, 0, v17 :: v_dual_sub_nc_u32 v0, 29, v0
	s_delay_alu instid0(VALU_DEP_1) | instskip(NEXT) | instid1(VALU_DEP_2)
	v_cndmask_b32_e32 v0, v18, v0, vcc_lo
	v_lshlrev_b64_e32 v[18:19], v17, v[2:3]
	s_delay_alu instid0(VALU_DEP_1) | instskip(SKIP_1) | instid1(VALU_DEP_4)
	v_lshlrev_b32_e32 v17, 20, v18
	v_lshlrev_b32_e32 v18, 24, v2
	v_lshl_add_u32 v0, v0, 23, 0x3c000000
	s_delay_alu instid0(VALU_DEP_3) | instskip(NEXT) | instid1(VALU_DEP_3)
	v_and_b32_e32 v17, 0x700000, v17
	v_and_b32_e32 v18, 0x80000000, v18
	s_delay_alu instid0(VALU_DEP_1)
	v_or3_b32 v17, v17, v18, v0
.LBB6_9563:                             ;   in Loop: Header=BB6_7947 Depth=3
	s_or_b32 exec_lo, exec_lo, s45
.LBB6_9564:                             ;   in Loop: Header=BB6_7947 Depth=3
	s_delay_alu instid0(SALU_CYCLE_1)
	s_or_b32 exec_lo, exec_lo, s44
.LBB6_9565:                             ;   in Loop: Header=BB6_7947 Depth=3
	s_delay_alu instid0(SALU_CYCLE_1) | instskip(SKIP_2) | instid1(VALU_DEP_1)
	s_or_b32 exec_lo, exec_lo, s13
	v_and_b32_e32 v0, 0xff, v9
	s_mov_b32 s13, exec_lo
	v_cmpx_ne_u16_e32 0, v0
	s_cbranch_execz .LBB6_9571
; %bb.9566:                             ;   in Loop: Header=BB6_7947 Depth=3
	v_bfrev_b32_e32 v16, 1
	s_mov_b32 s44, exec_lo
	v_cmpx_ne_u16_e32 0x80, v0
	s_cbranch_execz .LBB6_9570
; %bb.9567:                             ;   in Loop: Header=BB6_7947 Depth=3
	v_and_b32_e32 v0, 0x7f, v9
	v_mov_b32_e32 v16, 0x7f800001
	s_mov_b32 s45, exec_lo
	s_delay_alu instid0(VALU_DEP_2)
	v_cmpx_ne_u32_e32 0x7f, v0
	s_cbranch_execz .LBB6_9569
; %bb.9568:                             ;   in Loop: Header=BB6_7947 Depth=3
	v_dual_lshrrev_b32 v52, 3, v0 :: v_dual_bitop2_b32 v16, 7, v9 bitop3:0x40
	v_cmp_gt_u32_e32 vcc_lo, 8, v0
	v_mov_b32_e32 v18, v9
	s_delay_alu instid0(VALU_DEP_3) | instskip(NEXT) | instid1(VALU_DEP_1)
	v_clz_i32_u32_e32 v16, v16
	v_min_u32_e32 v16, 32, v16
	s_delay_alu instid0(VALU_DEP_1) | instskip(SKIP_1) | instid1(VALU_DEP_1)
	v_subrev_nc_u32_e32 v0, 28, v16
	v_dual_mov_b32 v19, v3 :: v_dual_sub_nc_u32 v66, 29, v16
	v_dual_cndmask_b32 v0, 0, v0, vcc_lo :: v_dual_cndmask_b32 v16, v52, v66, vcc_lo
	s_delay_alu instid0(VALU_DEP_1) | instskip(SKIP_1) | instid1(VALU_DEP_3)
	v_lshlrev_b64_e32 v[66:67], v0, v[18:19]
	v_lshlrev_b32_e32 v0, 24, v18
	v_lshl_add_u32 v16, v16, 23, 0x3c000000
	s_delay_alu instid0(VALU_DEP_2) | instskip(NEXT) | instid1(VALU_DEP_4)
	v_and_b32_e32 v0, 0x80000000, v0
	v_lshlrev_b32_e32 v18, 20, v66
	s_delay_alu instid0(VALU_DEP_1) | instskip(NEXT) | instid1(VALU_DEP_1)
	v_and_b32_e32 v18, 0x700000, v18
	v_or3_b32 v16, v18, v0, v16
.LBB6_9569:                             ;   in Loop: Header=BB6_7947 Depth=3
	s_or_b32 exec_lo, exec_lo, s45
.LBB6_9570:                             ;   in Loop: Header=BB6_7947 Depth=3
	s_delay_alu instid0(SALU_CYCLE_1)
	s_or_b32 exec_lo, exec_lo, s44
.LBB6_9571:                             ;   in Loop: Header=BB6_7947 Depth=3
	s_delay_alu instid0(SALU_CYCLE_1) | instskip(NEXT) | instid1(VALU_DEP_1)
	s_or_b32 exec_lo, exec_lo, s13
	v_dual_add_f32 v0, v17, v16 :: v_dual_mov_b32 v17, v3
                                        ; implicit-def: $vgpr47
	s_delay_alu instid0(VALU_DEP_1) | instskip(NEXT) | instid1(VALU_DEP_1)
	v_and_b32_e32 v16, 0x7f800000, v0
	v_cmp_ne_u64_e32 vcc_lo, 0x7f800000, v[16:17]
	v_lshrrev_b32_e32 v16, 24, v0
	s_and_saveexec_b32 s13, vcc_lo
	s_delay_alu instid0(SALU_CYCLE_1)
	s_xor_b32 s44, exec_lo, s13
	s_cbranch_execz .LBB6_9585
; %bb.9572:                             ;   in Loop: Header=BB6_7947 Depth=3
	v_and_b32_e32 v18, 0x7fffffff, v0
	v_mov_b32_e32 v19, v3
	v_and_b32_e32 v66, 0x80, v16
                                        ; implicit-def: $vgpr47
	s_mov_b32 s13, exec_lo
	s_delay_alu instid0(VALU_DEP_2)
	v_cmpx_gt_u64_e32 0x43e00001, v[18:19]
	s_xor_b32 s45, exec_lo, s13
	s_cbranch_execz .LBB6_9582
; %bb.9573:                             ;   in Loop: Header=BB6_7947 Depth=3
	v_mov_b32_e32 v47, 0
	s_mov_b32 s74, exec_lo
	v_cmpx_ne_u32_e32 0, v0
	s_cbranch_execz .LBB6_9581
; %bb.9574:                             ;   in Loop: Header=BB6_7947 Depth=3
	v_and_b32_e32 v16, 0x7fffff, v0
	v_bfe_u32 v67, v0, 23, 8
	s_delay_alu instid0(VALU_DEP_2) | instskip(NEXT) | instid1(VALU_DEP_2)
	v_or_b32_e32 v17, 0x800000, v16
	v_cmp_eq_u32_e32 vcc_lo, 0, v67
	v_cmp_gt_u32_e64 s13, 0x7a, v67
	v_sub_nc_u32_e32 v0, 0x79, v67
	s_delay_alu instid0(VALU_DEP_4) | instskip(NEXT) | instid1(VALU_DEP_2)
	v_dual_cndmask_b32 v16, v17, v16 :: v_dual_mov_b32 v17, v3
	v_cndmask_b32_e64 v0, 0, v0, s13
	s_delay_alu instid0(VALU_DEP_1) | instskip(NEXT) | instid1(VALU_DEP_1)
	v_cndmask_b32_e64 v0, v0, 0x78, vcc_lo
	v_dual_add_nc_u32 v18, 20, v0 :: v_dual_add_nc_u32 v52, 19, v0
	s_delay_alu instid0(VALU_DEP_1) | instskip(NEXT) | instid1(VALU_DEP_2)
	v_lshlrev_b64_e64 v[18:19], v18, -1
	v_lshlrev_b64_e64 v[42:43], v52, 1
	s_delay_alu instid0(VALU_DEP_2) | instskip(SKIP_1) | instid1(VALU_DEP_4)
	v_bfi_b32 v18, v18, 0, v16
	v_lshrrev_b64 v[16:17], v0, v[16:17]
	v_bfi_b32 v19, v19, 0, 0
	s_delay_alu instid0(VALU_DEP_1) | instskip(NEXT) | instid1(VALU_DEP_3)
	v_cmp_eq_u64_e64 s13, v[18:19], v[42:43]
	v_mov_b64_e32 v[18:19], v[16:17]
	s_and_saveexec_b32 s75, s13
; %bb.9575:                             ;   in Loop: Header=BB6_7947 Depth=3
	v_bfe_u32 v18, v16, 20, 1
	v_mov_b32_e32 v19, v3
	s_delay_alu instid0(VALU_DEP_1) | instskip(NEXT) | instid1(VALU_DEP_1)
	v_add_nc_u64_e32 v[18:19], v[16:17], v[18:19]
	v_add_nc_u64_e32 v[18:19], -1, v[18:19]
; %bb.9576:                             ;   in Loop: Header=BB6_7947 Depth=3
	s_or_b32 exec_lo, exec_lo, s75
	v_add_nc_u32_e32 v17, 0xffffff81, v67
	v_lshrrev_b32_e32 v19, 23, v16
	s_mov_b32 s13, exec_lo
	s_delay_alu instid0(VALU_DEP_2) | instskip(NEXT) | instid1(VALU_DEP_1)
	v_cndmask_b32_e64 v17, v17, 0xffffff82, vcc_lo
	v_add3_u32 v19, v0, v17, v19
	v_and_b32_e32 v0, 0xfffff, v18
	s_delay_alu instid0(VALU_DEP_2) | instskip(NEXT) | instid1(VALU_DEP_2)
	v_dual_mov_b32 v17, v3 :: v_dual_add_nc_u32 v18, 6, v19
	v_add_nc_u32_e32 v16, v0, v16
                                        ; implicit-def: $vgpr0
	s_delay_alu instid0(VALU_DEP_2)
	v_cmpx_ne_u32_e32 0, v18
	s_xor_b32 s13, exec_lo, s13
; %bb.9577:                             ;   in Loop: Header=BB6_7947 Depth=3
	s_delay_alu instid0(VALU_DEP_2) | instskip(SKIP_1) | instid1(VALU_DEP_1)
	v_cmp_lt_u64_e32 vcc_lo, 0xffffff, v[16:17]
	v_add_nc_u32_e32 v0, 7, v19
	v_cndmask_b32_e32 v0, v18, v0, vcc_lo
	v_cndmask_b32_e64 v18, 0, 1, vcc_lo
	s_delay_alu instid0(VALU_DEP_1)
	v_lshrrev_b64 v[16:17], v18, v[16:17]
; %bb.9578:                             ;   in Loop: Header=BB6_7947 Depth=3
	s_and_not1_saveexec_b32 s13, s13
; %bb.9579:                             ;   in Loop: Header=BB6_7947 Depth=3
	s_delay_alu instid0(VALU_DEP_1)
	v_bfe_u32 v0, v16, 23, 1
; %bb.9580:                             ;   in Loop: Header=BB6_7947 Depth=3
	s_or_b32 exec_lo, exec_lo, s13
	s_delay_alu instid0(VALU_DEP_2) | instskip(NEXT) | instid1(VALU_DEP_2)
	v_lshrrev_b64 v[16:17], 20, v[16:17]
	v_cmp_gt_i32_e32 vcc_lo, 16, v0
	v_min_i32_e32 v18, 15, v0
	v_cmp_eq_u32_e64 s13, 0, v0
	s_delay_alu instid0(VALU_DEP_2) | instskip(SKIP_1) | instid1(VALU_DEP_2)
	v_dual_cndmask_b32 v17, 0, v17 :: v_dual_lshlrev_b32 v18, 3, v18
	v_cndmask_b32_e32 v16, 7, v16, vcc_lo
	v_and_b32_e32 v18, 0xf8, v18
	s_delay_alu instid0(VALU_DEP_2) | instskip(NEXT) | instid1(VALU_DEP_2)
	v_cmp_eq_u64_e32 vcc_lo, 0, v[16:17]
	v_and_or_b32 v0, v16, 7, v18
	s_and_b32 s13, s13, vcc_lo
	s_delay_alu instid0(VALU_DEP_1) | instid1(SALU_CYCLE_1)
	v_cndmask_b32_e64 v0, v0, 0, s13
	s_delay_alu instid0(VALU_DEP_1)
	v_or_b32_e32 v47, v0, v66
.LBB6_9581:                             ;   in Loop: Header=BB6_7947 Depth=3
	s_or_b32 exec_lo, exec_lo, s74
                                        ; implicit-def: $vgpr66
.LBB6_9582:                             ;   in Loop: Header=BB6_7947 Depth=3
	s_and_not1_saveexec_b32 s13, s45
; %bb.9583:                             ;   in Loop: Header=BB6_7947 Depth=3
	v_or_b32_e32 v47, 0x7e, v66
; %bb.9584:                             ;   in Loop: Header=BB6_7947 Depth=3
	s_or_b32 exec_lo, exec_lo, s13
                                        ; implicit-def: $vgpr16
.LBB6_9585:                             ;   in Loop: Header=BB6_7947 Depth=3
	s_and_not1_saveexec_b32 s13, s44
; %bb.9586:                             ;   in Loop: Header=BB6_7947 Depth=3
	v_or_b32_e32 v47, 0x7f, v16
; %bb.9587:                             ;   in Loop: Header=BB6_7947 Depth=3
	s_or_b32 exec_lo, exec_lo, s13
	v_lshrrev_b16 v0, 8, v2
	v_dual_mov_b32 v18, 0 :: v_dual_mov_b32 v19, 0
	s_mov_b32 s13, exec_lo
	s_delay_alu instid0(VALU_DEP_2)
	v_cmpx_ne_u16_e32 0, v0
	s_cbranch_execz .LBB6_9595
; %bb.9588:                             ;   in Loop: Header=BB6_7947 Depth=3
	v_bfrev_b32_e32 v19, 1
	s_mov_b32 s44, exec_lo
	v_cmpx_ne_u16_e32 0x80, v0
	s_cbranch_execz .LBB6_9594
; %bb.9589:                             ;   in Loop: Header=BB6_7947 Depth=3
	v_and_b32_e32 v0, 0xffff, v0
	v_mov_b32_e32 v19, 0x7f800001
	s_mov_b32 s45, exec_lo
	s_delay_alu instid0(VALU_DEP_2) | instskip(NEXT) | instid1(VALU_DEP_1)
	v_and_b32_e32 v52, 0x7f, v0
	v_cmpx_ne_u32_e32 0x7f, v52
	s_cbranch_execz .LBB6_9593
; %bb.9590:                             ;   in Loop: Header=BB6_7947 Depth=3
	v_dual_mov_b32 v17, v3 :: v_dual_bitop2_b32 v16, 7, v0 bitop3:0x40
	v_lshrrev_b32_e32 v0, 3, v52
	s_mov_b32 s74, exec_lo
	v_cmpx_gt_u32_e32 8, v52
; %bb.9591:                             ;   in Loop: Header=BB6_7947 Depth=3
	s_delay_alu instid0(VALU_DEP_3) | instskip(NEXT) | instid1(VALU_DEP_1)
	v_clz_i32_u32_e32 v0, v16
	v_min_u32_e32 v0, 32, v0
	s_delay_alu instid0(VALU_DEP_1) | instskip(SKIP_1) | instid1(VALU_DEP_2)
	v_subrev_nc_u32_e32 v19, 28, v0
	v_sub_nc_u32_e32 v0, 29, v0
	v_lshlrev_b64_e32 v[16:17], v19, v[16:17]
	s_delay_alu instid0(VALU_DEP_1)
	v_and_b32_e32 v16, 7, v16
; %bb.9592:                             ;   in Loop: Header=BB6_7947 Depth=3
	s_or_b32 exec_lo, exec_lo, s74
	s_delay_alu instid0(VALU_DEP_1) | instskip(SKIP_1) | instid1(VALU_DEP_2)
	v_dual_lshlrev_b32 v2, 16, v2 :: v_dual_lshlrev_b32 v16, 20, v16
	v_lshl_add_u32 v0, v0, 23, 0x3c000000
	v_and_b32_e32 v2, 0x80000000, v2
	s_delay_alu instid0(VALU_DEP_1)
	v_or3_b32 v19, v16, v2, v0
.LBB6_9593:                             ;   in Loop: Header=BB6_7947 Depth=3
	s_or_b32 exec_lo, exec_lo, s45
.LBB6_9594:                             ;   in Loop: Header=BB6_7947 Depth=3
	s_delay_alu instid0(SALU_CYCLE_1)
	s_or_b32 exec_lo, exec_lo, s44
.LBB6_9595:                             ;   in Loop: Header=BB6_7947 Depth=3
	s_delay_alu instid0(SALU_CYCLE_1) | instskip(SKIP_2) | instid1(VALU_DEP_1)
	s_or_b32 exec_lo, exec_lo, s13
	v_lshrrev_b16 v0, 8, v9
	s_mov_b32 s13, exec_lo
	v_cmpx_ne_u16_e32 0, v0
	s_cbranch_execz .LBB6_9603
; %bb.9596:                             ;   in Loop: Header=BB6_7947 Depth=3
	v_bfrev_b32_e32 v18, 1
	s_mov_b32 s44, exec_lo
	v_cmpx_ne_u16_e32 0x80, v0
	s_cbranch_execz .LBB6_9602
; %bb.9597:                             ;   in Loop: Header=BB6_7947 Depth=3
	v_and_b32_e32 v0, 0xffff, v0
	v_mov_b32_e32 v18, 0x7f800001
	s_mov_b32 s45, exec_lo
	s_delay_alu instid0(VALU_DEP_2) | instskip(NEXT) | instid1(VALU_DEP_1)
	v_and_b32_e32 v16, 0x7f, v0
	v_cmpx_ne_u32_e32 0x7f, v16
	s_cbranch_execz .LBB6_9601
; %bb.9598:                             ;   in Loop: Header=BB6_7947 Depth=3
	v_and_b32_e32 v2, 7, v0
	v_lshrrev_b32_e32 v0, 3, v16
	v_cmp_gt_u32_e32 vcc_lo, 8, v16
	s_delay_alu instid0(VALU_DEP_3)
	v_mov_b64_e32 v[16:17], v[2:3]
	s_and_saveexec_b32 s74, vcc_lo
; %bb.9599:                             ;   in Loop: Header=BB6_7947 Depth=3
	v_clz_i32_u32_e32 v0, v2
	s_delay_alu instid0(VALU_DEP_1) | instskip(NEXT) | instid1(VALU_DEP_1)
	v_min_u32_e32 v0, 32, v0
	v_subrev_nc_u32_e32 v16, 28, v0
	v_sub_nc_u32_e32 v0, 29, v0
	s_delay_alu instid0(VALU_DEP_2) | instskip(NEXT) | instid1(VALU_DEP_1)
	v_lshlrev_b64_e32 v[16:17], v16, v[2:3]
	v_and_b32_e32 v16, 7, v16
; %bb.9600:                             ;   in Loop: Header=BB6_7947 Depth=3
	s_or_b32 exec_lo, exec_lo, s74
	s_delay_alu instid0(VALU_DEP_1) | instskip(SKIP_1) | instid1(VALU_DEP_2)
	v_dual_lshlrev_b32 v2, 16, v9 :: v_dual_lshlrev_b32 v16, 20, v16
	v_lshl_add_u32 v0, v0, 23, 0x3c000000
	v_and_b32_e32 v2, 0x80000000, v2
	s_delay_alu instid0(VALU_DEP_1)
	v_or3_b32 v18, v16, v2, v0
.LBB6_9601:                             ;   in Loop: Header=BB6_7947 Depth=3
	s_or_b32 exec_lo, exec_lo, s45
.LBB6_9602:                             ;   in Loop: Header=BB6_7947 Depth=3
	s_delay_alu instid0(SALU_CYCLE_1)
	s_or_b32 exec_lo, exec_lo, s44
.LBB6_9603:                             ;   in Loop: Header=BB6_7947 Depth=3
	s_delay_alu instid0(SALU_CYCLE_1) | instskip(NEXT) | instid1(VALU_DEP_1)
	s_or_b32 exec_lo, exec_lo, s13
	v_add_f32_e32 v0, v19, v18
                                        ; implicit-def: $vgpr91
	s_mov_b32 s13, exec_lo
	s_delay_alu instid0(VALU_DEP_1) | instskip(SKIP_1) | instid1(VALU_DEP_2)
	v_and_b32_e32 v2, 0x7f800000, v0
	v_lshrrev_b32_e32 v16, 24, v0
	v_cmpx_ne_u64_e32 0x7f800000, v[2:3]
	s_xor_b32 s44, exec_lo, s13
	s_cbranch_execz .LBB6_9617
; %bb.9604:                             ;   in Loop: Header=BB6_7947 Depth=3
	v_and_b32_e32 v2, 0x7fffffff, v0
	v_and_b32_e32 v66, 0x80, v16
                                        ; implicit-def: $vgpr91
	s_mov_b32 s13, exec_lo
	s_delay_alu instid0(VALU_DEP_2)
	v_cmpx_gt_u64_e32 0x43e00001, v[2:3]
	s_xor_b32 s45, exec_lo, s13
	s_cbranch_execz .LBB6_9614
; %bb.9605:                             ;   in Loop: Header=BB6_7947 Depth=3
	v_mov_b32_e32 v91, 0
	s_mov_b32 s74, exec_lo
	v_cmpx_ne_u32_e32 0, v0
	s_cbranch_execz .LBB6_9613
; %bb.9606:                             ;   in Loop: Header=BB6_7947 Depth=3
	v_bfe_u32 v67, v0, 23, 8
	v_and_b32_e32 v2, 0x7fffff, v0
	s_delay_alu instid0(VALU_DEP_2) | instskip(SKIP_2) | instid1(VALU_DEP_4)
	v_cmp_gt_u32_e64 s13, 0x7a, v67
	v_sub_nc_u32_e32 v0, 0x79, v67
	v_cmp_eq_u32_e32 vcc_lo, 0, v67
	v_or_b32_e32 v16, 0x800000, v2
	s_delay_alu instid0(VALU_DEP_1) | instskip(NEXT) | instid1(VALU_DEP_1)
	v_dual_cndmask_b32 v0, 0, v0, s13 :: v_dual_cndmask_b32 v2, v16, v2, vcc_lo
	v_cndmask_b32_e64 v0, v0, 0x78, vcc_lo
	s_delay_alu instid0(VALU_DEP_1) | instskip(NEXT) | instid1(VALU_DEP_1)
	v_dual_add_nc_u32 v16, 20, v0 :: v_dual_add_nc_u32 v18, 19, v0
	v_lshlrev_b64_e64 v[16:17], v16, -1
	s_delay_alu instid0(VALU_DEP_2) | instskip(NEXT) | instid1(VALU_DEP_2)
	v_lshlrev_b64_e64 v[18:19], v18, 1
	v_bfi_b32 v17, v17, 0, 0
	s_delay_alu instid0(VALU_DEP_3) | instskip(NEXT) | instid1(VALU_DEP_1)
	v_bfi_b32 v16, v16, 0, v2
	v_cmp_eq_u64_e64 s13, v[16:17], v[18:19]
	v_lshrrev_b64 v[16:17], v0, v[2:3]
	s_delay_alu instid0(VALU_DEP_1)
	v_mov_b64_e32 v[18:19], v[16:17]
	s_and_saveexec_b32 s75, s13
; %bb.9607:                             ;   in Loop: Header=BB6_7947 Depth=3
	v_bfe_u32 v2, v16, 20, 1
	s_delay_alu instid0(VALU_DEP_1) | instskip(NEXT) | instid1(VALU_DEP_1)
	v_add_nc_u64_e32 v[18:19], v[16:17], v[2:3]
	v_add_nc_u64_e32 v[18:19], -1, v[18:19]
; %bb.9608:                             ;   in Loop: Header=BB6_7947 Depth=3
	s_or_b32 exec_lo, exec_lo, s75
	v_add_nc_u32_e32 v2, 0xffffff81, v67
	v_lshrrev_b32_e32 v17, 23, v16
	s_mov_b32 s13, exec_lo
	s_delay_alu instid0(VALU_DEP_2) | instskip(NEXT) | instid1(VALU_DEP_1)
	v_cndmask_b32_e64 v2, v2, 0xffffff82, vcc_lo
	v_add3_u32 v19, v0, v2, v17
	v_and_b32_e32 v0, 0xfffff, v18
	s_delay_alu instid0(VALU_DEP_1) | instskip(NEXT) | instid1(VALU_DEP_1)
	v_dual_add_nc_u32 v18, 6, v19 :: v_dual_add_nc_u32 v2, v0, v16
                                        ; implicit-def: $vgpr16_vgpr17
                                        ; implicit-def: $vgpr0
	v_cmpx_ne_u32_e32 0, v18
	s_xor_b32 s13, exec_lo, s13
; %bb.9609:                             ;   in Loop: Header=BB6_7947 Depth=3
	s_delay_alu instid0(VALU_DEP_2) | instskip(SKIP_2) | instid1(VALU_DEP_2)
	v_cmp_lt_u64_e32 vcc_lo, 0xffffff, v[2:3]
	v_add_nc_u32_e32 v0, 7, v19
	v_cndmask_b32_e64 v16, 0, 1, vcc_lo
	v_cndmask_b32_e32 v0, v18, v0, vcc_lo
	s_delay_alu instid0(VALU_DEP_2)
	v_lshrrev_b64 v[16:17], v16, v[2:3]
; %bb.9610:                             ;   in Loop: Header=BB6_7947 Depth=3
	s_and_not1_saveexec_b32 s13, s13
; %bb.9611:                             ;   in Loop: Header=BB6_7947 Depth=3
	v_mov_b64_e32 v[16:17], v[2:3]
	v_bfe_u32 v0, v2, 23, 1
; %bb.9612:                             ;   in Loop: Header=BB6_7947 Depth=3
	s_or_b32 exec_lo, exec_lo, s13
	s_delay_alu instid0(VALU_DEP_2) | instskip(NEXT) | instid1(VALU_DEP_2)
	v_lshrrev_b64 v[16:17], 20, v[16:17]
	v_cmp_gt_i32_e32 vcc_lo, 16, v0
	v_min_i32_e32 v2, 15, v0
	v_cmp_eq_u32_e64 s13, 0, v0
	s_delay_alu instid0(VALU_DEP_2) | instskip(SKIP_1) | instid1(VALU_DEP_2)
	v_dual_cndmask_b32 v17, 0, v17 :: v_dual_lshlrev_b32 v2, 3, v2
	v_cndmask_b32_e32 v16, 7, v16, vcc_lo
	v_and_b32_e32 v2, 0xf8, v2
	s_delay_alu instid0(VALU_DEP_2) | instskip(NEXT) | instid1(VALU_DEP_2)
	v_cmp_eq_u64_e32 vcc_lo, 0, v[16:17]
	v_and_or_b32 v0, v16, 7, v2
	s_and_b32 s13, s13, vcc_lo
	s_delay_alu instid0(VALU_DEP_1) | instid1(SALU_CYCLE_1)
	v_cndmask_b32_e64 v0, v0, 0, s13
	s_delay_alu instid0(VALU_DEP_1)
	v_or_b32_e32 v91, v0, v66
.LBB6_9613:                             ;   in Loop: Header=BB6_7947 Depth=3
	s_or_b32 exec_lo, exec_lo, s74
                                        ; implicit-def: $vgpr66
.LBB6_9614:                             ;   in Loop: Header=BB6_7947 Depth=3
	s_and_not1_saveexec_b32 s13, s45
; %bb.9615:                             ;   in Loop: Header=BB6_7947 Depth=3
	v_or_b32_e32 v91, 0x7e, v66
; %bb.9616:                             ;   in Loop: Header=BB6_7947 Depth=3
	s_or_b32 exec_lo, exec_lo, s13
                                        ; implicit-def: $vgpr16
.LBB6_9617:                             ;   in Loop: Header=BB6_7947 Depth=3
	s_and_not1_saveexec_b32 s13, s44
; %bb.9618:                             ;   in Loop: Header=BB6_7947 Depth=3
	v_or_b32_e32 v91, 0x7f, v16
; %bb.9619:                             ;   in Loop: Header=BB6_7947 Depth=3
	s_or_b32 exec_lo, exec_lo, s13
	v_dual_lshrrev_b32 v0, 16, v13 :: v_dual_mov_b32 v18, 0
	v_mov_b32_e32 v19, 0
	s_mov_b32 s13, exec_lo
	s_delay_alu instid0(VALU_DEP_2) | instskip(NEXT) | instid1(VALU_DEP_1)
	v_and_b32_e32 v2, 0xff, v0
	v_cmpx_ne_u16_e32 0, v2
	s_cbranch_execz .LBB6_9627
; %bb.9620:                             ;   in Loop: Header=BB6_7947 Depth=3
	v_bfrev_b32_e32 v19, 1
	s_mov_b32 s44, exec_lo
	v_cmpx_ne_u16_e32 0x80, v2
	s_cbranch_execz .LBB6_9626
; %bb.9621:                             ;   in Loop: Header=BB6_7947 Depth=3
	v_bfe_u32 v16, v13, 16, 7
	v_mov_b32_e32 v19, 0x7f800001
	s_mov_b32 s45, exec_lo
	s_delay_alu instid0(VALU_DEP_2)
	v_cmpx_ne_u32_e32 0x7f, v16
	s_cbranch_execz .LBB6_9625
; %bb.9622:                             ;   in Loop: Header=BB6_7947 Depth=3
	v_and_b32_e32 v2, 7, v0
	v_lshrrev_b32_e32 v19, 3, v16
	v_cmp_gt_u32_e32 vcc_lo, 8, v16
	s_delay_alu instid0(VALU_DEP_3)
	v_mov_b64_e32 v[16:17], v[2:3]
	s_and_saveexec_b32 s74, vcc_lo
; %bb.9623:                             ;   in Loop: Header=BB6_7947 Depth=3
	v_clz_i32_u32_e32 v16, v2
	s_delay_alu instid0(VALU_DEP_1) | instskip(NEXT) | instid1(VALU_DEP_1)
	v_min_u32_e32 v19, 32, v16
	v_subrev_nc_u32_e32 v16, 28, v19
	s_delay_alu instid0(VALU_DEP_1) | instskip(NEXT) | instid1(VALU_DEP_1)
	v_lshlrev_b64_e32 v[16:17], v16, v[2:3]
	v_dual_sub_nc_u32 v19, 29, v19 :: v_dual_bitop2_b32 v16, 7, v16 bitop3:0x40
; %bb.9624:                             ;   in Loop: Header=BB6_7947 Depth=3
	s_or_b32 exec_lo, exec_lo, s74
	v_lshlrev_b32_e32 v0, 24, v0
	s_delay_alu instid0(VALU_DEP_2) | instskip(NEXT) | instid1(VALU_DEP_3)
	v_lshlrev_b32_e32 v2, 20, v16
	v_lshl_add_u32 v16, v19, 23, 0x3c000000
	s_delay_alu instid0(VALU_DEP_3) | instskip(NEXT) | instid1(VALU_DEP_1)
	v_and_b32_e32 v0, 0x80000000, v0
	v_or3_b32 v19, v2, v0, v16
.LBB6_9625:                             ;   in Loop: Header=BB6_7947 Depth=3
	s_or_b32 exec_lo, exec_lo, s45
.LBB6_9626:                             ;   in Loop: Header=BB6_7947 Depth=3
	s_delay_alu instid0(SALU_CYCLE_1)
	s_or_b32 exec_lo, exec_lo, s44
.LBB6_9627:                             ;   in Loop: Header=BB6_7947 Depth=3
	s_delay_alu instid0(SALU_CYCLE_1) | instskip(SKIP_2) | instid1(VALU_DEP_1)
	s_or_b32 exec_lo, exec_lo, s13
	v_lshrrev_b32_e32 v0, 16, v9
	s_mov_b32 s13, exec_lo
	v_and_b32_e32 v2, 0xff, v0
	s_delay_alu instid0(VALU_DEP_1)
	v_cmpx_ne_u16_e32 0, v2
	s_cbranch_execz .LBB6_9635
; %bb.9628:                             ;   in Loop: Header=BB6_7947 Depth=3
	v_bfrev_b32_e32 v18, 1
	s_mov_b32 s44, exec_lo
	v_cmpx_ne_u16_e32 0x80, v2
	s_cbranch_execz .LBB6_9634
; %bb.9629:                             ;   in Loop: Header=BB6_7947 Depth=3
	v_bfe_u32 v16, v9, 16, 7
	v_mov_b32_e32 v18, 0x7f800001
	s_mov_b32 s45, exec_lo
	s_delay_alu instid0(VALU_DEP_2)
	v_cmpx_ne_u32_e32 0x7f, v16
	s_cbranch_execz .LBB6_9633
; %bb.9630:                             ;   in Loop: Header=BB6_7947 Depth=3
	v_and_b32_e32 v2, 7, v0
	v_lshrrev_b32_e32 v0, 3, v16
	v_cmp_gt_u32_e32 vcc_lo, 8, v16
	s_delay_alu instid0(VALU_DEP_3)
	v_mov_b64_e32 v[16:17], v[2:3]
	s_and_saveexec_b32 s74, vcc_lo
; %bb.9631:                             ;   in Loop: Header=BB6_7947 Depth=3
	v_clz_i32_u32_e32 v0, v2
	s_delay_alu instid0(VALU_DEP_1) | instskip(NEXT) | instid1(VALU_DEP_1)
	v_min_u32_e32 v0, 32, v0
	v_subrev_nc_u32_e32 v16, 28, v0
	v_sub_nc_u32_e32 v0, 29, v0
	s_delay_alu instid0(VALU_DEP_2) | instskip(NEXT) | instid1(VALU_DEP_1)
	v_lshlrev_b64_e32 v[16:17], v16, v[2:3]
	v_and_b32_e32 v16, 7, v16
; %bb.9632:                             ;   in Loop: Header=BB6_7947 Depth=3
	s_or_b32 exec_lo, exec_lo, s74
	s_delay_alu instid0(VALU_DEP_1) | instskip(SKIP_1) | instid1(VALU_DEP_2)
	v_dual_lshlrev_b32 v2, 8, v9 :: v_dual_lshlrev_b32 v16, 20, v16
	v_lshl_add_u32 v0, v0, 23, 0x3c000000
	v_and_b32_e32 v2, 0x80000000, v2
	s_delay_alu instid0(VALU_DEP_1)
	v_or3_b32 v18, v16, v2, v0
.LBB6_9633:                             ;   in Loop: Header=BB6_7947 Depth=3
	s_or_b32 exec_lo, exec_lo, s45
.LBB6_9634:                             ;   in Loop: Header=BB6_7947 Depth=3
	s_delay_alu instid0(SALU_CYCLE_1)
	s_or_b32 exec_lo, exec_lo, s44
.LBB6_9635:                             ;   in Loop: Header=BB6_7947 Depth=3
	s_delay_alu instid0(SALU_CYCLE_1) | instskip(NEXT) | instid1(VALU_DEP_1)
	s_or_b32 exec_lo, exec_lo, s13
	v_add_f32_e32 v0, v19, v18
                                        ; implicit-def: $vgpr16
	s_mov_b32 s13, exec_lo
	s_delay_alu instid0(VALU_DEP_1) | instskip(SKIP_1) | instid1(VALU_DEP_2)
	v_and_b32_e32 v2, 0x7f800000, v0
	v_lshrrev_b32_e32 v17, 24, v0
	v_cmpx_ne_u64_e32 0x7f800000, v[2:3]
	s_xor_b32 s44, exec_lo, s13
	s_cbranch_execz .LBB6_9649
; %bb.9636:                             ;   in Loop: Header=BB6_7947 Depth=3
	v_and_b32_e32 v2, 0x7fffffff, v0
	v_and_b32_e32 v66, 0x80, v17
                                        ; implicit-def: $vgpr16
	s_mov_b32 s13, exec_lo
	s_delay_alu instid0(VALU_DEP_2)
	v_cmpx_gt_u64_e32 0x43e00001, v[2:3]
	s_xor_b32 s45, exec_lo, s13
	s_cbranch_execz .LBB6_9646
; %bb.9637:                             ;   in Loop: Header=BB6_7947 Depth=3
	v_mov_b32_e32 v16, 0
	s_mov_b32 s74, exec_lo
	v_cmpx_ne_u32_e32 0, v0
	s_cbranch_execz .LBB6_9645
; %bb.9638:                             ;   in Loop: Header=BB6_7947 Depth=3
	v_bfe_u32 v67, v0, 23, 8
	v_and_b32_e32 v2, 0x7fffff, v0
	s_delay_alu instid0(VALU_DEP_2) | instskip(SKIP_2) | instid1(VALU_DEP_4)
	v_cmp_gt_u32_e64 s13, 0x7a, v67
	v_sub_nc_u32_e32 v0, 0x79, v67
	v_cmp_eq_u32_e32 vcc_lo, 0, v67
	v_or_b32_e32 v16, 0x800000, v2
	s_delay_alu instid0(VALU_DEP_1) | instskip(NEXT) | instid1(VALU_DEP_1)
	v_dual_cndmask_b32 v0, 0, v0, s13 :: v_dual_cndmask_b32 v2, v16, v2, vcc_lo
	v_cndmask_b32_e64 v0, v0, 0x78, vcc_lo
	s_delay_alu instid0(VALU_DEP_1) | instskip(NEXT) | instid1(VALU_DEP_1)
	v_dual_add_nc_u32 v16, 20, v0 :: v_dual_add_nc_u32 v18, 19, v0
	v_lshlrev_b64_e64 v[16:17], v16, -1
	s_delay_alu instid0(VALU_DEP_2) | instskip(NEXT) | instid1(VALU_DEP_2)
	v_lshlrev_b64_e64 v[18:19], v18, 1
	v_bfi_b32 v17, v17, 0, 0
	s_delay_alu instid0(VALU_DEP_3) | instskip(NEXT) | instid1(VALU_DEP_1)
	v_bfi_b32 v16, v16, 0, v2
	v_cmp_eq_u64_e64 s13, v[16:17], v[18:19]
	v_lshrrev_b64 v[16:17], v0, v[2:3]
	s_delay_alu instid0(VALU_DEP_1)
	v_mov_b64_e32 v[18:19], v[16:17]
	s_and_saveexec_b32 s75, s13
; %bb.9639:                             ;   in Loop: Header=BB6_7947 Depth=3
	v_bfe_u32 v2, v16, 20, 1
	s_delay_alu instid0(VALU_DEP_1) | instskip(NEXT) | instid1(VALU_DEP_1)
	v_add_nc_u64_e32 v[18:19], v[16:17], v[2:3]
	v_add_nc_u64_e32 v[18:19], -1, v[18:19]
; %bb.9640:                             ;   in Loop: Header=BB6_7947 Depth=3
	s_or_b32 exec_lo, exec_lo, s75
	v_add_nc_u32_e32 v2, 0xffffff81, v67
	v_lshrrev_b32_e32 v17, 23, v16
	s_mov_b32 s13, exec_lo
	s_delay_alu instid0(VALU_DEP_2) | instskip(NEXT) | instid1(VALU_DEP_1)
	v_cndmask_b32_e64 v2, v2, 0xffffff82, vcc_lo
	v_add3_u32 v19, v0, v2, v17
	v_and_b32_e32 v0, 0xfffff, v18
	s_delay_alu instid0(VALU_DEP_1) | instskip(NEXT) | instid1(VALU_DEP_1)
	v_dual_add_nc_u32 v18, 6, v19 :: v_dual_add_nc_u32 v2, v0, v16
                                        ; implicit-def: $vgpr16_vgpr17
                                        ; implicit-def: $vgpr0
	v_cmpx_ne_u32_e32 0, v18
	s_xor_b32 s13, exec_lo, s13
; %bb.9641:                             ;   in Loop: Header=BB6_7947 Depth=3
	s_delay_alu instid0(VALU_DEP_2) | instskip(SKIP_2) | instid1(VALU_DEP_2)
	v_cmp_lt_u64_e32 vcc_lo, 0xffffff, v[2:3]
	v_add_nc_u32_e32 v0, 7, v19
	v_cndmask_b32_e64 v16, 0, 1, vcc_lo
	v_cndmask_b32_e32 v0, v18, v0, vcc_lo
	s_delay_alu instid0(VALU_DEP_2)
	v_lshrrev_b64 v[16:17], v16, v[2:3]
; %bb.9642:                             ;   in Loop: Header=BB6_7947 Depth=3
	s_and_not1_saveexec_b32 s13, s13
; %bb.9643:                             ;   in Loop: Header=BB6_7947 Depth=3
	v_mov_b64_e32 v[16:17], v[2:3]
	v_bfe_u32 v0, v2, 23, 1
; %bb.9644:                             ;   in Loop: Header=BB6_7947 Depth=3
	s_or_b32 exec_lo, exec_lo, s13
	s_delay_alu instid0(VALU_DEP_2) | instskip(NEXT) | instid1(VALU_DEP_2)
	v_lshrrev_b64 v[16:17], 20, v[16:17]
	v_cmp_gt_i32_e32 vcc_lo, 16, v0
	v_min_i32_e32 v2, 15, v0
	v_cmp_eq_u32_e64 s13, 0, v0
	s_delay_alu instid0(VALU_DEP_2) | instskip(SKIP_1) | instid1(VALU_DEP_2)
	v_dual_cndmask_b32 v17, 0, v17 :: v_dual_lshlrev_b32 v2, 3, v2
	v_cndmask_b32_e32 v16, 7, v16, vcc_lo
	v_and_b32_e32 v2, 0xf8, v2
	s_delay_alu instid0(VALU_DEP_2) | instskip(NEXT) | instid1(VALU_DEP_2)
	v_cmp_eq_u64_e32 vcc_lo, 0, v[16:17]
	v_and_or_b32 v0, v16, 7, v2
	s_and_b32 s13, s13, vcc_lo
	s_delay_alu instid0(VALU_DEP_1) | instid1(SALU_CYCLE_1)
	v_cndmask_b32_e64 v0, v0, 0, s13
	s_delay_alu instid0(VALU_DEP_1)
	v_or_b32_e32 v16, v0, v66
.LBB6_9645:                             ;   in Loop: Header=BB6_7947 Depth=3
	s_or_b32 exec_lo, exec_lo, s74
                                        ; implicit-def: $vgpr66
.LBB6_9646:                             ;   in Loop: Header=BB6_7947 Depth=3
	s_and_not1_saveexec_b32 s13, s45
; %bb.9647:                             ;   in Loop: Header=BB6_7947 Depth=3
	v_or_b32_e32 v16, 0x7e, v66
; %bb.9648:                             ;   in Loop: Header=BB6_7947 Depth=3
	s_or_b32 exec_lo, exec_lo, s13
                                        ; implicit-def: $vgpr17
.LBB6_9649:                             ;   in Loop: Header=BB6_7947 Depth=3
	s_and_not1_saveexec_b32 s13, s44
; %bb.9650:                             ;   in Loop: Header=BB6_7947 Depth=3
	v_or_b32_e32 v16, 0x7f, v17
; %bb.9651:                             ;   in Loop: Header=BB6_7947 Depth=3
	s_or_b32 exec_lo, exec_lo, s13
	v_cmp_lt_u64_e32 vcc_lo, s[22:23], v[12:13]
	v_dual_mov_b32 v17, 0 :: v_dual_mov_b32 v12, 0
	s_and_saveexec_b32 s13, vcc_lo
	s_cbranch_execz .LBB6_9659
; %bb.9652:                             ;   in Loop: Header=BB6_7947 Depth=3
	v_lshrrev_b32_e32 v0, 24, v13
	v_bfrev_b32_e32 v12, 1
	s_mov_b32 s44, exec_lo
	s_delay_alu instid0(VALU_DEP_2)
	v_cmpx_ne_u32_e32 0x80, v0
	s_cbranch_execz .LBB6_9658
; %bb.9653:                             ;   in Loop: Header=BB6_7947 Depth=3
	v_bfe_u32 v13, v13, 24, 7
	v_mov_b32_e32 v12, 0x7f800001
	s_mov_b32 s45, exec_lo
	s_delay_alu instid0(VALU_DEP_2)
	v_cmpx_ne_u32_e32 0x7f, v13
	s_cbranch_execz .LBB6_9657
; %bb.9654:                             ;   in Loop: Header=BB6_7947 Depth=3
	v_dual_lshrrev_b32 v18, 3, v13 :: v_dual_bitop2_b32 v2, 7, v0 bitop3:0x40
	v_cmp_gt_u32_e32 vcc_lo, 8, v13
	s_delay_alu instid0(VALU_DEP_2)
	v_mov_b64_e32 v[12:13], v[2:3]
	s_and_saveexec_b32 s74, vcc_lo
; %bb.9655:                             ;   in Loop: Header=BB6_7947 Depth=3
	v_clz_i32_u32_e32 v12, v2
	s_delay_alu instid0(VALU_DEP_1) | instskip(NEXT) | instid1(VALU_DEP_1)
	v_min_u32_e32 v18, 32, v12
	v_subrev_nc_u32_e32 v12, 28, v18
	s_delay_alu instid0(VALU_DEP_1) | instskip(NEXT) | instid1(VALU_DEP_1)
	v_lshlrev_b64_e32 v[12:13], v12, v[2:3]
	v_dual_sub_nc_u32 v18, 29, v18 :: v_dual_bitop2_b32 v12, 7, v12 bitop3:0x40
; %bb.9656:                             ;   in Loop: Header=BB6_7947 Depth=3
	s_or_b32 exec_lo, exec_lo, s74
	v_lshlrev_b32_e32 v0, 24, v0
	s_delay_alu instid0(VALU_DEP_2) | instskip(NEXT) | instid1(VALU_DEP_3)
	v_lshlrev_b32_e32 v2, 20, v12
	v_lshl_add_u32 v12, v18, 23, 0x3c000000
	s_delay_alu instid0(VALU_DEP_3) | instskip(NEXT) | instid1(VALU_DEP_1)
	v_and_b32_e32 v0, 0x80000000, v0
	v_or3_b32 v12, v2, v0, v12
.LBB6_9657:                             ;   in Loop: Header=BB6_7947 Depth=3
	s_or_b32 exec_lo, exec_lo, s45
.LBB6_9658:                             ;   in Loop: Header=BB6_7947 Depth=3
	s_delay_alu instid0(SALU_CYCLE_1)
	s_or_b32 exec_lo, exec_lo, s44
.LBB6_9659:                             ;   in Loop: Header=BB6_7947 Depth=3
	s_delay_alu instid0(SALU_CYCLE_1) | instskip(NEXT) | instid1(SALU_CYCLE_1)
	s_or_b32 exec_lo, exec_lo, s13
	s_mov_b32 s13, exec_lo
	v_cmpx_lt_u64_e64 s[22:23], v[8:9]
	s_cbranch_execz .LBB6_9667
; %bb.9660:                             ;   in Loop: Header=BB6_7947 Depth=3
	v_lshrrev_b32_e32 v0, 24, v9
	v_bfrev_b32_e32 v17, 1
	s_mov_b32 s44, exec_lo
	s_delay_alu instid0(VALU_DEP_2)
	v_cmpx_ne_u32_e32 0x80, v0
	s_cbranch_execz .LBB6_9666
; %bb.9661:                             ;   in Loop: Header=BB6_7947 Depth=3
	v_bfe_u32 v8, v9, 24, 7
	v_mov_b32_e32 v17, 0x7f800001
	s_mov_b32 s45, exec_lo
	s_delay_alu instid0(VALU_DEP_2)
	v_cmpx_ne_u32_e32 0x7f, v8
	s_cbranch_execz .LBB6_9665
; %bb.9662:                             ;   in Loop: Header=BB6_7947 Depth=3
	v_and_b32_e32 v2, 7, v0
	v_lshrrev_b32_e32 v13, 3, v8
	v_cmp_gt_u32_e32 vcc_lo, 8, v8
	s_delay_alu instid0(VALU_DEP_3)
	v_mov_b64_e32 v[8:9], v[2:3]
	s_and_saveexec_b32 s74, vcc_lo
; %bb.9663:                             ;   in Loop: Header=BB6_7947 Depth=3
	v_clz_i32_u32_e32 v8, v2
	s_delay_alu instid0(VALU_DEP_1) | instskip(NEXT) | instid1(VALU_DEP_1)
	v_min_u32_e32 v13, 32, v8
	v_subrev_nc_u32_e32 v8, 28, v13
	s_delay_alu instid0(VALU_DEP_1) | instskip(NEXT) | instid1(VALU_DEP_1)
	v_lshlrev_b64_e32 v[8:9], v8, v[2:3]
	v_dual_sub_nc_u32 v13, 29, v13 :: v_dual_bitop2_b32 v8, 7, v8 bitop3:0x40
; %bb.9664:                             ;   in Loop: Header=BB6_7947 Depth=3
	s_or_b32 exec_lo, exec_lo, s74
	v_lshlrev_b32_e32 v0, 24, v0
	s_delay_alu instid0(VALU_DEP_2) | instskip(NEXT) | instid1(VALU_DEP_3)
	v_lshlrev_b32_e32 v2, 20, v8
	v_lshl_add_u32 v8, v13, 23, 0x3c000000
	s_delay_alu instid0(VALU_DEP_3) | instskip(NEXT) | instid1(VALU_DEP_1)
	v_and_b32_e32 v0, 0x80000000, v0
	v_or3_b32 v17, v2, v0, v8
.LBB6_9665:                             ;   in Loop: Header=BB6_7947 Depth=3
	s_or_b32 exec_lo, exec_lo, s45
.LBB6_9666:                             ;   in Loop: Header=BB6_7947 Depth=3
	s_delay_alu instid0(SALU_CYCLE_1)
	s_or_b32 exec_lo, exec_lo, s44
.LBB6_9667:                             ;   in Loop: Header=BB6_7947 Depth=3
	s_delay_alu instid0(SALU_CYCLE_1) | instskip(NEXT) | instid1(VALU_DEP_1)
	s_or_b32 exec_lo, exec_lo, s13
	v_add_f32_e32 v0, v12, v17
                                        ; implicit-def: $vgpr17
	s_mov_b32 s13, exec_lo
	s_delay_alu instid0(VALU_DEP_1) | instskip(SKIP_1) | instid1(VALU_DEP_2)
	v_and_b32_e32 v2, 0x7f800000, v0
	v_lshrrev_b32_e32 v8, 24, v0
	v_cmpx_ne_u64_e32 0x7f800000, v[2:3]
	s_xor_b32 s44, exec_lo, s13
	s_cbranch_execz .LBB6_9681
; %bb.9668:                             ;   in Loop: Header=BB6_7947 Depth=3
	v_and_b32_e32 v2, 0x7fffffff, v0
	v_and_b32_e32 v18, 0x80, v8
                                        ; implicit-def: $vgpr17
	s_mov_b32 s13, exec_lo
	s_delay_alu instid0(VALU_DEP_2)
	v_cmpx_gt_u64_e32 0x43e00001, v[2:3]
	s_xor_b32 s45, exec_lo, s13
	s_cbranch_execz .LBB6_9678
; %bb.9669:                             ;   in Loop: Header=BB6_7947 Depth=3
	v_mov_b32_e32 v17, 0
	s_mov_b32 s74, exec_lo
	v_cmpx_ne_u32_e32 0, v0
	s_cbranch_execz .LBB6_9677
; %bb.9670:                             ;   in Loop: Header=BB6_7947 Depth=3
	v_bfe_u32 v17, v0, 23, 8
	v_and_b32_e32 v2, 0x7fffff, v0
	s_delay_alu instid0(VALU_DEP_2) | instskip(SKIP_2) | instid1(VALU_DEP_4)
	v_cmp_gt_u32_e64 s13, 0x7a, v17
	v_sub_nc_u32_e32 v0, 0x79, v17
	v_cmp_eq_u32_e32 vcc_lo, 0, v17
	v_or_b32_e32 v8, 0x800000, v2
	s_delay_alu instid0(VALU_DEP_1) | instskip(NEXT) | instid1(VALU_DEP_1)
	v_dual_cndmask_b32 v0, 0, v0, s13 :: v_dual_cndmask_b32 v2, v8, v2, vcc_lo
	v_cndmask_b32_e64 v0, v0, 0x78, vcc_lo
	s_delay_alu instid0(VALU_DEP_1) | instskip(NEXT) | instid1(VALU_DEP_1)
	v_dual_add_nc_u32 v8, 20, v0 :: v_dual_add_nc_u32 v12, 19, v0
	v_lshlrev_b64_e64 v[8:9], v8, -1
	s_delay_alu instid0(VALU_DEP_2) | instskip(NEXT) | instid1(VALU_DEP_2)
	v_lshlrev_b64_e64 v[12:13], v12, 1
	v_bfi_b32 v9, v9, 0, 0
	s_delay_alu instid0(VALU_DEP_3) | instskip(NEXT) | instid1(VALU_DEP_1)
	v_bfi_b32 v8, v8, 0, v2
	v_cmp_eq_u64_e64 s13, v[8:9], v[12:13]
	v_lshrrev_b64 v[8:9], v0, v[2:3]
	s_delay_alu instid0(VALU_DEP_1)
	v_mov_b64_e32 v[12:13], v[8:9]
	s_and_saveexec_b32 s75, s13
; %bb.9671:                             ;   in Loop: Header=BB6_7947 Depth=3
	v_bfe_u32 v2, v8, 20, 1
	s_delay_alu instid0(VALU_DEP_1) | instskip(NEXT) | instid1(VALU_DEP_1)
	v_add_nc_u64_e32 v[12:13], v[8:9], v[2:3]
	v_add_nc_u64_e32 v[12:13], -1, v[12:13]
; %bb.9672:                             ;   in Loop: Header=BB6_7947 Depth=3
	s_or_b32 exec_lo, exec_lo, s75
	v_add_nc_u32_e32 v2, 0xffffff81, v17
	v_lshrrev_b32_e32 v9, 23, v8
	s_mov_b32 s13, exec_lo
	s_delay_alu instid0(VALU_DEP_2) | instskip(NEXT) | instid1(VALU_DEP_1)
	v_cndmask_b32_e64 v2, v2, 0xffffff82, vcc_lo
	v_add3_u32 v13, v0, v2, v9
	v_and_b32_e32 v0, 0xfffff, v12
	s_delay_alu instid0(VALU_DEP_1) | instskip(NEXT) | instid1(VALU_DEP_1)
	v_dual_add_nc_u32 v12, 6, v13 :: v_dual_add_nc_u32 v2, v0, v8
                                        ; implicit-def: $vgpr8_vgpr9
                                        ; implicit-def: $vgpr0
	v_cmpx_ne_u32_e32 0, v12
	s_xor_b32 s13, exec_lo, s13
; %bb.9673:                             ;   in Loop: Header=BB6_7947 Depth=3
	s_delay_alu instid0(VALU_DEP_2) | instskip(SKIP_2) | instid1(VALU_DEP_2)
	v_cmp_lt_u64_e32 vcc_lo, 0xffffff, v[2:3]
	v_add_nc_u32_e32 v0, 7, v13
	v_cndmask_b32_e64 v8, 0, 1, vcc_lo
	v_cndmask_b32_e32 v0, v12, v0, vcc_lo
	s_delay_alu instid0(VALU_DEP_2)
	v_lshrrev_b64 v[8:9], v8, v[2:3]
; %bb.9674:                             ;   in Loop: Header=BB6_7947 Depth=3
	s_and_not1_saveexec_b32 s13, s13
; %bb.9675:                             ;   in Loop: Header=BB6_7947 Depth=3
	v_mov_b64_e32 v[8:9], v[2:3]
	v_bfe_u32 v0, v2, 23, 1
; %bb.9676:                             ;   in Loop: Header=BB6_7947 Depth=3
	s_or_b32 exec_lo, exec_lo, s13
	s_delay_alu instid0(VALU_DEP_2) | instskip(NEXT) | instid1(VALU_DEP_2)
	v_lshrrev_b64 v[8:9], 20, v[8:9]
	v_cmp_gt_i32_e32 vcc_lo, 16, v0
	v_min_i32_e32 v2, 15, v0
	v_cmp_eq_u32_e64 s13, 0, v0
	s_delay_alu instid0(VALU_DEP_2) | instskip(SKIP_1) | instid1(VALU_DEP_2)
	v_dual_cndmask_b32 v9, 0, v9 :: v_dual_lshlrev_b32 v2, 3, v2
	v_cndmask_b32_e32 v8, 7, v8, vcc_lo
	v_and_b32_e32 v2, 0xf8, v2
	s_delay_alu instid0(VALU_DEP_2) | instskip(NEXT) | instid1(VALU_DEP_2)
	v_cmp_eq_u64_e32 vcc_lo, 0, v[8:9]
	v_and_or_b32 v0, v8, 7, v2
	s_and_b32 s13, s13, vcc_lo
	s_delay_alu instid0(VALU_DEP_1) | instid1(SALU_CYCLE_1)
	v_cndmask_b32_e64 v0, v0, 0, s13
	s_delay_alu instid0(VALU_DEP_1)
	v_or_b32_e32 v17, v0, v18
.LBB6_9677:                             ;   in Loop: Header=BB6_7947 Depth=3
	s_or_b32 exec_lo, exec_lo, s74
                                        ; implicit-def: $vgpr18
.LBB6_9678:                             ;   in Loop: Header=BB6_7947 Depth=3
	s_and_not1_saveexec_b32 s13, s45
; %bb.9679:                             ;   in Loop: Header=BB6_7947 Depth=3
	v_or_b32_e32 v17, 0x7e, v18
; %bb.9680:                             ;   in Loop: Header=BB6_7947 Depth=3
	s_or_b32 exec_lo, exec_lo, s13
                                        ; implicit-def: $vgpr8
.LBB6_9681:                             ;   in Loop: Header=BB6_7947 Depth=3
	s_and_not1_saveexec_b32 s13, s44
; %bb.9682:                             ;   in Loop: Header=BB6_7947 Depth=3
	v_or_b32_e32 v17, 0x7f, v8
; %bb.9683:                             ;   in Loop: Header=BB6_7947 Depth=3
	s_or_b32 exec_lo, exec_lo, s13
	v_and_b32_e32 v0, 0xff, v14
	v_dual_mov_b32 v2, 0 :: v_dual_mov_b32 v8, 0
	s_mov_b32 s13, exec_lo
	s_delay_alu instid0(VALU_DEP_2)
	v_cmpx_ne_u16_e32 0, v0
	s_cbranch_execz .LBB6_9689
; %bb.9684:                             ;   in Loop: Header=BB6_7947 Depth=3
	v_bfrev_b32_e32 v8, 1
	s_mov_b32 s44, exec_lo
	v_cmpx_ne_u16_e32 0x80, v0
	s_cbranch_execz .LBB6_9688
; %bb.9685:                             ;   in Loop: Header=BB6_7947 Depth=3
	v_and_b32_e32 v0, 0x7f, v14
	v_mov_b32_e32 v8, 0x7f800001
	s_mov_b32 s45, exec_lo
	s_delay_alu instid0(VALU_DEP_2)
	v_cmpx_ne_u32_e32 0x7f, v0
	s_cbranch_execz .LBB6_9687
; %bb.9686:                             ;   in Loop: Header=BB6_7947 Depth=3
	v_dual_lshrrev_b32 v9, 3, v0 :: v_dual_bitop2_b32 v8, 7, v14 bitop3:0x40
	v_cmp_gt_u32_e32 vcc_lo, 8, v0
	s_delay_alu instid0(VALU_DEP_2) | instskip(NEXT) | instid1(VALU_DEP_1)
	v_clz_i32_u32_e32 v0, v8
	v_min_u32_e32 v0, 32, v0
	s_delay_alu instid0(VALU_DEP_1) | instskip(SKIP_1) | instid1(VALU_DEP_2)
	v_subrev_nc_u32_e32 v8, 28, v0
	v_sub_nc_u32_e32 v0, 29, v0
	v_cndmask_b32_e32 v8, 0, v8, vcc_lo
	s_delay_alu instid0(VALU_DEP_2) | instskip(NEXT) | instid1(VALU_DEP_2)
	v_cndmask_b32_e32 v0, v9, v0, vcc_lo
	v_lshlrev_b64_e32 v[8:9], v8, v[14:15]
	v_lshlrev_b32_e32 v9, 24, v14
	s_delay_alu instid0(VALU_DEP_3) | instskip(NEXT) | instid1(VALU_DEP_2)
	v_lshl_add_u32 v0, v0, 23, 0x3c000000
	v_and_b32_e32 v9, 0x80000000, v9
	s_delay_alu instid0(VALU_DEP_4) | instskip(NEXT) | instid1(VALU_DEP_1)
	v_lshlrev_b32_e32 v8, 20, v8
	v_and_b32_e32 v8, 0x700000, v8
	s_delay_alu instid0(VALU_DEP_1)
	v_or3_b32 v8, v8, v9, v0
.LBB6_9687:                             ;   in Loop: Header=BB6_7947 Depth=3
	s_or_b32 exec_lo, exec_lo, s45
.LBB6_9688:                             ;   in Loop: Header=BB6_7947 Depth=3
	s_delay_alu instid0(SALU_CYCLE_1)
	s_or_b32 exec_lo, exec_lo, s44
.LBB6_9689:                             ;   in Loop: Header=BB6_7947 Depth=3
	s_delay_alu instid0(SALU_CYCLE_1) | instskip(SKIP_2) | instid1(VALU_DEP_1)
	s_or_b32 exec_lo, exec_lo, s13
	v_and_b32_e32 v0, 0xff, v10
	s_mov_b32 s13, exec_lo
	v_cmpx_ne_u16_e32 0, v0
	s_cbranch_execz .LBB6_9695
; %bb.9690:                             ;   in Loop: Header=BB6_7947 Depth=3
	v_bfrev_b32_e32 v2, 1
	s_mov_b32 s44, exec_lo
	v_cmpx_ne_u16_e32 0x80, v0
	s_cbranch_execz .LBB6_9694
; %bb.9691:                             ;   in Loop: Header=BB6_7947 Depth=3
	v_and_b32_e32 v0, 0x7f, v10
	v_mov_b32_e32 v2, 0x7f800001
	s_mov_b32 s45, exec_lo
	s_delay_alu instid0(VALU_DEP_2)
	v_cmpx_ne_u32_e32 0x7f, v0
	s_cbranch_execz .LBB6_9693
; %bb.9692:                             ;   in Loop: Header=BB6_7947 Depth=3
	v_dual_lshrrev_b32 v9, 3, v0 :: v_dual_bitop2_b32 v2, 7, v10 bitop3:0x40
	v_cmp_gt_u32_e32 vcc_lo, 8, v0
	s_delay_alu instid0(VALU_DEP_2) | instskip(NEXT) | instid1(VALU_DEP_1)
	v_clz_i32_u32_e32 v0, v2
	v_min_u32_e32 v0, 32, v0
	s_delay_alu instid0(VALU_DEP_1) | instskip(NEXT) | instid1(VALU_DEP_1)
	v_subrev_nc_u32_e32 v2, 28, v0
	v_dual_sub_nc_u32 v0, 29, v0 :: v_dual_cndmask_b32 v2, 0, v2, vcc_lo
	s_delay_alu instid0(VALU_DEP_1) | instskip(NEXT) | instid1(VALU_DEP_2)
	v_dual_cndmask_b32 v0, v9, v0 :: v_dual_lshlrev_b32 v9, 24, v10
	v_lshlrev_b64_e32 v[12:13], v2, v[10:11]
	s_delay_alu instid0(VALU_DEP_2) | instskip(NEXT) | instid1(VALU_DEP_3)
	v_lshl_add_u32 v0, v0, 23, 0x3c000000
	v_and_b32_e32 v9, 0x80000000, v9
	s_delay_alu instid0(VALU_DEP_3) | instskip(NEXT) | instid1(VALU_DEP_1)
	v_lshlrev_b32_e32 v2, 20, v12
	v_and_b32_e32 v2, 0x700000, v2
	s_delay_alu instid0(VALU_DEP_1)
	v_or3_b32 v2, v2, v9, v0
.LBB6_9693:                             ;   in Loop: Header=BB6_7947 Depth=3
	s_or_b32 exec_lo, exec_lo, s45
.LBB6_9694:                             ;   in Loop: Header=BB6_7947 Depth=3
	s_delay_alu instid0(SALU_CYCLE_1)
	s_or_b32 exec_lo, exec_lo, s44
.LBB6_9695:                             ;   in Loop: Header=BB6_7947 Depth=3
	s_delay_alu instid0(SALU_CYCLE_1) | instskip(NEXT) | instid1(VALU_DEP_1)
	s_or_b32 exec_lo, exec_lo, s13
	v_add_f32_e32 v0, v8, v2
                                        ; implicit-def: $vgpr18
	s_mov_b32 s13, exec_lo
	s_delay_alu instid0(VALU_DEP_1) | instskip(SKIP_1) | instid1(VALU_DEP_2)
	v_and_b32_e32 v2, 0x7f800000, v0
	v_lshrrev_b32_e32 v8, 24, v0
	v_cmpx_ne_u64_e32 0x7f800000, v[2:3]
	s_xor_b32 s44, exec_lo, s13
	s_cbranch_execz .LBB6_9709
; %bb.9696:                             ;   in Loop: Header=BB6_7947 Depth=3
	v_and_b32_e32 v2, 0x7fffffff, v0
	v_and_b32_e32 v19, 0x80, v8
                                        ; implicit-def: $vgpr18
	s_mov_b32 s13, exec_lo
	s_delay_alu instid0(VALU_DEP_2)
	v_cmpx_gt_u64_e32 0x43e00001, v[2:3]
	s_xor_b32 s45, exec_lo, s13
	s_cbranch_execz .LBB6_9706
; %bb.9697:                             ;   in Loop: Header=BB6_7947 Depth=3
	v_mov_b32_e32 v18, 0
	s_mov_b32 s74, exec_lo
	v_cmpx_ne_u32_e32 0, v0
	s_cbranch_execz .LBB6_9705
; %bb.9698:                             ;   in Loop: Header=BB6_7947 Depth=3
	v_bfe_u32 v18, v0, 23, 8
	v_and_b32_e32 v2, 0x7fffff, v0
	s_delay_alu instid0(VALU_DEP_2) | instskip(SKIP_2) | instid1(VALU_DEP_4)
	v_cmp_gt_u32_e64 s13, 0x7a, v18
	v_sub_nc_u32_e32 v0, 0x79, v18
	v_cmp_eq_u32_e32 vcc_lo, 0, v18
	v_or_b32_e32 v8, 0x800000, v2
	s_delay_alu instid0(VALU_DEP_1) | instskip(NEXT) | instid1(VALU_DEP_1)
	v_dual_cndmask_b32 v0, 0, v0, s13 :: v_dual_cndmask_b32 v2, v8, v2, vcc_lo
	v_cndmask_b32_e64 v0, v0, 0x78, vcc_lo
	s_delay_alu instid0(VALU_DEP_1) | instskip(NEXT) | instid1(VALU_DEP_1)
	v_dual_add_nc_u32 v8, 20, v0 :: v_dual_add_nc_u32 v12, 19, v0
	v_lshlrev_b64_e64 v[8:9], v8, -1
	s_delay_alu instid0(VALU_DEP_2) | instskip(NEXT) | instid1(VALU_DEP_2)
	v_lshlrev_b64_e64 v[12:13], v12, 1
	v_bfi_b32 v9, v9, 0, 0
	s_delay_alu instid0(VALU_DEP_3) | instskip(NEXT) | instid1(VALU_DEP_1)
	v_bfi_b32 v8, v8, 0, v2
	v_cmp_eq_u64_e64 s13, v[8:9], v[12:13]
	v_lshrrev_b64 v[8:9], v0, v[2:3]
	s_delay_alu instid0(VALU_DEP_1)
	v_mov_b64_e32 v[12:13], v[8:9]
	s_and_saveexec_b32 s75, s13
; %bb.9699:                             ;   in Loop: Header=BB6_7947 Depth=3
	v_bfe_u32 v2, v8, 20, 1
	s_delay_alu instid0(VALU_DEP_1) | instskip(NEXT) | instid1(VALU_DEP_1)
	v_add_nc_u64_e32 v[12:13], v[8:9], v[2:3]
	v_add_nc_u64_e32 v[12:13], -1, v[12:13]
; %bb.9700:                             ;   in Loop: Header=BB6_7947 Depth=3
	s_or_b32 exec_lo, exec_lo, s75
	v_add_nc_u32_e32 v2, 0xffffff81, v18
	v_lshrrev_b32_e32 v9, 23, v8
	s_mov_b32 s13, exec_lo
	s_delay_alu instid0(VALU_DEP_2) | instskip(NEXT) | instid1(VALU_DEP_1)
	v_cndmask_b32_e64 v2, v2, 0xffffff82, vcc_lo
	v_add3_u32 v13, v0, v2, v9
	v_and_b32_e32 v0, 0xfffff, v12
	s_delay_alu instid0(VALU_DEP_1) | instskip(NEXT) | instid1(VALU_DEP_1)
	v_dual_add_nc_u32 v12, 6, v13 :: v_dual_add_nc_u32 v2, v0, v8
                                        ; implicit-def: $vgpr8_vgpr9
                                        ; implicit-def: $vgpr0
	v_cmpx_ne_u32_e32 0, v12
	s_xor_b32 s13, exec_lo, s13
; %bb.9701:                             ;   in Loop: Header=BB6_7947 Depth=3
	s_delay_alu instid0(VALU_DEP_2) | instskip(SKIP_2) | instid1(VALU_DEP_2)
	v_cmp_lt_u64_e32 vcc_lo, 0xffffff, v[2:3]
	v_add_nc_u32_e32 v0, 7, v13
	v_cndmask_b32_e64 v8, 0, 1, vcc_lo
	v_cndmask_b32_e32 v0, v12, v0, vcc_lo
	s_delay_alu instid0(VALU_DEP_2)
	v_lshrrev_b64 v[8:9], v8, v[2:3]
; %bb.9702:                             ;   in Loop: Header=BB6_7947 Depth=3
	s_and_not1_saveexec_b32 s13, s13
; %bb.9703:                             ;   in Loop: Header=BB6_7947 Depth=3
	v_mov_b64_e32 v[8:9], v[2:3]
	v_bfe_u32 v0, v2, 23, 1
; %bb.9704:                             ;   in Loop: Header=BB6_7947 Depth=3
	s_or_b32 exec_lo, exec_lo, s13
	s_delay_alu instid0(VALU_DEP_2) | instskip(NEXT) | instid1(VALU_DEP_2)
	v_lshrrev_b64 v[8:9], 20, v[8:9]
	v_cmp_gt_i32_e32 vcc_lo, 16, v0
	v_min_i32_e32 v2, 15, v0
	v_cmp_eq_u32_e64 s13, 0, v0
	s_delay_alu instid0(VALU_DEP_2) | instskip(SKIP_1) | instid1(VALU_DEP_2)
	v_dual_cndmask_b32 v9, 0, v9 :: v_dual_lshlrev_b32 v2, 3, v2
	v_cndmask_b32_e32 v8, 7, v8, vcc_lo
	v_and_b32_e32 v2, 0xf8, v2
	s_delay_alu instid0(VALU_DEP_2) | instskip(NEXT) | instid1(VALU_DEP_2)
	v_cmp_eq_u64_e32 vcc_lo, 0, v[8:9]
	v_and_or_b32 v0, v8, 7, v2
	s_and_b32 s13, s13, vcc_lo
	s_delay_alu instid0(VALU_DEP_1) | instid1(SALU_CYCLE_1)
	v_cndmask_b32_e64 v0, v0, 0, s13
	s_delay_alu instid0(VALU_DEP_1)
	v_or_b32_e32 v18, v0, v19
.LBB6_9705:                             ;   in Loop: Header=BB6_7947 Depth=3
	s_or_b32 exec_lo, exec_lo, s74
                                        ; implicit-def: $vgpr19
.LBB6_9706:                             ;   in Loop: Header=BB6_7947 Depth=3
	s_and_not1_saveexec_b32 s13, s45
; %bb.9707:                             ;   in Loop: Header=BB6_7947 Depth=3
	v_or_b32_e32 v18, 0x7e, v19
; %bb.9708:                             ;   in Loop: Header=BB6_7947 Depth=3
	s_or_b32 exec_lo, exec_lo, s13
                                        ; implicit-def: $vgpr8
.LBB6_9709:                             ;   in Loop: Header=BB6_7947 Depth=3
	s_and_not1_saveexec_b32 s13, s44
; %bb.9710:                             ;   in Loop: Header=BB6_7947 Depth=3
	v_or_b32_e32 v18, 0x7f, v8
; %bb.9711:                             ;   in Loop: Header=BB6_7947 Depth=3
	s_or_b32 exec_lo, exec_lo, s13
	v_lshrrev_b16 v0, 8, v14
	v_dual_mov_b32 v12, 0 :: v_dual_mov_b32 v13, 0
	s_mov_b32 s13, exec_lo
	s_delay_alu instid0(VALU_DEP_2)
	v_cmpx_ne_u16_e32 0, v0
	s_cbranch_execz .LBB6_9719
; %bb.9712:                             ;   in Loop: Header=BB6_7947 Depth=3
	v_bfrev_b32_e32 v13, 1
	s_mov_b32 s44, exec_lo
	v_cmpx_ne_u16_e32 0x80, v0
	s_cbranch_execz .LBB6_9718
; %bb.9713:                             ;   in Loop: Header=BB6_7947 Depth=3
	v_and_b32_e32 v0, 0xffff, v0
	v_mov_b32_e32 v13, 0x7f800001
	s_mov_b32 s45, exec_lo
	s_delay_alu instid0(VALU_DEP_2) | instskip(NEXT) | instid1(VALU_DEP_1)
	v_and_b32_e32 v8, 0x7f, v0
	v_cmpx_ne_u32_e32 0x7f, v8
	s_cbranch_execz .LBB6_9717
; %bb.9714:                             ;   in Loop: Header=BB6_7947 Depth=3
	v_and_b32_e32 v2, 7, v0
	v_lshrrev_b32_e32 v0, 3, v8
	v_cmp_gt_u32_e32 vcc_lo, 8, v8
	s_delay_alu instid0(VALU_DEP_3)
	v_mov_b64_e32 v[8:9], v[2:3]
	s_and_saveexec_b32 s74, vcc_lo
; %bb.9715:                             ;   in Loop: Header=BB6_7947 Depth=3
	v_clz_i32_u32_e32 v0, v2
	s_delay_alu instid0(VALU_DEP_1) | instskip(NEXT) | instid1(VALU_DEP_1)
	v_min_u32_e32 v0, 32, v0
	v_subrev_nc_u32_e32 v8, 28, v0
	v_sub_nc_u32_e32 v0, 29, v0
	s_delay_alu instid0(VALU_DEP_2) | instskip(NEXT) | instid1(VALU_DEP_1)
	v_lshlrev_b64_e32 v[8:9], v8, v[2:3]
	v_and_b32_e32 v8, 7, v8
; %bb.9716:                             ;   in Loop: Header=BB6_7947 Depth=3
	s_or_b32 exec_lo, exec_lo, s74
	s_delay_alu instid0(VALU_DEP_1) | instskip(SKIP_1) | instid1(VALU_DEP_2)
	v_dual_lshlrev_b32 v2, 16, v14 :: v_dual_lshlrev_b32 v8, 20, v8
	v_lshl_add_u32 v0, v0, 23, 0x3c000000
	v_and_b32_e32 v2, 0x80000000, v2
	s_delay_alu instid0(VALU_DEP_1)
	v_or3_b32 v13, v8, v2, v0
.LBB6_9717:                             ;   in Loop: Header=BB6_7947 Depth=3
	s_or_b32 exec_lo, exec_lo, s45
.LBB6_9718:                             ;   in Loop: Header=BB6_7947 Depth=3
	s_delay_alu instid0(SALU_CYCLE_1)
	s_or_b32 exec_lo, exec_lo, s44
.LBB6_9719:                             ;   in Loop: Header=BB6_7947 Depth=3
	s_delay_alu instid0(SALU_CYCLE_1) | instskip(SKIP_2) | instid1(VALU_DEP_1)
	s_or_b32 exec_lo, exec_lo, s13
	v_lshrrev_b16 v0, 8, v10
	s_mov_b32 s13, exec_lo
	v_cmpx_ne_u16_e32 0, v0
	s_cbranch_execz .LBB6_9727
; %bb.9720:                             ;   in Loop: Header=BB6_7947 Depth=3
	v_bfrev_b32_e32 v12, 1
	s_mov_b32 s44, exec_lo
	v_cmpx_ne_u16_e32 0x80, v0
	s_cbranch_execz .LBB6_9726
; %bb.9721:                             ;   in Loop: Header=BB6_7947 Depth=3
	v_and_b32_e32 v0, 0xffff, v0
	v_mov_b32_e32 v12, 0x7f800001
	s_mov_b32 s45, exec_lo
	s_delay_alu instid0(VALU_DEP_2) | instskip(NEXT) | instid1(VALU_DEP_1)
	v_and_b32_e32 v8, 0x7f, v0
	v_cmpx_ne_u32_e32 0x7f, v8
	s_cbranch_execz .LBB6_9725
; %bb.9722:                             ;   in Loop: Header=BB6_7947 Depth=3
	v_and_b32_e32 v2, 7, v0
	v_lshrrev_b32_e32 v0, 3, v8
	v_cmp_gt_u32_e32 vcc_lo, 8, v8
	s_delay_alu instid0(VALU_DEP_3)
	v_mov_b64_e32 v[8:9], v[2:3]
	s_and_saveexec_b32 s74, vcc_lo
; %bb.9723:                             ;   in Loop: Header=BB6_7947 Depth=3
	v_clz_i32_u32_e32 v0, v2
	s_delay_alu instid0(VALU_DEP_1) | instskip(NEXT) | instid1(VALU_DEP_1)
	v_min_u32_e32 v0, 32, v0
	v_subrev_nc_u32_e32 v8, 28, v0
	v_sub_nc_u32_e32 v0, 29, v0
	s_delay_alu instid0(VALU_DEP_2) | instskip(NEXT) | instid1(VALU_DEP_1)
	v_lshlrev_b64_e32 v[8:9], v8, v[2:3]
	v_and_b32_e32 v8, 7, v8
; %bb.9724:                             ;   in Loop: Header=BB6_7947 Depth=3
	s_or_b32 exec_lo, exec_lo, s74
	s_delay_alu instid0(VALU_DEP_1) | instskip(SKIP_1) | instid1(VALU_DEP_2)
	v_dual_lshlrev_b32 v2, 16, v10 :: v_dual_lshlrev_b32 v8, 20, v8
	v_lshl_add_u32 v0, v0, 23, 0x3c000000
	v_and_b32_e32 v2, 0x80000000, v2
	s_delay_alu instid0(VALU_DEP_1)
	v_or3_b32 v12, v8, v2, v0
.LBB6_9725:                             ;   in Loop: Header=BB6_7947 Depth=3
	s_or_b32 exec_lo, exec_lo, s45
.LBB6_9726:                             ;   in Loop: Header=BB6_7947 Depth=3
	s_delay_alu instid0(SALU_CYCLE_1)
	s_or_b32 exec_lo, exec_lo, s44
.LBB6_9727:                             ;   in Loop: Header=BB6_7947 Depth=3
	s_delay_alu instid0(SALU_CYCLE_1) | instskip(NEXT) | instid1(VALU_DEP_1)
	s_or_b32 exec_lo, exec_lo, s13
	v_add_f32_e32 v0, v13, v12
                                        ; implicit-def: $vgpr19
	s_mov_b32 s13, exec_lo
	s_delay_alu instid0(VALU_DEP_1) | instskip(SKIP_1) | instid1(VALU_DEP_2)
	v_and_b32_e32 v2, 0x7f800000, v0
	v_lshrrev_b32_e32 v8, 24, v0
	v_cmpx_ne_u64_e32 0x7f800000, v[2:3]
	s_xor_b32 s44, exec_lo, s13
	s_cbranch_execz .LBB6_9741
; %bb.9728:                             ;   in Loop: Header=BB6_7947 Depth=3
	v_and_b32_e32 v2, 0x7fffffff, v0
	v_and_b32_e32 v66, 0x80, v8
                                        ; implicit-def: $vgpr19
	s_mov_b32 s13, exec_lo
	s_delay_alu instid0(VALU_DEP_2)
	v_cmpx_gt_u64_e32 0x43e00001, v[2:3]
	s_xor_b32 s45, exec_lo, s13
	s_cbranch_execz .LBB6_9738
; %bb.9729:                             ;   in Loop: Header=BB6_7947 Depth=3
	v_mov_b32_e32 v19, 0
	s_mov_b32 s74, exec_lo
	v_cmpx_ne_u32_e32 0, v0
	s_cbranch_execz .LBB6_9737
; %bb.9730:                             ;   in Loop: Header=BB6_7947 Depth=3
	v_bfe_u32 v19, v0, 23, 8
	v_and_b32_e32 v2, 0x7fffff, v0
	s_delay_alu instid0(VALU_DEP_2) | instskip(SKIP_2) | instid1(VALU_DEP_4)
	v_cmp_gt_u32_e64 s13, 0x7a, v19
	v_sub_nc_u32_e32 v0, 0x79, v19
	v_cmp_eq_u32_e32 vcc_lo, 0, v19
	v_or_b32_e32 v8, 0x800000, v2
	s_delay_alu instid0(VALU_DEP_1) | instskip(NEXT) | instid1(VALU_DEP_1)
	v_dual_cndmask_b32 v0, 0, v0, s13 :: v_dual_cndmask_b32 v2, v8, v2, vcc_lo
	v_cndmask_b32_e64 v0, v0, 0x78, vcc_lo
	s_delay_alu instid0(VALU_DEP_1) | instskip(NEXT) | instid1(VALU_DEP_1)
	v_dual_add_nc_u32 v8, 20, v0 :: v_dual_add_nc_u32 v12, 19, v0
	v_lshlrev_b64_e64 v[8:9], v8, -1
	s_delay_alu instid0(VALU_DEP_2) | instskip(NEXT) | instid1(VALU_DEP_2)
	v_lshlrev_b64_e64 v[12:13], v12, 1
	v_bfi_b32 v9, v9, 0, 0
	s_delay_alu instid0(VALU_DEP_3) | instskip(NEXT) | instid1(VALU_DEP_1)
	v_bfi_b32 v8, v8, 0, v2
	v_cmp_eq_u64_e64 s13, v[8:9], v[12:13]
	v_lshrrev_b64 v[8:9], v0, v[2:3]
	s_delay_alu instid0(VALU_DEP_1)
	v_mov_b64_e32 v[12:13], v[8:9]
	s_and_saveexec_b32 s75, s13
; %bb.9731:                             ;   in Loop: Header=BB6_7947 Depth=3
	v_bfe_u32 v2, v8, 20, 1
	s_delay_alu instid0(VALU_DEP_1) | instskip(NEXT) | instid1(VALU_DEP_1)
	v_add_nc_u64_e32 v[12:13], v[8:9], v[2:3]
	v_add_nc_u64_e32 v[12:13], -1, v[12:13]
; %bb.9732:                             ;   in Loop: Header=BB6_7947 Depth=3
	s_or_b32 exec_lo, exec_lo, s75
	v_add_nc_u32_e32 v2, 0xffffff81, v19
	v_lshrrev_b32_e32 v9, 23, v8
	s_mov_b32 s13, exec_lo
	s_delay_alu instid0(VALU_DEP_2) | instskip(NEXT) | instid1(VALU_DEP_1)
	v_cndmask_b32_e64 v2, v2, 0xffffff82, vcc_lo
	v_add3_u32 v13, v0, v2, v9
	v_and_b32_e32 v0, 0xfffff, v12
	s_delay_alu instid0(VALU_DEP_1) | instskip(NEXT) | instid1(VALU_DEP_1)
	v_dual_add_nc_u32 v12, 6, v13 :: v_dual_add_nc_u32 v2, v0, v8
                                        ; implicit-def: $vgpr8_vgpr9
                                        ; implicit-def: $vgpr0
	v_cmpx_ne_u32_e32 0, v12
	s_xor_b32 s13, exec_lo, s13
; %bb.9733:                             ;   in Loop: Header=BB6_7947 Depth=3
	s_delay_alu instid0(VALU_DEP_2) | instskip(SKIP_2) | instid1(VALU_DEP_2)
	v_cmp_lt_u64_e32 vcc_lo, 0xffffff, v[2:3]
	v_add_nc_u32_e32 v0, 7, v13
	v_cndmask_b32_e64 v8, 0, 1, vcc_lo
	v_cndmask_b32_e32 v0, v12, v0, vcc_lo
	s_delay_alu instid0(VALU_DEP_2)
	v_lshrrev_b64 v[8:9], v8, v[2:3]
; %bb.9734:                             ;   in Loop: Header=BB6_7947 Depth=3
	s_and_not1_saveexec_b32 s13, s13
; %bb.9735:                             ;   in Loop: Header=BB6_7947 Depth=3
	v_mov_b64_e32 v[8:9], v[2:3]
	v_bfe_u32 v0, v2, 23, 1
; %bb.9736:                             ;   in Loop: Header=BB6_7947 Depth=3
	s_or_b32 exec_lo, exec_lo, s13
	s_delay_alu instid0(VALU_DEP_2) | instskip(NEXT) | instid1(VALU_DEP_2)
	v_lshrrev_b64 v[8:9], 20, v[8:9]
	v_cmp_gt_i32_e32 vcc_lo, 16, v0
	v_min_i32_e32 v2, 15, v0
	v_cmp_eq_u32_e64 s13, 0, v0
	s_delay_alu instid0(VALU_DEP_2) | instskip(SKIP_1) | instid1(VALU_DEP_2)
	v_dual_cndmask_b32 v9, 0, v9 :: v_dual_lshlrev_b32 v2, 3, v2
	v_cndmask_b32_e32 v8, 7, v8, vcc_lo
	v_and_b32_e32 v2, 0xf8, v2
	s_delay_alu instid0(VALU_DEP_2) | instskip(NEXT) | instid1(VALU_DEP_2)
	v_cmp_eq_u64_e32 vcc_lo, 0, v[8:9]
	v_and_or_b32 v0, v8, 7, v2
	s_and_b32 s13, s13, vcc_lo
	s_delay_alu instid0(VALU_DEP_1) | instid1(SALU_CYCLE_1)
	v_cndmask_b32_e64 v0, v0, 0, s13
	s_delay_alu instid0(VALU_DEP_1)
	v_or_b32_e32 v19, v0, v66
.LBB6_9737:                             ;   in Loop: Header=BB6_7947 Depth=3
	s_or_b32 exec_lo, exec_lo, s74
                                        ; implicit-def: $vgpr66
.LBB6_9738:                             ;   in Loop: Header=BB6_7947 Depth=3
	s_and_not1_saveexec_b32 s13, s45
; %bb.9739:                             ;   in Loop: Header=BB6_7947 Depth=3
	v_or_b32_e32 v19, 0x7e, v66
; %bb.9740:                             ;   in Loop: Header=BB6_7947 Depth=3
	s_or_b32 exec_lo, exec_lo, s13
                                        ; implicit-def: $vgpr8
.LBB6_9741:                             ;   in Loop: Header=BB6_7947 Depth=3
	s_and_not1_saveexec_b32 s13, s44
; %bb.9742:                             ;   in Loop: Header=BB6_7947 Depth=3
	v_or_b32_e32 v19, 0x7f, v8
; %bb.9743:                             ;   in Loop: Header=BB6_7947 Depth=3
	s_or_b32 exec_lo, exec_lo, s13
	v_dual_lshrrev_b32 v0, 16, v14 :: v_dual_mov_b32 v12, 0
	v_mov_b32_e32 v13, 0
	s_mov_b32 s13, exec_lo
	s_delay_alu instid0(VALU_DEP_2) | instskip(NEXT) | instid1(VALU_DEP_1)
	v_and_b32_e32 v2, 0xff, v0
	v_cmpx_ne_u16_e32 0, v2
	s_cbranch_execz .LBB6_9751
; %bb.9744:                             ;   in Loop: Header=BB6_7947 Depth=3
	v_bfrev_b32_e32 v13, 1
	s_mov_b32 s44, exec_lo
	v_cmpx_ne_u16_e32 0x80, v2
	s_cbranch_execz .LBB6_9750
; %bb.9745:                             ;   in Loop: Header=BB6_7947 Depth=3
	v_bfe_u32 v8, v14, 16, 7
	v_mov_b32_e32 v13, 0x7f800001
	s_mov_b32 s45, exec_lo
	s_delay_alu instid0(VALU_DEP_2)
	v_cmpx_ne_u32_e32 0x7f, v8
	s_cbranch_execz .LBB6_9749
; %bb.9746:                             ;   in Loop: Header=BB6_7947 Depth=3
	v_and_b32_e32 v2, 7, v0
	v_lshrrev_b32_e32 v13, 3, v8
	v_cmp_gt_u32_e32 vcc_lo, 8, v8
	s_delay_alu instid0(VALU_DEP_3)
	v_mov_b64_e32 v[8:9], v[2:3]
	s_and_saveexec_b32 s74, vcc_lo
; %bb.9747:                             ;   in Loop: Header=BB6_7947 Depth=3
	v_clz_i32_u32_e32 v8, v2
	s_delay_alu instid0(VALU_DEP_1) | instskip(NEXT) | instid1(VALU_DEP_1)
	v_min_u32_e32 v13, 32, v8
	v_subrev_nc_u32_e32 v8, 28, v13
	s_delay_alu instid0(VALU_DEP_1) | instskip(NEXT) | instid1(VALU_DEP_1)
	v_lshlrev_b64_e32 v[8:9], v8, v[2:3]
	v_dual_sub_nc_u32 v13, 29, v13 :: v_dual_bitop2_b32 v8, 7, v8 bitop3:0x40
; %bb.9748:                             ;   in Loop: Header=BB6_7947 Depth=3
	s_or_b32 exec_lo, exec_lo, s74
	v_lshlrev_b32_e32 v0, 24, v0
	s_delay_alu instid0(VALU_DEP_2) | instskip(NEXT) | instid1(VALU_DEP_3)
	v_lshlrev_b32_e32 v2, 20, v8
	v_lshl_add_u32 v8, v13, 23, 0x3c000000
	s_delay_alu instid0(VALU_DEP_3) | instskip(NEXT) | instid1(VALU_DEP_1)
	v_and_b32_e32 v0, 0x80000000, v0
	v_or3_b32 v13, v2, v0, v8
.LBB6_9749:                             ;   in Loop: Header=BB6_7947 Depth=3
	s_or_b32 exec_lo, exec_lo, s45
.LBB6_9750:                             ;   in Loop: Header=BB6_7947 Depth=3
	s_delay_alu instid0(SALU_CYCLE_1)
	s_or_b32 exec_lo, exec_lo, s44
.LBB6_9751:                             ;   in Loop: Header=BB6_7947 Depth=3
	s_delay_alu instid0(SALU_CYCLE_1) | instskip(SKIP_2) | instid1(VALU_DEP_1)
	s_or_b32 exec_lo, exec_lo, s13
	v_lshrrev_b32_e32 v0, 16, v10
	s_mov_b32 s13, exec_lo
	v_and_b32_e32 v2, 0xff, v0
	s_delay_alu instid0(VALU_DEP_1)
	v_cmpx_ne_u16_e32 0, v2
	s_cbranch_execz .LBB6_9759
; %bb.9752:                             ;   in Loop: Header=BB6_7947 Depth=3
	v_bfrev_b32_e32 v12, 1
	s_mov_b32 s44, exec_lo
	v_cmpx_ne_u16_e32 0x80, v2
	s_cbranch_execz .LBB6_9758
; %bb.9753:                             ;   in Loop: Header=BB6_7947 Depth=3
	v_bfe_u32 v8, v10, 16, 7
	v_mov_b32_e32 v12, 0x7f800001
	s_mov_b32 s45, exec_lo
	s_delay_alu instid0(VALU_DEP_2)
	v_cmpx_ne_u32_e32 0x7f, v8
	s_cbranch_execz .LBB6_9757
; %bb.9754:                             ;   in Loop: Header=BB6_7947 Depth=3
	v_and_b32_e32 v2, 7, v0
	v_lshrrev_b32_e32 v0, 3, v8
	v_cmp_gt_u32_e32 vcc_lo, 8, v8
	s_delay_alu instid0(VALU_DEP_3)
	v_mov_b64_e32 v[8:9], v[2:3]
	s_and_saveexec_b32 s74, vcc_lo
; %bb.9755:                             ;   in Loop: Header=BB6_7947 Depth=3
	v_clz_i32_u32_e32 v0, v2
	s_delay_alu instid0(VALU_DEP_1) | instskip(NEXT) | instid1(VALU_DEP_1)
	v_min_u32_e32 v0, 32, v0
	v_subrev_nc_u32_e32 v8, 28, v0
	v_sub_nc_u32_e32 v0, 29, v0
	s_delay_alu instid0(VALU_DEP_2) | instskip(NEXT) | instid1(VALU_DEP_1)
	v_lshlrev_b64_e32 v[8:9], v8, v[2:3]
	v_and_b32_e32 v8, 7, v8
; %bb.9756:                             ;   in Loop: Header=BB6_7947 Depth=3
	s_or_b32 exec_lo, exec_lo, s74
	s_delay_alu instid0(VALU_DEP_1) | instskip(SKIP_1) | instid1(VALU_DEP_2)
	v_dual_lshlrev_b32 v2, 8, v10 :: v_dual_lshlrev_b32 v8, 20, v8
	v_lshl_add_u32 v0, v0, 23, 0x3c000000
	v_and_b32_e32 v2, 0x80000000, v2
	s_delay_alu instid0(VALU_DEP_1)
	v_or3_b32 v12, v8, v2, v0
.LBB6_9757:                             ;   in Loop: Header=BB6_7947 Depth=3
	s_or_b32 exec_lo, exec_lo, s45
.LBB6_9758:                             ;   in Loop: Header=BB6_7947 Depth=3
	s_delay_alu instid0(SALU_CYCLE_1)
	s_or_b32 exec_lo, exec_lo, s44
.LBB6_9759:                             ;   in Loop: Header=BB6_7947 Depth=3
	s_delay_alu instid0(SALU_CYCLE_1) | instskip(NEXT) | instid1(VALU_DEP_1)
	s_or_b32 exec_lo, exec_lo, s13
	v_add_f32_e32 v0, v13, v12
                                        ; implicit-def: $vgpr120
	s_mov_b32 s13, exec_lo
	s_delay_alu instid0(VALU_DEP_1) | instskip(SKIP_1) | instid1(VALU_DEP_2)
	v_and_b32_e32 v2, 0x7f800000, v0
	v_lshrrev_b32_e32 v8, 24, v0
	v_cmpx_ne_u64_e32 0x7f800000, v[2:3]
	s_xor_b32 s44, exec_lo, s13
	s_cbranch_execz .LBB6_9773
; %bb.9760:                             ;   in Loop: Header=BB6_7947 Depth=3
	v_and_b32_e32 v2, 0x7fffffff, v0
	v_and_b32_e32 v66, 0x80, v8
                                        ; implicit-def: $vgpr120
	s_mov_b32 s13, exec_lo
	s_delay_alu instid0(VALU_DEP_2)
	v_cmpx_gt_u64_e32 0x43e00001, v[2:3]
	s_xor_b32 s45, exec_lo, s13
	s_cbranch_execz .LBB6_9770
; %bb.9761:                             ;   in Loop: Header=BB6_7947 Depth=3
	v_mov_b32_e32 v120, 0
	s_mov_b32 s74, exec_lo
	v_cmpx_ne_u32_e32 0, v0
	s_cbranch_execz .LBB6_9769
; %bb.9762:                             ;   in Loop: Header=BB6_7947 Depth=3
	v_bfe_u32 v67, v0, 23, 8
	v_and_b32_e32 v2, 0x7fffff, v0
	s_delay_alu instid0(VALU_DEP_2) | instskip(SKIP_2) | instid1(VALU_DEP_4)
	v_cmp_gt_u32_e64 s13, 0x7a, v67
	v_sub_nc_u32_e32 v0, 0x79, v67
	v_cmp_eq_u32_e32 vcc_lo, 0, v67
	v_or_b32_e32 v8, 0x800000, v2
	s_delay_alu instid0(VALU_DEP_1) | instskip(NEXT) | instid1(VALU_DEP_1)
	v_dual_cndmask_b32 v0, 0, v0, s13 :: v_dual_cndmask_b32 v2, v8, v2, vcc_lo
	v_cndmask_b32_e64 v0, v0, 0x78, vcc_lo
	s_delay_alu instid0(VALU_DEP_1) | instskip(NEXT) | instid1(VALU_DEP_1)
	v_dual_add_nc_u32 v8, 20, v0 :: v_dual_add_nc_u32 v12, 19, v0
	v_lshlrev_b64_e64 v[8:9], v8, -1
	s_delay_alu instid0(VALU_DEP_2) | instskip(NEXT) | instid1(VALU_DEP_2)
	v_lshlrev_b64_e64 v[12:13], v12, 1
	v_bfi_b32 v9, v9, 0, 0
	s_delay_alu instid0(VALU_DEP_3) | instskip(NEXT) | instid1(VALU_DEP_1)
	v_bfi_b32 v8, v8, 0, v2
	v_cmp_eq_u64_e64 s13, v[8:9], v[12:13]
	v_lshrrev_b64 v[8:9], v0, v[2:3]
	s_delay_alu instid0(VALU_DEP_1)
	v_mov_b64_e32 v[12:13], v[8:9]
	s_and_saveexec_b32 s75, s13
; %bb.9763:                             ;   in Loop: Header=BB6_7947 Depth=3
	v_bfe_u32 v2, v8, 20, 1
	s_delay_alu instid0(VALU_DEP_1) | instskip(NEXT) | instid1(VALU_DEP_1)
	v_add_nc_u64_e32 v[12:13], v[8:9], v[2:3]
	v_add_nc_u64_e32 v[12:13], -1, v[12:13]
; %bb.9764:                             ;   in Loop: Header=BB6_7947 Depth=3
	s_or_b32 exec_lo, exec_lo, s75
	v_add_nc_u32_e32 v2, 0xffffff81, v67
	v_lshrrev_b32_e32 v9, 23, v8
	s_mov_b32 s13, exec_lo
	s_delay_alu instid0(VALU_DEP_2) | instskip(NEXT) | instid1(VALU_DEP_1)
	v_cndmask_b32_e64 v2, v2, 0xffffff82, vcc_lo
	v_add3_u32 v13, v0, v2, v9
	v_and_b32_e32 v0, 0xfffff, v12
	s_delay_alu instid0(VALU_DEP_1) | instskip(NEXT) | instid1(VALU_DEP_1)
	v_dual_add_nc_u32 v12, 6, v13 :: v_dual_add_nc_u32 v2, v0, v8
                                        ; implicit-def: $vgpr8_vgpr9
                                        ; implicit-def: $vgpr0
	v_cmpx_ne_u32_e32 0, v12
	s_xor_b32 s13, exec_lo, s13
; %bb.9765:                             ;   in Loop: Header=BB6_7947 Depth=3
	s_delay_alu instid0(VALU_DEP_2) | instskip(SKIP_2) | instid1(VALU_DEP_2)
	v_cmp_lt_u64_e32 vcc_lo, 0xffffff, v[2:3]
	v_add_nc_u32_e32 v0, 7, v13
	v_cndmask_b32_e64 v8, 0, 1, vcc_lo
	v_cndmask_b32_e32 v0, v12, v0, vcc_lo
	s_delay_alu instid0(VALU_DEP_2)
	v_lshrrev_b64 v[8:9], v8, v[2:3]
; %bb.9766:                             ;   in Loop: Header=BB6_7947 Depth=3
	s_and_not1_saveexec_b32 s13, s13
; %bb.9767:                             ;   in Loop: Header=BB6_7947 Depth=3
	v_mov_b64_e32 v[8:9], v[2:3]
	v_bfe_u32 v0, v2, 23, 1
; %bb.9768:                             ;   in Loop: Header=BB6_7947 Depth=3
	s_or_b32 exec_lo, exec_lo, s13
	s_delay_alu instid0(VALU_DEP_2) | instskip(NEXT) | instid1(VALU_DEP_2)
	v_lshrrev_b64 v[8:9], 20, v[8:9]
	v_cmp_gt_i32_e32 vcc_lo, 16, v0
	v_min_i32_e32 v2, 15, v0
	v_cmp_eq_u32_e64 s13, 0, v0
	s_delay_alu instid0(VALU_DEP_2) | instskip(SKIP_1) | instid1(VALU_DEP_2)
	v_dual_cndmask_b32 v9, 0, v9 :: v_dual_lshlrev_b32 v2, 3, v2
	v_cndmask_b32_e32 v8, 7, v8, vcc_lo
	v_and_b32_e32 v2, 0xf8, v2
	s_delay_alu instid0(VALU_DEP_2) | instskip(NEXT) | instid1(VALU_DEP_2)
	v_cmp_eq_u64_e32 vcc_lo, 0, v[8:9]
	v_and_or_b32 v0, v8, 7, v2
	s_and_b32 s13, s13, vcc_lo
	s_delay_alu instid0(VALU_DEP_1) | instid1(SALU_CYCLE_1)
	v_cndmask_b32_e64 v0, v0, 0, s13
	s_delay_alu instid0(VALU_DEP_1)
	v_or_b32_e32 v120, v0, v66
.LBB6_9769:                             ;   in Loop: Header=BB6_7947 Depth=3
	s_or_b32 exec_lo, exec_lo, s74
                                        ; implicit-def: $vgpr66
.LBB6_9770:                             ;   in Loop: Header=BB6_7947 Depth=3
	s_and_not1_saveexec_b32 s13, s45
; %bb.9771:                             ;   in Loop: Header=BB6_7947 Depth=3
	v_or_b32_e32 v120, 0x7e, v66
; %bb.9772:                             ;   in Loop: Header=BB6_7947 Depth=3
	s_or_b32 exec_lo, exec_lo, s13
                                        ; implicit-def: $vgpr8
.LBB6_9773:                             ;   in Loop: Header=BB6_7947 Depth=3
	s_and_not1_saveexec_b32 s13, s44
; %bb.9774:                             ;   in Loop: Header=BB6_7947 Depth=3
	v_or_b32_e32 v120, 0x7f, v8
; %bb.9775:                             ;   in Loop: Header=BB6_7947 Depth=3
	s_or_b32 exec_lo, exec_lo, s13
	v_dual_mov_b32 v12, 0 :: v_dual_mov_b32 v13, 0
	s_mov_b32 s13, exec_lo
	v_cmpx_lt_u32_e32 0xffffff, v14
	s_cbranch_execz .LBB6_9783
; %bb.9776:                             ;   in Loop: Header=BB6_7947 Depth=3
	v_lshrrev_b32_e32 v0, 24, v14
	v_bfrev_b32_e32 v13, 1
	s_mov_b32 s44, exec_lo
	s_delay_alu instid0(VALU_DEP_2)
	v_cmpx_ne_u32_e32 0x80, v0
	s_cbranch_execz .LBB6_9782
; %bb.9777:                             ;   in Loop: Header=BB6_7947 Depth=3
	v_bfe_u32 v8, v14, 24, 7
	v_mov_b32_e32 v13, 0x7f800001
	s_mov_b32 s45, exec_lo
	s_delay_alu instid0(VALU_DEP_2)
	v_cmpx_ne_u32_e32 0x7f, v8
	s_cbranch_execz .LBB6_9781
; %bb.9778:                             ;   in Loop: Header=BB6_7947 Depth=3
	v_and_b32_e32 v2, 7, v0
	v_lshrrev_b32_e32 v13, 3, v8
	v_cmp_gt_u32_e32 vcc_lo, 8, v8
	s_delay_alu instid0(VALU_DEP_3)
	v_mov_b64_e32 v[8:9], v[2:3]
	s_and_saveexec_b32 s74, vcc_lo
; %bb.9779:                             ;   in Loop: Header=BB6_7947 Depth=3
	v_clz_i32_u32_e32 v8, v2
	s_delay_alu instid0(VALU_DEP_1) | instskip(NEXT) | instid1(VALU_DEP_1)
	v_min_u32_e32 v13, 32, v8
	v_subrev_nc_u32_e32 v8, 28, v13
	s_delay_alu instid0(VALU_DEP_1) | instskip(NEXT) | instid1(VALU_DEP_1)
	v_lshlrev_b64_e32 v[8:9], v8, v[2:3]
	v_dual_sub_nc_u32 v13, 29, v13 :: v_dual_bitop2_b32 v8, 7, v8 bitop3:0x40
; %bb.9780:                             ;   in Loop: Header=BB6_7947 Depth=3
	s_or_b32 exec_lo, exec_lo, s74
	v_lshlrev_b32_e32 v0, 24, v0
	s_delay_alu instid0(VALU_DEP_2) | instskip(NEXT) | instid1(VALU_DEP_3)
	v_lshlrev_b32_e32 v2, 20, v8
	v_lshl_add_u32 v8, v13, 23, 0x3c000000
	s_delay_alu instid0(VALU_DEP_3) | instskip(NEXT) | instid1(VALU_DEP_1)
	v_and_b32_e32 v0, 0x80000000, v0
	v_or3_b32 v13, v2, v0, v8
.LBB6_9781:                             ;   in Loop: Header=BB6_7947 Depth=3
	s_or_b32 exec_lo, exec_lo, s45
.LBB6_9782:                             ;   in Loop: Header=BB6_7947 Depth=3
	s_delay_alu instid0(SALU_CYCLE_1)
	s_or_b32 exec_lo, exec_lo, s44
.LBB6_9783:                             ;   in Loop: Header=BB6_7947 Depth=3
	s_delay_alu instid0(SALU_CYCLE_1) | instskip(NEXT) | instid1(SALU_CYCLE_1)
	s_or_b32 exec_lo, exec_lo, s13
	s_mov_b32 s13, exec_lo
	v_cmpx_lt_u32_e32 0xffffff, v10
	s_cbranch_execz .LBB6_9791
; %bb.9784:                             ;   in Loop: Header=BB6_7947 Depth=3
	v_lshrrev_b32_e32 v0, 24, v10
	v_bfrev_b32_e32 v12, 1
	s_mov_b32 s44, exec_lo
	s_delay_alu instid0(VALU_DEP_2)
	v_cmpx_ne_u32_e32 0x80, v0
	s_cbranch_execz .LBB6_9790
; %bb.9785:                             ;   in Loop: Header=BB6_7947 Depth=3
	v_bfe_u32 v8, v10, 24, 7
	v_mov_b32_e32 v12, 0x7f800001
	s_mov_b32 s45, exec_lo
	s_delay_alu instid0(VALU_DEP_2)
	v_cmpx_ne_u32_e32 0x7f, v8
	s_cbranch_execz .LBB6_9789
; %bb.9786:                             ;   in Loop: Header=BB6_7947 Depth=3
	v_and_b32_e32 v2, 7, v0
	v_lshrrev_b32_e32 v12, 3, v8
	v_cmp_gt_u32_e32 vcc_lo, 8, v8
	s_delay_alu instid0(VALU_DEP_3)
	v_mov_b64_e32 v[8:9], v[2:3]
	s_and_saveexec_b32 s74, vcc_lo
; %bb.9787:                             ;   in Loop: Header=BB6_7947 Depth=3
	v_clz_i32_u32_e32 v8, v2
	s_delay_alu instid0(VALU_DEP_1) | instskip(NEXT) | instid1(VALU_DEP_1)
	v_min_u32_e32 v12, 32, v8
	v_subrev_nc_u32_e32 v8, 28, v12
	v_sub_nc_u32_e32 v12, 29, v12
	s_delay_alu instid0(VALU_DEP_2) | instskip(NEXT) | instid1(VALU_DEP_1)
	v_lshlrev_b64_e32 v[8:9], v8, v[2:3]
	v_and_b32_e32 v8, 7, v8
; %bb.9788:                             ;   in Loop: Header=BB6_7947 Depth=3
	s_or_b32 exec_lo, exec_lo, s74
	v_lshlrev_b32_e32 v0, 24, v0
	s_delay_alu instid0(VALU_DEP_2) | instskip(SKIP_1) | instid1(VALU_DEP_3)
	v_lshlrev_b32_e32 v2, 20, v8
	v_lshl_add_u32 v8, v12, 23, 0x3c000000
	v_and_b32_e32 v0, 0x80000000, v0
	s_delay_alu instid0(VALU_DEP_1)
	v_or3_b32 v12, v2, v0, v8
.LBB6_9789:                             ;   in Loop: Header=BB6_7947 Depth=3
	s_or_b32 exec_lo, exec_lo, s45
.LBB6_9790:                             ;   in Loop: Header=BB6_7947 Depth=3
	s_delay_alu instid0(SALU_CYCLE_1)
	s_or_b32 exec_lo, exec_lo, s44
.LBB6_9791:                             ;   in Loop: Header=BB6_7947 Depth=3
	s_delay_alu instid0(SALU_CYCLE_1) | instskip(NEXT) | instid1(VALU_DEP_1)
	s_or_b32 exec_lo, exec_lo, s13
	v_add_f32_e32 v0, v13, v12
                                        ; implicit-def: $vgpr42
	s_mov_b32 s13, exec_lo
	s_delay_alu instid0(VALU_DEP_1) | instskip(SKIP_1) | instid1(VALU_DEP_2)
	v_and_b32_e32 v2, 0x7f800000, v0
	v_lshrrev_b32_e32 v8, 24, v0
	v_cmpx_ne_u64_e32 0x7f800000, v[2:3]
	s_xor_b32 s44, exec_lo, s13
	s_cbranch_execz .LBB6_9805
; %bb.9792:                             ;   in Loop: Header=BB6_7947 Depth=3
	v_and_b32_e32 v2, 0x7fffffff, v0
	v_and_b32_e32 v66, 0x80, v8
                                        ; implicit-def: $vgpr42
	s_mov_b32 s13, exec_lo
	s_delay_alu instid0(VALU_DEP_2)
	v_cmpx_gt_u64_e32 0x43e00001, v[2:3]
	s_xor_b32 s45, exec_lo, s13
	s_cbranch_execz .LBB6_9802
; %bb.9793:                             ;   in Loop: Header=BB6_7947 Depth=3
	v_mov_b32_e32 v42, 0
	s_mov_b32 s74, exec_lo
	v_cmpx_ne_u32_e32 0, v0
	s_cbranch_execz .LBB6_9801
; %bb.9794:                             ;   in Loop: Header=BB6_7947 Depth=3
	v_bfe_u32 v67, v0, 23, 8
	v_and_b32_e32 v2, 0x7fffff, v0
	s_delay_alu instid0(VALU_DEP_2) | instskip(SKIP_2) | instid1(VALU_DEP_4)
	v_cmp_gt_u32_e64 s13, 0x7a, v67
	v_sub_nc_u32_e32 v0, 0x79, v67
	v_cmp_eq_u32_e32 vcc_lo, 0, v67
	v_or_b32_e32 v8, 0x800000, v2
	s_delay_alu instid0(VALU_DEP_1) | instskip(NEXT) | instid1(VALU_DEP_1)
	v_dual_cndmask_b32 v0, 0, v0, s13 :: v_dual_cndmask_b32 v2, v8, v2, vcc_lo
	v_cndmask_b32_e64 v0, v0, 0x78, vcc_lo
	s_delay_alu instid0(VALU_DEP_1) | instskip(NEXT) | instid1(VALU_DEP_1)
	v_dual_add_nc_u32 v8, 20, v0 :: v_dual_add_nc_u32 v12, 19, v0
	v_lshlrev_b64_e64 v[8:9], v8, -1
	s_delay_alu instid0(VALU_DEP_2) | instskip(NEXT) | instid1(VALU_DEP_2)
	v_lshlrev_b64_e64 v[12:13], v12, 1
	v_bfi_b32 v9, v9, 0, 0
	s_delay_alu instid0(VALU_DEP_3) | instskip(NEXT) | instid1(VALU_DEP_1)
	v_bfi_b32 v8, v8, 0, v2
	v_cmp_eq_u64_e64 s13, v[8:9], v[12:13]
	v_lshrrev_b64 v[8:9], v0, v[2:3]
	s_delay_alu instid0(VALU_DEP_1)
	v_mov_b64_e32 v[12:13], v[8:9]
	s_and_saveexec_b32 s75, s13
; %bb.9795:                             ;   in Loop: Header=BB6_7947 Depth=3
	v_bfe_u32 v2, v8, 20, 1
	s_delay_alu instid0(VALU_DEP_1) | instskip(NEXT) | instid1(VALU_DEP_1)
	v_add_nc_u64_e32 v[12:13], v[8:9], v[2:3]
	v_add_nc_u64_e32 v[12:13], -1, v[12:13]
; %bb.9796:                             ;   in Loop: Header=BB6_7947 Depth=3
	s_or_b32 exec_lo, exec_lo, s75
	v_add_nc_u32_e32 v2, 0xffffff81, v67
	v_lshrrev_b32_e32 v9, 23, v8
	s_mov_b32 s13, exec_lo
	s_delay_alu instid0(VALU_DEP_2) | instskip(NEXT) | instid1(VALU_DEP_1)
	v_cndmask_b32_e64 v2, v2, 0xffffff82, vcc_lo
	v_add3_u32 v13, v0, v2, v9
	v_and_b32_e32 v0, 0xfffff, v12
	s_delay_alu instid0(VALU_DEP_1) | instskip(NEXT) | instid1(VALU_DEP_1)
	v_dual_add_nc_u32 v12, 6, v13 :: v_dual_add_nc_u32 v2, v0, v8
                                        ; implicit-def: $vgpr8_vgpr9
                                        ; implicit-def: $vgpr0
	v_cmpx_ne_u32_e32 0, v12
	s_xor_b32 s13, exec_lo, s13
; %bb.9797:                             ;   in Loop: Header=BB6_7947 Depth=3
	s_delay_alu instid0(VALU_DEP_2) | instskip(SKIP_2) | instid1(VALU_DEP_2)
	v_cmp_lt_u64_e32 vcc_lo, 0xffffff, v[2:3]
	v_add_nc_u32_e32 v0, 7, v13
	v_cndmask_b32_e64 v8, 0, 1, vcc_lo
	v_cndmask_b32_e32 v0, v12, v0, vcc_lo
	s_delay_alu instid0(VALU_DEP_2)
	v_lshrrev_b64 v[8:9], v8, v[2:3]
; %bb.9798:                             ;   in Loop: Header=BB6_7947 Depth=3
	s_and_not1_saveexec_b32 s13, s13
; %bb.9799:                             ;   in Loop: Header=BB6_7947 Depth=3
	v_mov_b64_e32 v[8:9], v[2:3]
	v_bfe_u32 v0, v2, 23, 1
; %bb.9800:                             ;   in Loop: Header=BB6_7947 Depth=3
	s_or_b32 exec_lo, exec_lo, s13
	s_delay_alu instid0(VALU_DEP_2) | instskip(NEXT) | instid1(VALU_DEP_2)
	v_lshrrev_b64 v[8:9], 20, v[8:9]
	v_cmp_gt_i32_e32 vcc_lo, 16, v0
	v_min_i32_e32 v2, 15, v0
	v_cmp_eq_u32_e64 s13, 0, v0
	s_delay_alu instid0(VALU_DEP_2) | instskip(SKIP_1) | instid1(VALU_DEP_2)
	v_dual_cndmask_b32 v9, 0, v9 :: v_dual_lshlrev_b32 v2, 3, v2
	v_cndmask_b32_e32 v8, 7, v8, vcc_lo
	v_and_b32_e32 v2, 0xf8, v2
	s_delay_alu instid0(VALU_DEP_2) | instskip(NEXT) | instid1(VALU_DEP_2)
	v_cmp_eq_u64_e32 vcc_lo, 0, v[8:9]
	v_and_or_b32 v0, v8, 7, v2
	s_and_b32 s13, s13, vcc_lo
	s_delay_alu instid0(VALU_DEP_1) | instid1(SALU_CYCLE_1)
	v_cndmask_b32_e64 v0, v0, 0, s13
	s_delay_alu instid0(VALU_DEP_1)
	v_or_b32_e32 v42, v0, v66
.LBB6_9801:                             ;   in Loop: Header=BB6_7947 Depth=3
	s_or_b32 exec_lo, exec_lo, s74
                                        ; implicit-def: $vgpr66
.LBB6_9802:                             ;   in Loop: Header=BB6_7947 Depth=3
	s_and_not1_saveexec_b32 s13, s45
; %bb.9803:                             ;   in Loop: Header=BB6_7947 Depth=3
	v_or_b32_e32 v42, 0x7e, v66
; %bb.9804:                             ;   in Loop: Header=BB6_7947 Depth=3
	s_or_b32 exec_lo, exec_lo, s13
                                        ; implicit-def: $vgpr8
.LBB6_9805:                             ;   in Loop: Header=BB6_7947 Depth=3
	s_and_not1_saveexec_b32 s13, s44
; %bb.9806:                             ;   in Loop: Header=BB6_7947 Depth=3
	v_or_b32_e32 v42, 0x7f, v8
; %bb.9807:                             ;   in Loop: Header=BB6_7947 Depth=3
	s_or_b32 exec_lo, exec_lo, s13
	v_and_b32_e32 v0, 0xff, v15
	v_dual_mov_b32 v2, v15 :: v_dual_mov_b32 v8, 0
	v_mov_b32_e32 v9, 0
	s_mov_b32 s13, exec_lo
	s_delay_alu instid0(VALU_DEP_3)
	v_cmpx_ne_u16_e32 0, v0
	s_cbranch_execz .LBB6_9813
; %bb.9808:                             ;   in Loop: Header=BB6_7947 Depth=3
	v_bfrev_b32_e32 v9, 1
	s_mov_b32 s44, exec_lo
	v_cmpx_ne_u16_e32 0x80, v0
	s_cbranch_execz .LBB6_9812
; %bb.9809:                             ;   in Loop: Header=BB6_7947 Depth=3
	v_and_b32_e32 v0, 0x7f, v15
	v_mov_b32_e32 v9, 0x7f800001
	s_mov_b32 s45, exec_lo
	s_delay_alu instid0(VALU_DEP_2)
	v_cmpx_ne_u32_e32 0x7f, v0
	s_cbranch_execz .LBB6_9811
; %bb.9810:                             ;   in Loop: Header=BB6_7947 Depth=3
	v_dual_lshrrev_b32 v12, 3, v0 :: v_dual_bitop2_b32 v9, 7, v15 bitop3:0x40
	v_cmp_gt_u32_e32 vcc_lo, 8, v0
	s_delay_alu instid0(VALU_DEP_2) | instskip(NEXT) | instid1(VALU_DEP_1)
	v_clz_i32_u32_e32 v0, v9
	v_min_u32_e32 v0, 32, v0
	s_delay_alu instid0(VALU_DEP_1) | instskip(NEXT) | instid1(VALU_DEP_1)
	v_subrev_nc_u32_e32 v9, 28, v0
	v_dual_cndmask_b32 v9, 0, v9 :: v_dual_sub_nc_u32 v0, 29, v0
	s_delay_alu instid0(VALU_DEP_1) | instskip(NEXT) | instid1(VALU_DEP_2)
	v_cndmask_b32_e32 v0, v12, v0, vcc_lo
	v_lshlrev_b64_e32 v[12:13], v9, v[2:3]
	s_delay_alu instid0(VALU_DEP_1) | instskip(NEXT) | instid1(VALU_DEP_3)
	v_dual_lshlrev_b32 v9, 20, v12 :: v_dual_lshlrev_b32 v12, 24, v2
	v_lshl_add_u32 v0, v0, 23, 0x3c000000
	s_delay_alu instid0(VALU_DEP_2) | instskip(NEXT) | instid1(VALU_DEP_3)
	v_and_b32_e32 v9, 0x700000, v9
	v_and_b32_e32 v12, 0x80000000, v12
	s_delay_alu instid0(VALU_DEP_1)
	v_or3_b32 v9, v9, v12, v0
.LBB6_9811:                             ;   in Loop: Header=BB6_7947 Depth=3
	s_or_b32 exec_lo, exec_lo, s45
.LBB6_9812:                             ;   in Loop: Header=BB6_7947 Depth=3
	s_delay_alu instid0(SALU_CYCLE_1)
	s_or_b32 exec_lo, exec_lo, s44
.LBB6_9813:                             ;   in Loop: Header=BB6_7947 Depth=3
	s_delay_alu instid0(SALU_CYCLE_1) | instskip(SKIP_2) | instid1(VALU_DEP_1)
	s_or_b32 exec_lo, exec_lo, s13
	v_and_b32_e32 v0, 0xff, v11
	s_mov_b32 s13, exec_lo
	v_cmpx_ne_u16_e32 0, v0
	s_cbranch_execz .LBB6_9819
; %bb.9814:                             ;   in Loop: Header=BB6_7947 Depth=3
	v_bfrev_b32_e32 v8, 1
	s_mov_b32 s44, exec_lo
	v_cmpx_ne_u16_e32 0x80, v0
	s_cbranch_execz .LBB6_9818
; %bb.9815:                             ;   in Loop: Header=BB6_7947 Depth=3
	v_and_b32_e32 v0, 0x7f, v11
	v_mov_b32_e32 v8, 0x7f800001
	s_mov_b32 s45, exec_lo
	s_delay_alu instid0(VALU_DEP_2)
	v_cmpx_ne_u32_e32 0x7f, v0
	s_cbranch_execz .LBB6_9817
; %bb.9816:                             ;   in Loop: Header=BB6_7947 Depth=3
	v_dual_lshrrev_b32 v52, 3, v0 :: v_dual_bitop2_b32 v8, 7, v11 bitop3:0x40
	v_cmp_gt_u32_e32 vcc_lo, 8, v0
	v_mov_b32_e32 v12, v11
	s_delay_alu instid0(VALU_DEP_3) | instskip(NEXT) | instid1(VALU_DEP_1)
	v_clz_i32_u32_e32 v8, v8
	v_min_u32_e32 v8, 32, v8
	s_delay_alu instid0(VALU_DEP_1) | instskip(SKIP_1) | instid1(VALU_DEP_1)
	v_subrev_nc_u32_e32 v0, 28, v8
	v_dual_mov_b32 v13, v3 :: v_dual_sub_nc_u32 v66, 29, v8
	v_dual_cndmask_b32 v0, 0, v0, vcc_lo :: v_dual_cndmask_b32 v8, v52, v66, vcc_lo
	s_delay_alu instid0(VALU_DEP_1) | instskip(SKIP_1) | instid1(VALU_DEP_3)
	v_lshlrev_b64_e32 v[66:67], v0, v[12:13]
	v_lshlrev_b32_e32 v0, 24, v12
	v_lshl_add_u32 v8, v8, 23, 0x3c000000
	s_delay_alu instid0(VALU_DEP_2) | instskip(NEXT) | instid1(VALU_DEP_4)
	v_and_b32_e32 v0, 0x80000000, v0
	v_lshlrev_b32_e32 v12, 20, v66
	s_delay_alu instid0(VALU_DEP_1) | instskip(NEXT) | instid1(VALU_DEP_1)
	v_and_b32_e32 v12, 0x700000, v12
	v_or3_b32 v8, v12, v0, v8
.LBB6_9817:                             ;   in Loop: Header=BB6_7947 Depth=3
	s_or_b32 exec_lo, exec_lo, s45
.LBB6_9818:                             ;   in Loop: Header=BB6_7947 Depth=3
	s_delay_alu instid0(SALU_CYCLE_1)
	s_or_b32 exec_lo, exec_lo, s44
.LBB6_9819:                             ;   in Loop: Header=BB6_7947 Depth=3
	s_delay_alu instid0(SALU_CYCLE_1) | instskip(NEXT) | instid1(VALU_DEP_1)
	s_or_b32 exec_lo, exec_lo, s13
	v_dual_add_f32 v0, v9, v8 :: v_dual_mov_b32 v9, v3
                                        ; implicit-def: $vgpr43
	s_delay_alu instid0(VALU_DEP_1) | instskip(NEXT) | instid1(VALU_DEP_1)
	v_and_b32_e32 v8, 0x7f800000, v0
	v_cmp_ne_u64_e32 vcc_lo, 0x7f800000, v[8:9]
	v_lshrrev_b32_e32 v8, 24, v0
	s_and_saveexec_b32 s13, vcc_lo
	s_delay_alu instid0(SALU_CYCLE_1)
	s_xor_b32 s44, exec_lo, s13
	s_cbranch_execz .LBB6_9833
; %bb.9820:                             ;   in Loop: Header=BB6_7947 Depth=3
	v_and_b32_e32 v12, 0x7fffffff, v0
	v_mov_b32_e32 v13, v3
	v_and_b32_e32 v66, 0x80, v8
                                        ; implicit-def: $vgpr43
	s_mov_b32 s13, exec_lo
	s_delay_alu instid0(VALU_DEP_2)
	v_cmpx_gt_u64_e32 0x43e00001, v[12:13]
	s_xor_b32 s45, exec_lo, s13
	s_cbranch_execz .LBB6_9830
; %bb.9821:                             ;   in Loop: Header=BB6_7947 Depth=3
	v_mov_b32_e32 v43, 0
	s_mov_b32 s74, exec_lo
	v_cmpx_ne_u32_e32 0, v0
	s_cbranch_execz .LBB6_9829
; %bb.9822:                             ;   in Loop: Header=BB6_7947 Depth=3
	v_and_b32_e32 v8, 0x7fffff, v0
	v_bfe_u32 v67, v0, 23, 8
	s_delay_alu instid0(VALU_DEP_2) | instskip(NEXT) | instid1(VALU_DEP_2)
	v_or_b32_e32 v9, 0x800000, v8
	v_cmp_eq_u32_e32 vcc_lo, 0, v67
	v_cmp_gt_u32_e64 s13, 0x7a, v67
	v_sub_nc_u32_e32 v0, 0x79, v67
	s_delay_alu instid0(VALU_DEP_4) | instskip(NEXT) | instid1(VALU_DEP_2)
	v_dual_cndmask_b32 v8, v9, v8 :: v_dual_mov_b32 v9, v3
	v_cndmask_b32_e64 v0, 0, v0, s13
	s_delay_alu instid0(VALU_DEP_1) | instskip(NEXT) | instid1(VALU_DEP_1)
	v_cndmask_b32_e64 v0, v0, 0x78, vcc_lo
	v_dual_add_nc_u32 v12, 20, v0 :: v_dual_add_nc_u32 v52, 19, v0
	s_delay_alu instid0(VALU_DEP_1) | instskip(NEXT) | instid1(VALU_DEP_2)
	v_lshlrev_b64_e64 v[12:13], v12, -1
	v_lshlrev_b64_e64 v[88:89], v52, 1
	s_delay_alu instid0(VALU_DEP_2) | instskip(SKIP_1) | instid1(VALU_DEP_4)
	v_bfi_b32 v12, v12, 0, v8
	v_lshrrev_b64 v[8:9], v0, v[8:9]
	v_bfi_b32 v13, v13, 0, 0
	s_delay_alu instid0(VALU_DEP_1) | instskip(NEXT) | instid1(VALU_DEP_3)
	v_cmp_eq_u64_e64 s13, v[12:13], v[88:89]
	v_mov_b64_e32 v[12:13], v[8:9]
	s_and_saveexec_b32 s75, s13
; %bb.9823:                             ;   in Loop: Header=BB6_7947 Depth=3
	v_bfe_u32 v12, v8, 20, 1
	v_mov_b32_e32 v13, v3
	s_delay_alu instid0(VALU_DEP_1) | instskip(NEXT) | instid1(VALU_DEP_1)
	v_add_nc_u64_e32 v[12:13], v[8:9], v[12:13]
	v_add_nc_u64_e32 v[12:13], -1, v[12:13]
; %bb.9824:                             ;   in Loop: Header=BB6_7947 Depth=3
	s_or_b32 exec_lo, exec_lo, s75
	v_add_nc_u32_e32 v9, 0xffffff81, v67
	v_lshrrev_b32_e32 v13, 23, v8
	s_mov_b32 s13, exec_lo
	s_delay_alu instid0(VALU_DEP_2) | instskip(NEXT) | instid1(VALU_DEP_1)
	v_cndmask_b32_e64 v9, v9, 0xffffff82, vcc_lo
	v_add3_u32 v13, v0, v9, v13
	v_and_b32_e32 v0, 0xfffff, v12
	s_delay_alu instid0(VALU_DEP_2) | instskip(NEXT) | instid1(VALU_DEP_2)
	v_dual_mov_b32 v9, v3 :: v_dual_add_nc_u32 v12, 6, v13
	v_add_nc_u32_e32 v8, v0, v8
                                        ; implicit-def: $vgpr0
	s_delay_alu instid0(VALU_DEP_2)
	v_cmpx_ne_u32_e32 0, v12
	s_xor_b32 s13, exec_lo, s13
; %bb.9825:                             ;   in Loop: Header=BB6_7947 Depth=3
	s_delay_alu instid0(VALU_DEP_2) | instskip(SKIP_1) | instid1(VALU_DEP_1)
	v_cmp_lt_u64_e32 vcc_lo, 0xffffff, v[8:9]
	v_add_nc_u32_e32 v0, 7, v13
	v_cndmask_b32_e32 v0, v12, v0, vcc_lo
	v_cndmask_b32_e64 v12, 0, 1, vcc_lo
	s_delay_alu instid0(VALU_DEP_1)
	v_lshrrev_b64 v[8:9], v12, v[8:9]
; %bb.9826:                             ;   in Loop: Header=BB6_7947 Depth=3
	s_and_not1_saveexec_b32 s13, s13
; %bb.9827:                             ;   in Loop: Header=BB6_7947 Depth=3
	s_delay_alu instid0(VALU_DEP_1)
	v_bfe_u32 v0, v8, 23, 1
; %bb.9828:                             ;   in Loop: Header=BB6_7947 Depth=3
	s_or_b32 exec_lo, exec_lo, s13
	s_delay_alu instid0(VALU_DEP_2) | instskip(NEXT) | instid1(VALU_DEP_2)
	v_lshrrev_b64 v[8:9], 20, v[8:9]
	v_cmp_gt_i32_e32 vcc_lo, 16, v0
	v_min_i32_e32 v12, 15, v0
	v_cmp_eq_u32_e64 s13, 0, v0
	s_delay_alu instid0(VALU_DEP_2) | instskip(SKIP_1) | instid1(VALU_DEP_2)
	v_dual_cndmask_b32 v9, 0, v9 :: v_dual_lshlrev_b32 v12, 3, v12
	v_cndmask_b32_e32 v8, 7, v8, vcc_lo
	v_and_b32_e32 v12, 0xf8, v12
	s_delay_alu instid0(VALU_DEP_2) | instskip(NEXT) | instid1(VALU_DEP_2)
	v_cmp_eq_u64_e32 vcc_lo, 0, v[8:9]
	v_and_or_b32 v0, v8, 7, v12
	s_and_b32 s13, s13, vcc_lo
	s_delay_alu instid0(VALU_DEP_1) | instid1(SALU_CYCLE_1)
	v_cndmask_b32_e64 v0, v0, 0, s13
	s_delay_alu instid0(VALU_DEP_1)
	v_or_b32_e32 v43, v0, v66
.LBB6_9829:                             ;   in Loop: Header=BB6_7947 Depth=3
	s_or_b32 exec_lo, exec_lo, s74
                                        ; implicit-def: $vgpr66
.LBB6_9830:                             ;   in Loop: Header=BB6_7947 Depth=3
	s_and_not1_saveexec_b32 s13, s45
; %bb.9831:                             ;   in Loop: Header=BB6_7947 Depth=3
	v_or_b32_e32 v43, 0x7e, v66
; %bb.9832:                             ;   in Loop: Header=BB6_7947 Depth=3
	s_or_b32 exec_lo, exec_lo, s13
                                        ; implicit-def: $vgpr8
.LBB6_9833:                             ;   in Loop: Header=BB6_7947 Depth=3
	s_and_not1_saveexec_b32 s13, s44
; %bb.9834:                             ;   in Loop: Header=BB6_7947 Depth=3
	v_or_b32_e32 v43, 0x7f, v8
; %bb.9835:                             ;   in Loop: Header=BB6_7947 Depth=3
	s_or_b32 exec_lo, exec_lo, s13
	v_lshrrev_b16 v0, 8, v2
	v_dual_mov_b32 v12, 0 :: v_dual_mov_b32 v13, 0
	s_mov_b32 s13, exec_lo
	s_delay_alu instid0(VALU_DEP_2)
	v_cmpx_ne_u16_e32 0, v0
	s_cbranch_execz .LBB6_9843
; %bb.9836:                             ;   in Loop: Header=BB6_7947 Depth=3
	v_bfrev_b32_e32 v13, 1
	s_mov_b32 s44, exec_lo
	v_cmpx_ne_u16_e32 0x80, v0
	s_cbranch_execz .LBB6_9842
; %bb.9837:                             ;   in Loop: Header=BB6_7947 Depth=3
	v_and_b32_e32 v0, 0xffff, v0
	v_mov_b32_e32 v13, 0x7f800001
	s_mov_b32 s45, exec_lo
	s_delay_alu instid0(VALU_DEP_2) | instskip(NEXT) | instid1(VALU_DEP_1)
	v_and_b32_e32 v52, 0x7f, v0
	v_cmpx_ne_u32_e32 0x7f, v52
	s_cbranch_execz .LBB6_9841
; %bb.9838:                             ;   in Loop: Header=BB6_7947 Depth=3
	v_dual_mov_b32 v9, v3 :: v_dual_bitop2_b32 v8, 7, v0 bitop3:0x40
	v_lshrrev_b32_e32 v0, 3, v52
	s_mov_b32 s74, exec_lo
	v_cmpx_gt_u32_e32 8, v52
; %bb.9839:                             ;   in Loop: Header=BB6_7947 Depth=3
	s_delay_alu instid0(VALU_DEP_3) | instskip(NEXT) | instid1(VALU_DEP_1)
	v_clz_i32_u32_e32 v0, v8
	v_min_u32_e32 v0, 32, v0
	s_delay_alu instid0(VALU_DEP_1) | instskip(SKIP_1) | instid1(VALU_DEP_2)
	v_subrev_nc_u32_e32 v13, 28, v0
	v_sub_nc_u32_e32 v0, 29, v0
	v_lshlrev_b64_e32 v[8:9], v13, v[8:9]
	s_delay_alu instid0(VALU_DEP_1)
	v_and_b32_e32 v8, 7, v8
; %bb.9840:                             ;   in Loop: Header=BB6_7947 Depth=3
	s_or_b32 exec_lo, exec_lo, s74
	s_delay_alu instid0(VALU_DEP_1) | instskip(SKIP_1) | instid1(VALU_DEP_2)
	v_dual_lshlrev_b32 v2, 16, v2 :: v_dual_lshlrev_b32 v8, 20, v8
	v_lshl_add_u32 v0, v0, 23, 0x3c000000
	v_and_b32_e32 v2, 0x80000000, v2
	s_delay_alu instid0(VALU_DEP_1)
	v_or3_b32 v13, v8, v2, v0
.LBB6_9841:                             ;   in Loop: Header=BB6_7947 Depth=3
	s_or_b32 exec_lo, exec_lo, s45
.LBB6_9842:                             ;   in Loop: Header=BB6_7947 Depth=3
	s_delay_alu instid0(SALU_CYCLE_1)
	s_or_b32 exec_lo, exec_lo, s44
.LBB6_9843:                             ;   in Loop: Header=BB6_7947 Depth=3
	s_delay_alu instid0(SALU_CYCLE_1) | instskip(SKIP_2) | instid1(VALU_DEP_1)
	s_or_b32 exec_lo, exec_lo, s13
	v_lshrrev_b16 v0, 8, v11
	s_mov_b32 s13, exec_lo
	v_cmpx_ne_u16_e32 0, v0
	s_cbranch_execz .LBB6_9851
; %bb.9844:                             ;   in Loop: Header=BB6_7947 Depth=3
	v_bfrev_b32_e32 v12, 1
	s_mov_b32 s44, exec_lo
	v_cmpx_ne_u16_e32 0x80, v0
	s_cbranch_execz .LBB6_9850
; %bb.9845:                             ;   in Loop: Header=BB6_7947 Depth=3
	v_and_b32_e32 v0, 0xffff, v0
	v_mov_b32_e32 v12, 0x7f800001
	s_mov_b32 s45, exec_lo
	s_delay_alu instid0(VALU_DEP_2) | instskip(NEXT) | instid1(VALU_DEP_1)
	v_and_b32_e32 v8, 0x7f, v0
	v_cmpx_ne_u32_e32 0x7f, v8
	s_cbranch_execz .LBB6_9849
; %bb.9846:                             ;   in Loop: Header=BB6_7947 Depth=3
	v_and_b32_e32 v2, 7, v0
	v_lshrrev_b32_e32 v0, 3, v8
	v_cmp_gt_u32_e32 vcc_lo, 8, v8
	s_delay_alu instid0(VALU_DEP_3)
	v_mov_b64_e32 v[8:9], v[2:3]
	s_and_saveexec_b32 s74, vcc_lo
; %bb.9847:                             ;   in Loop: Header=BB6_7947 Depth=3
	v_clz_i32_u32_e32 v0, v2
	s_delay_alu instid0(VALU_DEP_1) | instskip(NEXT) | instid1(VALU_DEP_1)
	v_min_u32_e32 v0, 32, v0
	v_subrev_nc_u32_e32 v8, 28, v0
	v_sub_nc_u32_e32 v0, 29, v0
	s_delay_alu instid0(VALU_DEP_2) | instskip(NEXT) | instid1(VALU_DEP_1)
	v_lshlrev_b64_e32 v[8:9], v8, v[2:3]
	v_and_b32_e32 v8, 7, v8
; %bb.9848:                             ;   in Loop: Header=BB6_7947 Depth=3
	s_or_b32 exec_lo, exec_lo, s74
	s_delay_alu instid0(VALU_DEP_1) | instskip(SKIP_1) | instid1(VALU_DEP_2)
	v_dual_lshlrev_b32 v2, 16, v11 :: v_dual_lshlrev_b32 v8, 20, v8
	v_lshl_add_u32 v0, v0, 23, 0x3c000000
	v_and_b32_e32 v2, 0x80000000, v2
	s_delay_alu instid0(VALU_DEP_1)
	v_or3_b32 v12, v8, v2, v0
.LBB6_9849:                             ;   in Loop: Header=BB6_7947 Depth=3
	s_or_b32 exec_lo, exec_lo, s45
.LBB6_9850:                             ;   in Loop: Header=BB6_7947 Depth=3
	s_delay_alu instid0(SALU_CYCLE_1)
	s_or_b32 exec_lo, exec_lo, s44
.LBB6_9851:                             ;   in Loop: Header=BB6_7947 Depth=3
	s_delay_alu instid0(SALU_CYCLE_1) | instskip(NEXT) | instid1(VALU_DEP_1)
	s_or_b32 exec_lo, exec_lo, s13
	v_add_f32_e32 v0, v13, v12
                                        ; implicit-def: $vgpr66
	s_mov_b32 s13, exec_lo
	s_delay_alu instid0(VALU_DEP_1) | instskip(SKIP_1) | instid1(VALU_DEP_2)
	v_and_b32_e32 v2, 0x7f800000, v0
	v_lshrrev_b32_e32 v8, 24, v0
	v_cmpx_ne_u64_e32 0x7f800000, v[2:3]
	s_xor_b32 s44, exec_lo, s13
	s_cbranch_execz .LBB6_9865
; %bb.9852:                             ;   in Loop: Header=BB6_7947 Depth=3
	v_and_b32_e32 v2, 0x7fffffff, v0
	v_and_b32_e32 v67, 0x80, v8
                                        ; implicit-def: $vgpr66
	s_mov_b32 s13, exec_lo
	s_delay_alu instid0(VALU_DEP_2)
	v_cmpx_gt_u64_e32 0x43e00001, v[2:3]
	s_xor_b32 s45, exec_lo, s13
	s_cbranch_execz .LBB6_9862
; %bb.9853:                             ;   in Loop: Header=BB6_7947 Depth=3
	v_mov_b32_e32 v66, 0
	s_mov_b32 s74, exec_lo
	v_cmpx_ne_u32_e32 0, v0
	s_cbranch_execz .LBB6_9861
; %bb.9854:                             ;   in Loop: Header=BB6_7947 Depth=3
	v_bfe_u32 v66, v0, 23, 8
	v_and_b32_e32 v2, 0x7fffff, v0
	s_delay_alu instid0(VALU_DEP_2) | instskip(SKIP_2) | instid1(VALU_DEP_4)
	v_cmp_gt_u32_e64 s13, 0x7a, v66
	v_sub_nc_u32_e32 v0, 0x79, v66
	v_cmp_eq_u32_e32 vcc_lo, 0, v66
	v_or_b32_e32 v8, 0x800000, v2
	s_delay_alu instid0(VALU_DEP_1) | instskip(NEXT) | instid1(VALU_DEP_1)
	v_dual_cndmask_b32 v0, 0, v0, s13 :: v_dual_cndmask_b32 v2, v8, v2, vcc_lo
	v_cndmask_b32_e64 v0, v0, 0x78, vcc_lo
	s_delay_alu instid0(VALU_DEP_1) | instskip(NEXT) | instid1(VALU_DEP_1)
	v_dual_add_nc_u32 v8, 20, v0 :: v_dual_add_nc_u32 v12, 19, v0
	v_lshlrev_b64_e64 v[8:9], v8, -1
	s_delay_alu instid0(VALU_DEP_2) | instskip(NEXT) | instid1(VALU_DEP_2)
	v_lshlrev_b64_e64 v[12:13], v12, 1
	v_bfi_b32 v9, v9, 0, 0
	s_delay_alu instid0(VALU_DEP_3) | instskip(NEXT) | instid1(VALU_DEP_1)
	v_bfi_b32 v8, v8, 0, v2
	v_cmp_eq_u64_e64 s13, v[8:9], v[12:13]
	v_lshrrev_b64 v[8:9], v0, v[2:3]
	s_delay_alu instid0(VALU_DEP_1)
	v_mov_b64_e32 v[12:13], v[8:9]
	s_and_saveexec_b32 s75, s13
; %bb.9855:                             ;   in Loop: Header=BB6_7947 Depth=3
	v_bfe_u32 v2, v8, 20, 1
	s_delay_alu instid0(VALU_DEP_1) | instskip(NEXT) | instid1(VALU_DEP_1)
	v_add_nc_u64_e32 v[12:13], v[8:9], v[2:3]
	v_add_nc_u64_e32 v[12:13], -1, v[12:13]
; %bb.9856:                             ;   in Loop: Header=BB6_7947 Depth=3
	s_or_b32 exec_lo, exec_lo, s75
	v_add_nc_u32_e32 v2, 0xffffff81, v66
	v_lshrrev_b32_e32 v9, 23, v8
	s_mov_b32 s13, exec_lo
	s_delay_alu instid0(VALU_DEP_2) | instskip(NEXT) | instid1(VALU_DEP_1)
	v_cndmask_b32_e64 v2, v2, 0xffffff82, vcc_lo
	v_add3_u32 v13, v0, v2, v9
	v_and_b32_e32 v0, 0xfffff, v12
	s_delay_alu instid0(VALU_DEP_1) | instskip(NEXT) | instid1(VALU_DEP_1)
	v_dual_add_nc_u32 v12, 6, v13 :: v_dual_add_nc_u32 v2, v0, v8
                                        ; implicit-def: $vgpr8_vgpr9
                                        ; implicit-def: $vgpr0
	v_cmpx_ne_u32_e32 0, v12
	s_xor_b32 s13, exec_lo, s13
; %bb.9857:                             ;   in Loop: Header=BB6_7947 Depth=3
	s_delay_alu instid0(VALU_DEP_2) | instskip(SKIP_2) | instid1(VALU_DEP_2)
	v_cmp_lt_u64_e32 vcc_lo, 0xffffff, v[2:3]
	v_add_nc_u32_e32 v0, 7, v13
	v_cndmask_b32_e64 v8, 0, 1, vcc_lo
	v_cndmask_b32_e32 v0, v12, v0, vcc_lo
	s_delay_alu instid0(VALU_DEP_2)
	v_lshrrev_b64 v[8:9], v8, v[2:3]
; %bb.9858:                             ;   in Loop: Header=BB6_7947 Depth=3
	s_and_not1_saveexec_b32 s13, s13
; %bb.9859:                             ;   in Loop: Header=BB6_7947 Depth=3
	v_mov_b64_e32 v[8:9], v[2:3]
	v_bfe_u32 v0, v2, 23, 1
; %bb.9860:                             ;   in Loop: Header=BB6_7947 Depth=3
	s_or_b32 exec_lo, exec_lo, s13
	s_delay_alu instid0(VALU_DEP_2) | instskip(NEXT) | instid1(VALU_DEP_2)
	v_lshrrev_b64 v[8:9], 20, v[8:9]
	v_cmp_gt_i32_e32 vcc_lo, 16, v0
	v_min_i32_e32 v2, 15, v0
	v_cmp_eq_u32_e64 s13, 0, v0
	s_delay_alu instid0(VALU_DEP_2) | instskip(SKIP_1) | instid1(VALU_DEP_2)
	v_dual_cndmask_b32 v9, 0, v9 :: v_dual_lshlrev_b32 v2, 3, v2
	v_cndmask_b32_e32 v8, 7, v8, vcc_lo
	v_and_b32_e32 v2, 0xf8, v2
	s_delay_alu instid0(VALU_DEP_2) | instskip(NEXT) | instid1(VALU_DEP_2)
	v_cmp_eq_u64_e32 vcc_lo, 0, v[8:9]
	v_and_or_b32 v0, v8, 7, v2
	s_and_b32 s13, s13, vcc_lo
	s_delay_alu instid0(VALU_DEP_1) | instid1(SALU_CYCLE_1)
	v_cndmask_b32_e64 v0, v0, 0, s13
	s_delay_alu instid0(VALU_DEP_1)
	v_or_b32_e32 v66, v0, v67
.LBB6_9861:                             ;   in Loop: Header=BB6_7947 Depth=3
	s_or_b32 exec_lo, exec_lo, s74
                                        ; implicit-def: $vgpr67
.LBB6_9862:                             ;   in Loop: Header=BB6_7947 Depth=3
	s_and_not1_saveexec_b32 s13, s45
; %bb.9863:                             ;   in Loop: Header=BB6_7947 Depth=3
	v_or_b32_e32 v66, 0x7e, v67
; %bb.9864:                             ;   in Loop: Header=BB6_7947 Depth=3
	s_or_b32 exec_lo, exec_lo, s13
                                        ; implicit-def: $vgpr8
.LBB6_9865:                             ;   in Loop: Header=BB6_7947 Depth=3
	s_and_not1_saveexec_b32 s13, s44
; %bb.9866:                             ;   in Loop: Header=BB6_7947 Depth=3
	v_or_b32_e32 v66, 0x7f, v8
; %bb.9867:                             ;   in Loop: Header=BB6_7947 Depth=3
	s_or_b32 exec_lo, exec_lo, s13
	v_dual_lshrrev_b32 v0, 16, v15 :: v_dual_mov_b32 v12, 0
	v_mov_b32_e32 v13, 0
	s_mov_b32 s13, exec_lo
	s_delay_alu instid0(VALU_DEP_2) | instskip(NEXT) | instid1(VALU_DEP_1)
	v_and_b32_e32 v2, 0xff, v0
	v_cmpx_ne_u16_e32 0, v2
	s_cbranch_execz .LBB6_9875
; %bb.9868:                             ;   in Loop: Header=BB6_7947 Depth=3
	v_bfrev_b32_e32 v13, 1
	s_mov_b32 s44, exec_lo
	v_cmpx_ne_u16_e32 0x80, v2
	s_cbranch_execz .LBB6_9874
; %bb.9869:                             ;   in Loop: Header=BB6_7947 Depth=3
	v_bfe_u32 v8, v15, 16, 7
	v_mov_b32_e32 v13, 0x7f800001
	s_mov_b32 s45, exec_lo
	s_delay_alu instid0(VALU_DEP_2)
	v_cmpx_ne_u32_e32 0x7f, v8
	s_cbranch_execz .LBB6_9873
; %bb.9870:                             ;   in Loop: Header=BB6_7947 Depth=3
	v_and_b32_e32 v2, 7, v0
	v_lshrrev_b32_e32 v13, 3, v8
	v_cmp_gt_u32_e32 vcc_lo, 8, v8
	s_delay_alu instid0(VALU_DEP_3)
	v_mov_b64_e32 v[8:9], v[2:3]
	s_and_saveexec_b32 s74, vcc_lo
; %bb.9871:                             ;   in Loop: Header=BB6_7947 Depth=3
	v_clz_i32_u32_e32 v8, v2
	s_delay_alu instid0(VALU_DEP_1) | instskip(NEXT) | instid1(VALU_DEP_1)
	v_min_u32_e32 v13, 32, v8
	v_subrev_nc_u32_e32 v8, 28, v13
	s_delay_alu instid0(VALU_DEP_1) | instskip(NEXT) | instid1(VALU_DEP_1)
	v_lshlrev_b64_e32 v[8:9], v8, v[2:3]
	v_dual_sub_nc_u32 v13, 29, v13 :: v_dual_bitop2_b32 v8, 7, v8 bitop3:0x40
; %bb.9872:                             ;   in Loop: Header=BB6_7947 Depth=3
	s_or_b32 exec_lo, exec_lo, s74
	v_lshlrev_b32_e32 v0, 24, v0
	s_delay_alu instid0(VALU_DEP_2) | instskip(NEXT) | instid1(VALU_DEP_3)
	v_lshlrev_b32_e32 v2, 20, v8
	v_lshl_add_u32 v8, v13, 23, 0x3c000000
	s_delay_alu instid0(VALU_DEP_3) | instskip(NEXT) | instid1(VALU_DEP_1)
	v_and_b32_e32 v0, 0x80000000, v0
	v_or3_b32 v13, v2, v0, v8
.LBB6_9873:                             ;   in Loop: Header=BB6_7947 Depth=3
	s_or_b32 exec_lo, exec_lo, s45
.LBB6_9874:                             ;   in Loop: Header=BB6_7947 Depth=3
	s_delay_alu instid0(SALU_CYCLE_1)
	s_or_b32 exec_lo, exec_lo, s44
.LBB6_9875:                             ;   in Loop: Header=BB6_7947 Depth=3
	s_delay_alu instid0(SALU_CYCLE_1) | instskip(SKIP_2) | instid1(VALU_DEP_1)
	s_or_b32 exec_lo, exec_lo, s13
	v_lshrrev_b32_e32 v0, 16, v11
	s_mov_b32 s13, exec_lo
	v_and_b32_e32 v2, 0xff, v0
	s_delay_alu instid0(VALU_DEP_1)
	v_cmpx_ne_u16_e32 0, v2
	s_cbranch_execz .LBB6_9883
; %bb.9876:                             ;   in Loop: Header=BB6_7947 Depth=3
	v_bfrev_b32_e32 v12, 1
	s_mov_b32 s44, exec_lo
	v_cmpx_ne_u16_e32 0x80, v2
	s_cbranch_execz .LBB6_9882
; %bb.9877:                             ;   in Loop: Header=BB6_7947 Depth=3
	v_bfe_u32 v8, v11, 16, 7
	v_mov_b32_e32 v12, 0x7f800001
	s_mov_b32 s45, exec_lo
	s_delay_alu instid0(VALU_DEP_2)
	v_cmpx_ne_u32_e32 0x7f, v8
	s_cbranch_execz .LBB6_9881
; %bb.9878:                             ;   in Loop: Header=BB6_7947 Depth=3
	v_and_b32_e32 v2, 7, v0
	v_lshrrev_b32_e32 v0, 3, v8
	v_cmp_gt_u32_e32 vcc_lo, 8, v8
	s_delay_alu instid0(VALU_DEP_3)
	v_mov_b64_e32 v[8:9], v[2:3]
	s_and_saveexec_b32 s74, vcc_lo
; %bb.9879:                             ;   in Loop: Header=BB6_7947 Depth=3
	v_clz_i32_u32_e32 v0, v2
	s_delay_alu instid0(VALU_DEP_1) | instskip(NEXT) | instid1(VALU_DEP_1)
	v_min_u32_e32 v0, 32, v0
	v_subrev_nc_u32_e32 v8, 28, v0
	v_sub_nc_u32_e32 v0, 29, v0
	s_delay_alu instid0(VALU_DEP_2) | instskip(NEXT) | instid1(VALU_DEP_1)
	v_lshlrev_b64_e32 v[8:9], v8, v[2:3]
	v_and_b32_e32 v8, 7, v8
; %bb.9880:                             ;   in Loop: Header=BB6_7947 Depth=3
	s_or_b32 exec_lo, exec_lo, s74
	s_delay_alu instid0(VALU_DEP_1) | instskip(SKIP_1) | instid1(VALU_DEP_2)
	v_dual_lshlrev_b32 v2, 8, v11 :: v_dual_lshlrev_b32 v8, 20, v8
	v_lshl_add_u32 v0, v0, 23, 0x3c000000
	v_and_b32_e32 v2, 0x80000000, v2
	s_delay_alu instid0(VALU_DEP_1)
	v_or3_b32 v12, v8, v2, v0
.LBB6_9881:                             ;   in Loop: Header=BB6_7947 Depth=3
	s_or_b32 exec_lo, exec_lo, s45
.LBB6_9882:                             ;   in Loop: Header=BB6_7947 Depth=3
	s_delay_alu instid0(SALU_CYCLE_1)
	s_or_b32 exec_lo, exec_lo, s44
.LBB6_9883:                             ;   in Loop: Header=BB6_7947 Depth=3
	s_delay_alu instid0(SALU_CYCLE_1) | instskip(NEXT) | instid1(VALU_DEP_1)
	s_or_b32 exec_lo, exec_lo, s13
	v_add_f32_e32 v0, v13, v12
                                        ; implicit-def: $vgpr12
	s_mov_b32 s13, exec_lo
	s_delay_alu instid0(VALU_DEP_1) | instskip(SKIP_1) | instid1(VALU_DEP_2)
	v_and_b32_e32 v2, 0x7f800000, v0
	v_lshrrev_b32_e32 v8, 24, v0
	v_cmpx_ne_u64_e32 0x7f800000, v[2:3]
	s_xor_b32 s44, exec_lo, s13
	s_cbranch_execz .LBB6_9897
; %bb.9884:                             ;   in Loop: Header=BB6_7947 Depth=3
	v_and_b32_e32 v2, 0x7fffffff, v0
	v_and_b32_e32 v67, 0x80, v8
                                        ; implicit-def: $vgpr12
	s_mov_b32 s13, exec_lo
	s_delay_alu instid0(VALU_DEP_2)
	v_cmpx_gt_u64_e32 0x43e00001, v[2:3]
	s_xor_b32 s45, exec_lo, s13
	s_cbranch_execz .LBB6_9894
; %bb.9885:                             ;   in Loop: Header=BB6_7947 Depth=3
	v_mov_b32_e32 v12, 0
	s_mov_b32 s74, exec_lo
	v_cmpx_ne_u32_e32 0, v0
	s_cbranch_execz .LBB6_9893
; %bb.9886:                             ;   in Loop: Header=BB6_7947 Depth=3
	v_bfe_u32 v121, v0, 23, 8
	v_and_b32_e32 v2, 0x7fffff, v0
	s_delay_alu instid0(VALU_DEP_2) | instskip(SKIP_2) | instid1(VALU_DEP_4)
	v_cmp_gt_u32_e64 s13, 0x7a, v121
	v_sub_nc_u32_e32 v0, 0x79, v121
	v_cmp_eq_u32_e32 vcc_lo, 0, v121
	v_or_b32_e32 v8, 0x800000, v2
	s_delay_alu instid0(VALU_DEP_1) | instskip(NEXT) | instid1(VALU_DEP_1)
	v_dual_cndmask_b32 v0, 0, v0, s13 :: v_dual_cndmask_b32 v2, v8, v2, vcc_lo
	v_cndmask_b32_e64 v0, v0, 0x78, vcc_lo
	s_delay_alu instid0(VALU_DEP_1) | instskip(NEXT) | instid1(VALU_DEP_1)
	v_dual_add_nc_u32 v8, 20, v0 :: v_dual_add_nc_u32 v12, 19, v0
	v_lshlrev_b64_e64 v[8:9], v8, -1
	s_delay_alu instid0(VALU_DEP_2) | instskip(NEXT) | instid1(VALU_DEP_2)
	v_lshlrev_b64_e64 v[12:13], v12, 1
	v_bfi_b32 v9, v9, 0, 0
	s_delay_alu instid0(VALU_DEP_3) | instskip(NEXT) | instid1(VALU_DEP_1)
	v_bfi_b32 v8, v8, 0, v2
	v_cmp_eq_u64_e64 s13, v[8:9], v[12:13]
	v_lshrrev_b64 v[8:9], v0, v[2:3]
	s_delay_alu instid0(VALU_DEP_1)
	v_mov_b64_e32 v[12:13], v[8:9]
	s_and_saveexec_b32 s75, s13
; %bb.9887:                             ;   in Loop: Header=BB6_7947 Depth=3
	v_bfe_u32 v2, v8, 20, 1
	s_delay_alu instid0(VALU_DEP_1) | instskip(NEXT) | instid1(VALU_DEP_1)
	v_add_nc_u64_e32 v[12:13], v[8:9], v[2:3]
	v_add_nc_u64_e32 v[12:13], -1, v[12:13]
; %bb.9888:                             ;   in Loop: Header=BB6_7947 Depth=3
	s_or_b32 exec_lo, exec_lo, s75
	v_add_nc_u32_e32 v2, 0xffffff81, v121
	v_lshrrev_b32_e32 v9, 23, v8
	s_mov_b32 s13, exec_lo
	s_delay_alu instid0(VALU_DEP_2) | instskip(NEXT) | instid1(VALU_DEP_1)
	v_cndmask_b32_e64 v2, v2, 0xffffff82, vcc_lo
	v_add3_u32 v13, v0, v2, v9
	v_and_b32_e32 v0, 0xfffff, v12
	s_delay_alu instid0(VALU_DEP_1) | instskip(NEXT) | instid1(VALU_DEP_1)
	v_dual_add_nc_u32 v12, 6, v13 :: v_dual_add_nc_u32 v2, v0, v8
                                        ; implicit-def: $vgpr8_vgpr9
                                        ; implicit-def: $vgpr0
	v_cmpx_ne_u32_e32 0, v12
	s_xor_b32 s13, exec_lo, s13
; %bb.9889:                             ;   in Loop: Header=BB6_7947 Depth=3
	s_delay_alu instid0(VALU_DEP_2) | instskip(SKIP_2) | instid1(VALU_DEP_2)
	v_cmp_lt_u64_e32 vcc_lo, 0xffffff, v[2:3]
	v_add_nc_u32_e32 v0, 7, v13
	v_cndmask_b32_e64 v8, 0, 1, vcc_lo
	v_cndmask_b32_e32 v0, v12, v0, vcc_lo
	s_delay_alu instid0(VALU_DEP_2)
	v_lshrrev_b64 v[8:9], v8, v[2:3]
; %bb.9890:                             ;   in Loop: Header=BB6_7947 Depth=3
	s_and_not1_saveexec_b32 s13, s13
; %bb.9891:                             ;   in Loop: Header=BB6_7947 Depth=3
	v_mov_b64_e32 v[8:9], v[2:3]
	v_bfe_u32 v0, v2, 23, 1
; %bb.9892:                             ;   in Loop: Header=BB6_7947 Depth=3
	s_or_b32 exec_lo, exec_lo, s13
	s_delay_alu instid0(VALU_DEP_2) | instskip(NEXT) | instid1(VALU_DEP_2)
	v_lshrrev_b64 v[8:9], 20, v[8:9]
	v_cmp_gt_i32_e32 vcc_lo, 16, v0
	v_min_i32_e32 v2, 15, v0
	v_cmp_eq_u32_e64 s13, 0, v0
	s_delay_alu instid0(VALU_DEP_2) | instskip(SKIP_1) | instid1(VALU_DEP_2)
	v_dual_cndmask_b32 v9, 0, v9 :: v_dual_lshlrev_b32 v2, 3, v2
	v_cndmask_b32_e32 v8, 7, v8, vcc_lo
	v_and_b32_e32 v2, 0xf8, v2
	s_delay_alu instid0(VALU_DEP_2) | instskip(NEXT) | instid1(VALU_DEP_2)
	v_cmp_eq_u64_e32 vcc_lo, 0, v[8:9]
	v_and_or_b32 v0, v8, 7, v2
	s_and_b32 s13, s13, vcc_lo
	s_delay_alu instid0(VALU_DEP_1) | instid1(SALU_CYCLE_1)
	v_cndmask_b32_e64 v0, v0, 0, s13
	s_delay_alu instid0(VALU_DEP_1)
	v_or_b32_e32 v12, v0, v67
.LBB6_9893:                             ;   in Loop: Header=BB6_7947 Depth=3
	s_or_b32 exec_lo, exec_lo, s74
                                        ; implicit-def: $vgpr67
.LBB6_9894:                             ;   in Loop: Header=BB6_7947 Depth=3
	s_and_not1_saveexec_b32 s13, s45
; %bb.9895:                             ;   in Loop: Header=BB6_7947 Depth=3
	v_or_b32_e32 v12, 0x7e, v67
; %bb.9896:                             ;   in Loop: Header=BB6_7947 Depth=3
	s_or_b32 exec_lo, exec_lo, s13
                                        ; implicit-def: $vgpr8
.LBB6_9897:                             ;   in Loop: Header=BB6_7947 Depth=3
	s_and_not1_saveexec_b32 s13, s44
; %bb.9898:                             ;   in Loop: Header=BB6_7947 Depth=3
	v_or_b32_e32 v12, 0x7f, v8
; %bb.9899:                             ;   in Loop: Header=BB6_7947 Depth=3
	s_or_b32 exec_lo, exec_lo, s13
	v_cmp_lt_u64_e32 vcc_lo, s[22:23], v[14:15]
	v_dual_mov_b32 v13, 0 :: v_dual_mov_b32 v14, 0
	s_and_saveexec_b32 s13, vcc_lo
	s_cbranch_execz .LBB6_9907
; %bb.9900:                             ;   in Loop: Header=BB6_7947 Depth=3
	v_lshrrev_b32_e32 v0, 24, v15
	v_bfrev_b32_e32 v14, 1
	s_mov_b32 s44, exec_lo
	s_delay_alu instid0(VALU_DEP_2)
	v_cmpx_ne_u32_e32 0x80, v0
	s_cbranch_execz .LBB6_9906
; %bb.9901:                             ;   in Loop: Header=BB6_7947 Depth=3
	v_bfe_u32 v8, v15, 24, 7
	v_mov_b32_e32 v14, 0x7f800001
	s_mov_b32 s45, exec_lo
	s_delay_alu instid0(VALU_DEP_2)
	v_cmpx_ne_u32_e32 0x7f, v8
	s_cbranch_execz .LBB6_9905
; %bb.9902:                             ;   in Loop: Header=BB6_7947 Depth=3
	v_and_b32_e32 v2, 7, v0
	v_lshrrev_b32_e32 v14, 3, v8
	v_cmp_gt_u32_e32 vcc_lo, 8, v8
	s_delay_alu instid0(VALU_DEP_3)
	v_mov_b64_e32 v[8:9], v[2:3]
	s_and_saveexec_b32 s74, vcc_lo
; %bb.9903:                             ;   in Loop: Header=BB6_7947 Depth=3
	v_clz_i32_u32_e32 v8, v2
	s_delay_alu instid0(VALU_DEP_1) | instskip(NEXT) | instid1(VALU_DEP_1)
	v_min_u32_e32 v14, 32, v8
	v_subrev_nc_u32_e32 v8, 28, v14
	s_delay_alu instid0(VALU_DEP_1) | instskip(NEXT) | instid1(VALU_DEP_1)
	v_lshlrev_b64_e32 v[8:9], v8, v[2:3]
	v_dual_sub_nc_u32 v14, 29, v14 :: v_dual_bitop2_b32 v8, 7, v8 bitop3:0x40
; %bb.9904:                             ;   in Loop: Header=BB6_7947 Depth=3
	s_or_b32 exec_lo, exec_lo, s74
	v_lshlrev_b32_e32 v0, 24, v0
	s_delay_alu instid0(VALU_DEP_2) | instskip(NEXT) | instid1(VALU_DEP_3)
	v_lshlrev_b32_e32 v2, 20, v8
	v_lshl_add_u32 v8, v14, 23, 0x3c000000
	s_delay_alu instid0(VALU_DEP_3) | instskip(NEXT) | instid1(VALU_DEP_1)
	v_and_b32_e32 v0, 0x80000000, v0
	v_or3_b32 v14, v2, v0, v8
.LBB6_9905:                             ;   in Loop: Header=BB6_7947 Depth=3
	s_or_b32 exec_lo, exec_lo, s45
.LBB6_9906:                             ;   in Loop: Header=BB6_7947 Depth=3
	s_delay_alu instid0(SALU_CYCLE_1)
	s_or_b32 exec_lo, exec_lo, s44
.LBB6_9907:                             ;   in Loop: Header=BB6_7947 Depth=3
	s_delay_alu instid0(SALU_CYCLE_1) | instskip(NEXT) | instid1(SALU_CYCLE_1)
	s_or_b32 exec_lo, exec_lo, s13
	s_mov_b32 s13, exec_lo
	v_cmpx_lt_u64_e64 s[22:23], v[10:11]
	s_cbranch_execz .LBB6_9915
; %bb.9908:                             ;   in Loop: Header=BB6_7947 Depth=3
	v_lshrrev_b32_e32 v0, 24, v11
	v_bfrev_b32_e32 v13, 1
	s_mov_b32 s44, exec_lo
	s_delay_alu instid0(VALU_DEP_2)
	v_cmpx_ne_u32_e32 0x80, v0
	s_cbranch_execz .LBB6_9914
; %bb.9909:                             ;   in Loop: Header=BB6_7947 Depth=3
	v_bfe_u32 v8, v11, 24, 7
	v_mov_b32_e32 v13, 0x7f800001
	s_mov_b32 s45, exec_lo
	s_delay_alu instid0(VALU_DEP_2)
	v_cmpx_ne_u32_e32 0x7f, v8
	s_cbranch_execz .LBB6_9913
; %bb.9910:                             ;   in Loop: Header=BB6_7947 Depth=3
	v_and_b32_e32 v2, 7, v0
	v_lshrrev_b32_e32 v10, 3, v8
	v_cmp_gt_u32_e32 vcc_lo, 8, v8
	s_delay_alu instid0(VALU_DEP_3)
	v_mov_b64_e32 v[8:9], v[2:3]
	s_and_saveexec_b32 s74, vcc_lo
; %bb.9911:                             ;   in Loop: Header=BB6_7947 Depth=3
	v_clz_i32_u32_e32 v8, v2
	s_delay_alu instid0(VALU_DEP_1) | instskip(NEXT) | instid1(VALU_DEP_1)
	v_min_u32_e32 v10, 32, v8
	v_subrev_nc_u32_e32 v8, 28, v10
	s_delay_alu instid0(VALU_DEP_1) | instskip(NEXT) | instid1(VALU_DEP_1)
	v_lshlrev_b64_e32 v[8:9], v8, v[2:3]
	v_dual_sub_nc_u32 v10, 29, v10 :: v_dual_bitop2_b32 v8, 7, v8 bitop3:0x40
; %bb.9912:                             ;   in Loop: Header=BB6_7947 Depth=3
	s_or_b32 exec_lo, exec_lo, s74
	v_lshlrev_b32_e32 v0, 24, v0
	s_delay_alu instid0(VALU_DEP_2) | instskip(NEXT) | instid1(VALU_DEP_3)
	v_lshlrev_b32_e32 v2, 20, v8
	v_lshl_add_u32 v8, v10, 23, 0x3c000000
	s_delay_alu instid0(VALU_DEP_3) | instskip(NEXT) | instid1(VALU_DEP_1)
	v_and_b32_e32 v0, 0x80000000, v0
	v_or3_b32 v13, v2, v0, v8
.LBB6_9913:                             ;   in Loop: Header=BB6_7947 Depth=3
	s_or_b32 exec_lo, exec_lo, s45
.LBB6_9914:                             ;   in Loop: Header=BB6_7947 Depth=3
	s_delay_alu instid0(SALU_CYCLE_1)
	s_or_b32 exec_lo, exec_lo, s44
.LBB6_9915:                             ;   in Loop: Header=BB6_7947 Depth=3
	s_delay_alu instid0(SALU_CYCLE_1) | instskip(NEXT) | instid1(VALU_DEP_1)
	s_or_b32 exec_lo, exec_lo, s13
	v_add_f32_e32 v0, v14, v13
	s_delay_alu instid0(VALU_DEP_1) | instskip(SKIP_1) | instid1(VALU_DEP_2)
	v_and_b32_e32 v2, 0x7f800000, v0
	v_lshrrev_b32_e32 v8, 24, v0
	v_cmp_ne_u64_e32 vcc_lo, 0x7f800000, v[2:3]
                                        ; implicit-def: $vgpr2
	s_and_saveexec_b32 s13, vcc_lo
	s_delay_alu instid0(SALU_CYCLE_1)
	s_xor_b32 s44, exec_lo, s13
	s_cbranch_execz .LBB6_9929
; %bb.9916:                             ;   in Loop: Header=BB6_7947 Depth=3
	v_and_b32_e32 v2, 0x7fffffff, v0
	v_and_b32_e32 v13, 0x80, v8
	s_delay_alu instid0(VALU_DEP_2) | instskip(SKIP_1) | instid1(SALU_CYCLE_1)
	v_cmp_gt_u64_e32 vcc_lo, 0x43e00001, v[2:3]
                                        ; implicit-def: $vgpr2
	s_and_saveexec_b32 s13, vcc_lo
	s_xor_b32 s45, exec_lo, s13
	s_cbranch_execz .LBB6_9926
; %bb.9917:                             ;   in Loop: Header=BB6_7947 Depth=3
	v_mov_b32_e32 v2, 0
	s_mov_b32 s74, exec_lo
	v_cmpx_ne_u32_e32 0, v0
	s_cbranch_execz .LBB6_9925
; %bb.9918:                             ;   in Loop: Header=BB6_7947 Depth=3
	v_bfe_u32 v14, v0, 23, 8
	v_and_b32_e32 v2, 0x7fffff, v0
	s_delay_alu instid0(VALU_DEP_2) | instskip(SKIP_2) | instid1(VALU_DEP_4)
	v_cmp_gt_u32_e64 s13, 0x7a, v14
	v_sub_nc_u32_e32 v0, 0x79, v14
	v_cmp_eq_u32_e32 vcc_lo, 0, v14
	v_or_b32_e32 v8, 0x800000, v2
	s_delay_alu instid0(VALU_DEP_1) | instskip(NEXT) | instid1(VALU_DEP_1)
	v_dual_cndmask_b32 v0, 0, v0, s13 :: v_dual_cndmask_b32 v2, v8, v2, vcc_lo
	v_cndmask_b32_e64 v0, v0, 0x78, vcc_lo
	s_delay_alu instid0(VALU_DEP_1) | instskip(NEXT) | instid1(VALU_DEP_1)
	v_dual_add_nc_u32 v8, 20, v0 :: v_dual_add_nc_u32 v10, 19, v0
	v_lshlrev_b64_e64 v[8:9], v8, -1
	s_delay_alu instid0(VALU_DEP_2) | instskip(NEXT) | instid1(VALU_DEP_2)
	v_lshlrev_b64_e64 v[10:11], v10, 1
	v_bfi_b32 v9, v9, 0, 0
	s_delay_alu instid0(VALU_DEP_3) | instskip(NEXT) | instid1(VALU_DEP_1)
	v_bfi_b32 v8, v8, 0, v2
	v_cmp_eq_u64_e64 s13, v[8:9], v[10:11]
	v_lshrrev_b64 v[8:9], v0, v[2:3]
	s_delay_alu instid0(VALU_DEP_1)
	v_mov_b64_e32 v[10:11], v[8:9]
	s_and_saveexec_b32 s75, s13
; %bb.9919:                             ;   in Loop: Header=BB6_7947 Depth=3
	v_bfe_u32 v2, v8, 20, 1
	s_delay_alu instid0(VALU_DEP_1) | instskip(NEXT) | instid1(VALU_DEP_1)
	v_add_nc_u64_e32 v[10:11], v[8:9], v[2:3]
	v_add_nc_u64_e32 v[10:11], -1, v[10:11]
; %bb.9920:                             ;   in Loop: Header=BB6_7947 Depth=3
	s_or_b32 exec_lo, exec_lo, s75
	v_add_nc_u32_e32 v2, 0xffffff81, v14
	v_lshrrev_b32_e32 v9, 23, v8
	s_mov_b32 s13, exec_lo
	s_delay_alu instid0(VALU_DEP_2) | instskip(NEXT) | instid1(VALU_DEP_1)
	v_cndmask_b32_e64 v2, v2, 0xffffff82, vcc_lo
	v_add3_u32 v11, v0, v2, v9
	v_and_b32_e32 v0, 0xfffff, v10
	s_delay_alu instid0(VALU_DEP_1) | instskip(NEXT) | instid1(VALU_DEP_1)
	v_dual_add_nc_u32 v10, 6, v11 :: v_dual_add_nc_u32 v2, v0, v8
                                        ; implicit-def: $vgpr8_vgpr9
                                        ; implicit-def: $vgpr0
	v_cmpx_ne_u32_e32 0, v10
	s_xor_b32 s13, exec_lo, s13
; %bb.9921:                             ;   in Loop: Header=BB6_7947 Depth=3
	s_delay_alu instid0(VALU_DEP_2) | instskip(SKIP_2) | instid1(VALU_DEP_2)
	v_cmp_lt_u64_e32 vcc_lo, 0xffffff, v[2:3]
	v_add_nc_u32_e32 v0, 7, v11
	v_cndmask_b32_e64 v8, 0, 1, vcc_lo
	v_cndmask_b32_e32 v0, v10, v0, vcc_lo
	s_delay_alu instid0(VALU_DEP_2)
	v_lshrrev_b64 v[8:9], v8, v[2:3]
; %bb.9922:                             ;   in Loop: Header=BB6_7947 Depth=3
	s_and_not1_saveexec_b32 s13, s13
; %bb.9923:                             ;   in Loop: Header=BB6_7947 Depth=3
	v_mov_b64_e32 v[8:9], v[2:3]
	v_bfe_u32 v0, v2, 23, 1
; %bb.9924:                             ;   in Loop: Header=BB6_7947 Depth=3
	s_or_b32 exec_lo, exec_lo, s13
	s_delay_alu instid0(VALU_DEP_2) | instskip(NEXT) | instid1(VALU_DEP_2)
	v_lshrrev_b64 v[8:9], 20, v[8:9]
	v_cmp_gt_i32_e32 vcc_lo, 16, v0
	v_min_i32_e32 v2, 15, v0
	v_cmp_eq_u32_e64 s13, 0, v0
	s_delay_alu instid0(VALU_DEP_2) | instskip(SKIP_1) | instid1(VALU_DEP_2)
	v_dual_cndmask_b32 v9, 0, v9 :: v_dual_lshlrev_b32 v2, 3, v2
	v_cndmask_b32_e32 v8, 7, v8, vcc_lo
	v_and_b32_e32 v2, 0xf8, v2
	s_delay_alu instid0(VALU_DEP_2) | instskip(NEXT) | instid1(VALU_DEP_2)
	v_cmp_eq_u64_e32 vcc_lo, 0, v[8:9]
	v_and_or_b32 v0, v8, 7, v2
	s_and_b32 s13, s13, vcc_lo
	s_delay_alu instid0(VALU_DEP_1) | instid1(SALU_CYCLE_1)
	v_cndmask_b32_e64 v0, v0, 0, s13
	s_delay_alu instid0(VALU_DEP_1)
	v_or_b32_e32 v2, v0, v13
.LBB6_9925:                             ;   in Loop: Header=BB6_7947 Depth=3
	s_or_b32 exec_lo, exec_lo, s74
                                        ; implicit-def: $vgpr13
.LBB6_9926:                             ;   in Loop: Header=BB6_7947 Depth=3
	s_and_not1_saveexec_b32 s13, s45
; %bb.9927:                             ;   in Loop: Header=BB6_7947 Depth=3
	v_or_b32_e32 v2, 0x7e, v13
; %bb.9928:                             ;   in Loop: Header=BB6_7947 Depth=3
	s_or_b32 exec_lo, exec_lo, s13
                                        ; implicit-def: $vgpr8
.LBB6_9929:                             ;   in Loop: Header=BB6_7947 Depth=3
	s_and_not1_saveexec_b32 s13, s44
	s_cbranch_execz .LBB6_7946
; %bb.9930:                             ;   in Loop: Header=BB6_7947 Depth=3
	v_or_b32_e32 v2, 0x7f, v8
	s_branch .LBB6_7946
.LBB6_9931:                             ;   in Loop: Header=BB6_4163 Depth=2
	s_or_b32 exec_lo, exec_lo, s15
	s_clause 0x1
	scratch_load_b32 v42, off, s33 offset:212
	scratch_load_b32 v95, off, s33 offset:216
	v_dual_mov_b32 v43, 1 :: v_dual_mov_b32 v94, 0x90
.LBB6_9932:                             ;   in Loop: Header=BB6_4163 Depth=2
	s_wait_xcnt 0x0
	s_or_b32 exec_lo, exec_lo, s14
	v_dual_mov_b32 v1, 0 :: v_dual_lshlrev_b32 v28, 11, v54
	s_mov_b32 s13, 0
	s_mov_b32 s44, exec_lo
                                        ; implicit-def: $vgpr4
                                        ; implicit-def: $vgpr5
                                        ; implicit-def: $vgpr2
	s_delay_alu instid0(VALU_DEP_1)
	v_cmpx_ne_u32_e64 v75, v28
	s_cbranch_execz .LBB6_10436
; %bb.9933:                             ;   in Loop: Header=BB6_4163 Depth=2
	scratch_load_b32 v1, off, s33 offset:220 ; 4-byte Folded Reload
	v_dual_lshlrev_b32 v0, 5, v77 :: v_dual_sub_nc_u32 v2, v75, v28
	s_mov_b32 s45, exec_lo
	s_delay_alu instid0(VALU_DEP_1) | instskip(NEXT) | instid1(VALU_DEP_1)
	v_ashrrev_i32_e32 v4, 31, v2
	v_lshrrev_b32_e32 v4, 23, v4
	s_wait_loadcnt 0x0
	v_sub_nc_u32_e32 v0, v1, v0
	s_delay_alu instid0(VALU_DEP_1) | instskip(NEXT) | instid1(VALU_DEP_1)
	v_ashrrev_i32_e32 v1, 31, v0
	v_lshrrev_b32_e32 v1, 27, v1
	s_delay_alu instid0(VALU_DEP_1) | instskip(NEXT) | instid1(VALU_DEP_1)
	v_add_nc_u32_e32 v1, v0, v1
	v_and_b32_e32 v5, 0xffffffe0, v1
	s_delay_alu instid0(VALU_DEP_1) | instskip(NEXT) | instid1(VALU_DEP_1)
	v_dual_add_nc_u32 v4, v2, v4 :: v_dual_sub_nc_u32 v31, v0, v5
	v_and_b32_e32 v29, 0xfffffe00, v4
	v_dual_ashrrev_i32 v5, 5, v1 :: v_dual_ashrrev_i32 v1, 9, v4
	s_delay_alu instid0(VALU_DEP_2) | instskip(NEXT) | instid1(VALU_DEP_1)
	v_dual_lshlrev_b32 v0, 4, v31 :: v_dual_sub_nc_u32 v32, v2, v29
	v_lshl_add_u32 v0, v5, 9, v0
	s_delay_alu instid0(VALU_DEP_2) | instskip(NEXT) | instid1(VALU_DEP_4)
	v_cmp_lt_i32_e32 vcc_lo, 15, v32
	v_add_co_ci_u32_e64 v4, null, 0, v1, vcc_lo
	s_delay_alu instid0(VALU_DEP_1) | instskip(SKIP_1) | instid1(VALU_DEP_1)
	v_dual_sub_nc_u32 v1, v2, v0 :: v_dual_sub_nc_u32 v33, v4, v5
	s_wait_xcnt 0x0
	v_cmpx_lt_i32_e32 15, v1
	s_cbranch_execz .LBB6_10433
; %bb.9934:                             ;   in Loop: Header=BB6_4163 Depth=2
	s_trap 2
	ds_load_b64 v[4:5], v0
	v_add_nc_u32_e32 v8, v0, v28
	scratch_load_b64 v[10:11], off, s33 offset:248 ; 8-byte Folded Reload
	s_mov_b32 s74, 0
	v_ashrrev_i32_e32 v9, 31, v8
	s_wait_dscnt 0x0
	s_delay_alu instid0(VALU_DEP_1)
	v_add_nc_u64_e32 v[18:19], v[4:5], v[8:9]
	scratch_load_b64 v[4:5], off, s33 offset:256 ; 8-byte Folded Reload
	s_wait_loadcnt 0x1
	v_add_nc_u64_e32 v[16:17], v[8:9], v[10:11]
	s_wait_loadcnt 0x0
	v_add_nc_u64_e32 v[20:21], v[8:9], v[4:5]
	s_branch .LBB6_9936
.LBB6_9935:                             ;   in Loop: Header=BB6_9936 Depth=3
	s_or_b32 exec_lo, exec_lo, s13
	v_lshl_or_b32 v2, v27, 8, v26
	v_dual_lshlrev_b32 v8, 16, v24 :: v_dual_lshlrev_b32 v9, 24, v25
	v_lshl_or_b32 v4, v5, 8, v4
	v_dual_lshlrev_b32 v5, 16, v34 :: v_dual_lshlrev_b32 v10, 24, v35
	;; [unrolled: 2-line block ×3, first 2 shown]
	v_lshlrev_b32_e32 v0, 24, v0
	v_lshlrev_b32_e32 v12, 16, v12
	v_lshl_or_b32 v15, v23, 8, v22
	v_or3_b32 v9, v2, v8, v9
	v_or3_b32 v8, v4, v5, v10
	;; [unrolled: 1-line block ×3, first 2 shown]
	v_sub_nc_u32_e32 v1, v1, v112
	v_or3_b32 v11, v15, v12, v0
	v_add_nc_u64_e32 v[16:17], v[16:17], v[112:113]
	v_add_nc_u64_e32 v[18:19], v[18:19], v[112:113]
	v_sub_nc_u32_e32 v33, v33, v84
	v_cmp_gt_i32_e64 s13, 16, v1
	global_store_b128 v[20:21], v[8:11], off th:TH_STORE_NT
	s_wait_xcnt 0x0
	v_add_nc_u64_e32 v[20:21], v[20:21], v[112:113]
	s_or_b32 s74, s13, s74
	s_delay_alu instid0(SALU_CYCLE_1)
	s_and_not1_b32 exec_lo, exec_lo, s74
	s_cbranch_execz .LBB6_10432
.LBB6_9936:                             ;   Parent Loop BB6_47 Depth=1
                                        ;     Parent Loop BB6_4163 Depth=2
                                        ; =>    This Inner Loop Header: Depth=3
	global_load_b128 v[12:15], v[16:17], off th:TH_LOAD_NT
	global_load_b128 v[8:11], v[18:19], off th:TH_LOAD_NT
	v_mov_b32_e32 v2, 0
	s_mov_b32 s14, exec_lo
	s_wait_loadcnt 0x1
	v_and_b32_e32 v0, 0xff, v12
	s_wait_xcnt 0x0
	s_delay_alu instid0(VALU_DEP_1)
	v_cmpx_ne_u16_e32 0, v0
	s_cbranch_execz .LBB6_9942
; %bb.9937:                             ;   in Loop: Header=BB6_9936 Depth=3
	v_bfrev_b32_e32 v2, 1
	s_mov_b32 s15, exec_lo
	v_cmpx_ne_u16_e32 0x80, v0
	s_cbranch_execz .LBB6_9941
; %bb.9938:                             ;   in Loop: Header=BB6_9936 Depth=3
	v_and_b32_e32 v0, 0x7f, v12
	v_mov_b32_e32 v2, 0x7f800001
	s_mov_b32 s75, exec_lo
	s_delay_alu instid0(VALU_DEP_2)
	v_cmpx_ne_u32_e32 0x7f, v0
	s_cbranch_execz .LBB6_9940
; %bb.9939:                             ;   in Loop: Header=BB6_9936 Depth=3
	v_and_b32_e32 v2, 7, v12
	v_cmp_gt_u32_e64 s13, 8, v0
	s_delay_alu instid0(VALU_DEP_2) | instskip(NEXT) | instid1(VALU_DEP_1)
	v_clz_i32_u32_e32 v2, v2
	v_min_u32_e32 v2, 32, v2
	v_lshrrev_b32_e32 v4, 3, v0
	s_delay_alu instid0(VALU_DEP_2) | instskip(SKIP_1) | instid1(VALU_DEP_1)
	v_subrev_nc_u32_e32 v5, 28, v2
	v_sub_nc_u32_e32 v2, 29, v2
	v_dual_cndmask_b32 v0, v4, v2, s13 :: v_dual_cndmask_b32 v2, 0, v5, s13
	s_delay_alu instid0(VALU_DEP_1) | instskip(NEXT) | instid1(VALU_DEP_2)
	v_lshl_add_u32 v0, v0, 23, 0x3c000000
	v_lshlrev_b64_e32 v[4:5], v2, v[12:13]
	v_lshlrev_b32_e32 v2, 24, v12
	s_delay_alu instid0(VALU_DEP_1) | instskip(NEXT) | instid1(VALU_DEP_3)
	v_and_b32_e32 v2, 0x80000000, v2
	v_lshlrev_b32_e32 v4, 20, v4
	s_delay_alu instid0(VALU_DEP_1) | instskip(NEXT) | instid1(VALU_DEP_1)
	v_and_b32_e32 v4, 0x700000, v4
	v_or3_b32 v2, v4, v2, v0
.LBB6_9940:                             ;   in Loop: Header=BB6_9936 Depth=3
	s_or_b32 exec_lo, exec_lo, s75
.LBB6_9941:                             ;   in Loop: Header=BB6_9936 Depth=3
	s_delay_alu instid0(SALU_CYCLE_1)
	s_or_b32 exec_lo, exec_lo, s15
.LBB6_9942:                             ;   in Loop: Header=BB6_9936 Depth=3
	s_delay_alu instid0(SALU_CYCLE_1) | instskip(SKIP_4) | instid1(VALU_DEP_1)
	s_or_b32 exec_lo, exec_lo, s14
	s_wait_loadcnt 0x0
	v_and_b32_e32 v4, 0xff, v8
	s_mov_b32 s14, 0
	s_mov_b32 s15, exec_lo
	v_cmpx_lt_i16_e32 0x7f, v4
	s_xor_b32 s15, exec_lo, s15
	s_cbranch_execz .LBB6_9977
; %bb.9943:                             ;   in Loop: Header=BB6_9936 Depth=3
	s_mov_b32 s14, -1
	s_mov_b32 s75, exec_lo
	v_cmpx_eq_u16_e32 0x80, v4
; %bb.9944:                             ;   in Loop: Header=BB6_9936 Depth=3
	s_xor_b32 s14, exec_lo, -1
; %bb.9945:                             ;   in Loop: Header=BB6_9936 Depth=3
	s_or_b32 exec_lo, exec_lo, s75
	s_delay_alu instid0(SALU_CYCLE_1)
	s_and_b32 s14, s14, exec_lo
                                        ; implicit-def: $vgpr4
	s_or_saveexec_b32 s15, s15
	v_bfrev_b32_e32 v0, 1
	s_xor_b32 exec_lo, exec_lo, s15
	s_cbranch_execnz .LBB6_9978
.LBB6_9946:                             ;   in Loop: Header=BB6_9936 Depth=3
	s_or_b32 exec_lo, exec_lo, s15
	s_and_saveexec_b32 s15, s14
	s_cbranch_execz .LBB6_9948
.LBB6_9947:                             ;   in Loop: Header=BB6_9936 Depth=3
	v_and_b32_e32 v22, 0x7f, v8
	v_bfe_u32 v4, v8, 3, 4
	s_delay_alu instid0(VALU_DEP_2) | instskip(SKIP_1) | instid1(VALU_DEP_1)
	v_cmp_gt_u32_e64 s13, 8, v22
	v_and_b32_e32 v0, 7, v8
	v_clz_i32_u32_e32 v0, v0
	s_delay_alu instid0(VALU_DEP_1) | instskip(NEXT) | instid1(VALU_DEP_1)
	v_min_u32_e32 v0, 32, v0
	v_subrev_nc_u32_e32 v5, 28, v0
	v_sub_nc_u32_e32 v0, 29, v0
	s_delay_alu instid0(VALU_DEP_1) | instskip(SKIP_1) | instid1(VALU_DEP_2)
	v_dual_cndmask_b32 v0, v4, v0, s13 :: v_dual_cndmask_b32 v4, 0, v5, s13
	v_cmp_ne_u32_e64 s13, 0x7f, v22
	v_lshl_add_u32 v0, v0, 23, 0x3c000000
	s_delay_alu instid0(VALU_DEP_3) | instskip(SKIP_1) | instid1(VALU_DEP_1)
	v_lshlrev_b64_e32 v[4:5], v4, v[8:9]
	v_lshlrev_b32_e32 v5, 24, v8
	v_and_b32_e32 v5, 0x80000000, v5
	s_delay_alu instid0(VALU_DEP_3) | instskip(NEXT) | instid1(VALU_DEP_1)
	v_lshlrev_b32_e32 v4, 20, v4
	v_and_b32_e32 v4, 0x700000, v4
	s_delay_alu instid0(VALU_DEP_1) | instskip(NEXT) | instid1(VALU_DEP_1)
	v_or3_b32 v0, v4, v5, v0
	v_cndmask_b32_e64 v0, 0x7f800001, v0, s13
.LBB6_9948:                             ;   in Loop: Header=BB6_9936 Depth=3
	s_or_b32 exec_lo, exec_lo, s15
	s_delay_alu instid0(VALU_DEP_1) | instskip(SKIP_1) | instid1(VALU_DEP_1)
	v_add_f32_e32 v0, v2, v0
                                        ; implicit-def: $vgpr4
	s_mov_b32 s14, exec_lo
	v_and_b32_e32 v2, 0x7f800000, v0
	v_lshrrev_b32_e32 v5, 24, v0
	s_delay_alu instid0(VALU_DEP_2)
	v_cmpx_ne_u64_e32 0x7f800000, v[2:3]
	s_xor_b32 s15, exec_lo, s14
	s_cbranch_execz .LBB6_9962
; %bb.9949:                             ;   in Loop: Header=BB6_9936 Depth=3
	v_and_b32_e32 v2, 0x7fffffff, v0
	v_and_b32_e32 v5, 0x80, v5
                                        ; implicit-def: $vgpr4
	s_mov_b32 s14, exec_lo
	s_delay_alu instid0(VALU_DEP_2)
	v_cmpx_gt_u64_e32 0x43e00001, v[2:3]
	s_xor_b32 s75, exec_lo, s14
	s_cbranch_execz .LBB6_9959
; %bb.9950:                             ;   in Loop: Header=BB6_9936 Depth=3
	v_mov_b32_e32 v4, 0
	s_mov_b32 s76, exec_lo
	v_cmpx_ne_u32_e32 0, v0
	s_cbranch_execz .LBB6_9958
; %bb.9951:                             ;   in Loop: Header=BB6_9936 Depth=3
	v_bfe_u32 v4, v0, 23, 8
	v_and_b32_e32 v0, 0x7fffff, v0
	s_delay_alu instid0(VALU_DEP_2) | instskip(SKIP_1) | instid1(VALU_DEP_3)
	v_sub_nc_u32_e32 v2, 0x79, v4
	v_cmp_gt_u32_e64 s13, 0x7a, v4
	v_or_b32_e32 v24, 0x800000, v0
	s_delay_alu instid0(VALU_DEP_2) | instskip(SKIP_1) | instid1(VALU_DEP_1)
	v_cndmask_b32_e64 v2, 0, v2, s13
	v_cmp_eq_u32_e64 s13, 0, v4
	v_cndmask_b32_e64 v26, v2, 0x78, s13
	s_delay_alu instid0(VALU_DEP_1) | instskip(NEXT) | instid1(VALU_DEP_1)
	v_dual_add_nc_u32 v2, 20, v26 :: v_dual_add_nc_u32 v25, 19, v26
	v_lshlrev_b64_e64 v[22:23], v2, -1
	v_cndmask_b32_e64 v2, v24, v0, s13
	s_delay_alu instid0(VALU_DEP_3) | instskip(NEXT) | instid1(VALU_DEP_3)
	v_lshlrev_b64_e64 v[24:25], v25, 1
	v_bfi_b32 v35, v23, 0, 0
	s_delay_alu instid0(VALU_DEP_3) | instskip(SKIP_1) | instid1(VALU_DEP_2)
	v_bfi_b32 v34, v22, 0, v2
	v_lshrrev_b64 v[22:23], v26, v[2:3]
	v_cmp_eq_u64_e64 s14, v[34:35], v[24:25]
	s_delay_alu instid0(VALU_DEP_2)
	v_mov_b64_e32 v[24:25], v[22:23]
	s_and_saveexec_b32 s77, s14
; %bb.9952:                             ;   in Loop: Header=BB6_9936 Depth=3
	v_bfe_u32 v2, v22, 20, 1
	s_delay_alu instid0(VALU_DEP_1) | instskip(NEXT) | instid1(VALU_DEP_1)
	v_add_nc_u64_e32 v[24:25], v[22:23], v[2:3]
	v_add_nc_u64_e32 v[24:25], -1, v[24:25]
; %bb.9953:                             ;   in Loop: Header=BB6_9936 Depth=3
	s_or_b32 exec_lo, exec_lo, s77
	v_add_nc_u32_e32 v0, 0xffffff81, v4
	v_lshrrev_b32_e32 v2, 23, v22
	s_mov_b32 s14, exec_lo
	s_delay_alu instid0(VALU_DEP_2) | instskip(NEXT) | instid1(VALU_DEP_1)
	v_cndmask_b32_e64 v0, v0, 0xffffff82, s13
	v_add3_u32 v4, v26, v0, v2
	v_and_b32_e32 v0, 0xfffff, v24
	s_delay_alu instid0(VALU_DEP_1) | instskip(NEXT) | instid1(VALU_DEP_1)
	v_dual_add_nc_u32 v24, 6, v4 :: v_dual_add_nc_u32 v2, v0, v22
                                        ; implicit-def: $vgpr22_vgpr23
                                        ; implicit-def: $vgpr0
	v_cmpx_ne_u32_e32 0, v24
	s_xor_b32 s14, exec_lo, s14
; %bb.9954:                             ;   in Loop: Header=BB6_9936 Depth=3
	s_delay_alu instid0(VALU_DEP_2) | instskip(SKIP_1) | instid1(VALU_DEP_2)
	v_cmp_lt_u64_e64 s13, 0xffffff, v[2:3]
	v_add_nc_u32_e32 v0, 7, v4
	v_cndmask_b32_e64 v4, 0, 1, s13
	s_delay_alu instid0(VALU_DEP_2) | instskip(NEXT) | instid1(VALU_DEP_2)
	v_cndmask_b32_e64 v0, v24, v0, s13
	v_lshrrev_b64 v[22:23], v4, v[2:3]
; %bb.9955:                             ;   in Loop: Header=BB6_9936 Depth=3
	s_and_not1_saveexec_b32 s13, s14
; %bb.9956:                             ;   in Loop: Header=BB6_9936 Depth=3
	v_mov_b64_e32 v[22:23], v[2:3]
	v_bfe_u32 v0, v2, 23, 1
; %bb.9957:                             ;   in Loop: Header=BB6_9936 Depth=3
	s_or_b32 exec_lo, exec_lo, s13
	s_delay_alu instid0(VALU_DEP_2) | instskip(NEXT) | instid1(VALU_DEP_2)
	v_lshrrev_b64 v[22:23], 20, v[22:23]
	v_cmp_gt_i32_e64 s13, 16, v0
	v_min_i32_e32 v2, 15, v0
	v_cmp_eq_u32_e64 s14, 0, v0
	s_delay_alu instid0(VALU_DEP_2) | instskip(SKIP_1) | instid1(VALU_DEP_2)
	v_dual_cndmask_b32 v23, 0, v23, s13 :: v_dual_lshlrev_b32 v2, 3, v2
	v_cndmask_b32_e64 v22, 7, v22, s13
	v_and_b32_e32 v2, 0xf8, v2
	s_delay_alu instid0(VALU_DEP_2) | instskip(NEXT) | instid1(VALU_DEP_2)
	v_cmp_eq_u64_e64 s13, 0, v[22:23]
	v_and_or_b32 v0, v22, 7, v2
	s_and_b32 s13, s14, s13
	s_delay_alu instid0(VALU_DEP_1) | instid1(SALU_CYCLE_1)
	v_cndmask_b32_e64 v0, v0, 0, s13
	s_delay_alu instid0(VALU_DEP_1)
	v_or_b32_e32 v4, v0, v5
.LBB6_9958:                             ;   in Loop: Header=BB6_9936 Depth=3
	s_or_b32 exec_lo, exec_lo, s76
                                        ; implicit-def: $vgpr5
.LBB6_9959:                             ;   in Loop: Header=BB6_9936 Depth=3
	s_and_not1_saveexec_b32 s13, s75
; %bb.9960:                             ;   in Loop: Header=BB6_9936 Depth=3
	v_or_b32_e32 v4, 0x7e, v5
; %bb.9961:                             ;   in Loop: Header=BB6_9936 Depth=3
	s_or_b32 exec_lo, exec_lo, s13
                                        ; implicit-def: $vgpr5
.LBB6_9962:                             ;   in Loop: Header=BB6_9936 Depth=3
	s_and_not1_saveexec_b32 s13, s15
; %bb.9963:                             ;   in Loop: Header=BB6_9936 Depth=3
	v_or_b32_e32 v4, 0x7f, v5
; %bb.9964:                             ;   in Loop: Header=BB6_9936 Depth=3
	s_or_b32 exec_lo, exec_lo, s13
	v_lshrrev_b16 v0, 8, v12
	v_mov_b32_e32 v5, 0
	s_mov_b32 s14, exec_lo
	s_delay_alu instid0(VALU_DEP_2)
	v_cmpx_ne_u16_e32 0, v0
	s_cbranch_execz .LBB6_9972
; %bb.9965:                             ;   in Loop: Header=BB6_9936 Depth=3
	v_bfrev_b32_e32 v5, 1
	s_mov_b32 s15, exec_lo
	v_cmpx_ne_u16_e32 0x80, v0
	s_cbranch_execz .LBB6_9971
; %bb.9966:                             ;   in Loop: Header=BB6_9936 Depth=3
	v_and_b32_e32 v0, 0xffff, v0
	v_mov_b32_e32 v5, 0x7f800001
	s_mov_b32 s75, exec_lo
	s_delay_alu instid0(VALU_DEP_2) | instskip(NEXT) | instid1(VALU_DEP_1)
	v_and_b32_e32 v22, 0x7f, v0
	v_cmpx_ne_u32_e32 0x7f, v22
	s_cbranch_execz .LBB6_9970
; %bb.9967:                             ;   in Loop: Header=BB6_9936 Depth=3
	v_dual_lshrrev_b32 v0, 3, v22 :: v_dual_bitop2_b32 v2, 7, v0 bitop3:0x40
	v_cmp_gt_u32_e64 s13, 8, v22
	s_delay_alu instid0(VALU_DEP_2)
	v_mov_b64_e32 v[22:23], v[2:3]
	s_and_saveexec_b32 s76, s13
; %bb.9968:                             ;   in Loop: Header=BB6_9936 Depth=3
	v_clz_i32_u32_e32 v0, v2
	s_delay_alu instid0(VALU_DEP_1) | instskip(NEXT) | instid1(VALU_DEP_1)
	v_min_u32_e32 v0, 32, v0
	v_subrev_nc_u32_e32 v5, 28, v0
	s_delay_alu instid0(VALU_DEP_1) | instskip(NEXT) | instid1(VALU_DEP_1)
	v_lshlrev_b64_e32 v[22:23], v5, v[2:3]
	v_dual_sub_nc_u32 v0, 29, v0 :: v_dual_bitop2_b32 v22, 7, v22 bitop3:0x40
; %bb.9969:                             ;   in Loop: Header=BB6_9936 Depth=3
	s_or_b32 exec_lo, exec_lo, s76
	s_delay_alu instid0(VALU_DEP_1) | instskip(NEXT) | instid1(VALU_DEP_2)
	v_dual_lshlrev_b32 v2, 16, v12 :: v_dual_lshlrev_b32 v5, 20, v22
	v_lshl_add_u32 v0, v0, 23, 0x3c000000
	s_delay_alu instid0(VALU_DEP_2) | instskip(NEXT) | instid1(VALU_DEP_1)
	v_and_b32_e32 v2, 0x80000000, v2
	v_or3_b32 v5, v5, v2, v0
.LBB6_9970:                             ;   in Loop: Header=BB6_9936 Depth=3
	s_or_b32 exec_lo, exec_lo, s75
.LBB6_9971:                             ;   in Loop: Header=BB6_9936 Depth=3
	s_delay_alu instid0(SALU_CYCLE_1)
	s_or_b32 exec_lo, exec_lo, s15
.LBB6_9972:                             ;   in Loop: Header=BB6_9936 Depth=3
	s_delay_alu instid0(SALU_CYCLE_1) | instskip(SKIP_3) | instid1(VALU_DEP_1)
	s_or_b32 exec_lo, exec_lo, s14
	v_lshrrev_b16 v22, 8, v8
	s_mov_b32 s15, 0
	s_mov_b32 s14, exec_lo
	v_cmpx_lt_i16_e32 0x7f, v22
	s_xor_b32 s14, exec_lo, s14
	s_cbranch_execz .LBB6_9979
; %bb.9973:                             ;   in Loop: Header=BB6_9936 Depth=3
	s_mov_b32 s15, -1
	s_mov_b32 s75, exec_lo
	v_cmpx_eq_u16_e32 0x80, v22
; %bb.9974:                             ;   in Loop: Header=BB6_9936 Depth=3
	s_xor_b32 s15, exec_lo, -1
; %bb.9975:                             ;   in Loop: Header=BB6_9936 Depth=3
	s_or_b32 exec_lo, exec_lo, s75
	s_delay_alu instid0(SALU_CYCLE_1)
	s_and_b32 s15, s15, exec_lo
	s_or_saveexec_b32 s14, s14
	v_bfrev_b32_e32 v0, 1
	s_xor_b32 exec_lo, exec_lo, s14
	s_cbranch_execnz .LBB6_9980
.LBB6_9976:                             ;   in Loop: Header=BB6_9936 Depth=3
	s_or_b32 exec_lo, exec_lo, s14
	s_and_saveexec_b32 s14, s15
	s_cbranch_execnz .LBB6_9981
	s_branch .LBB6_9984
.LBB6_9977:                             ;   in Loop: Header=BB6_9936 Depth=3
	s_or_saveexec_b32 s15, s15
	v_bfrev_b32_e32 v0, 1
	s_xor_b32 exec_lo, exec_lo, s15
	s_cbranch_execz .LBB6_9946
.LBB6_9978:                             ;   in Loop: Header=BB6_9936 Depth=3
	v_cmp_ne_u16_e64 s13, 0, v4
	v_mov_b32_e32 v0, 0
	s_and_not1_b32 s14, s14, exec_lo
	s_and_b32 s13, s13, exec_lo
	s_delay_alu instid0(SALU_CYCLE_1)
	s_or_b32 s14, s14, s13
	s_or_b32 exec_lo, exec_lo, s15
	s_and_saveexec_b32 s15, s14
	s_cbranch_execnz .LBB6_9947
	s_branch .LBB6_9948
.LBB6_9979:                             ;   in Loop: Header=BB6_9936 Depth=3
	s_or_saveexec_b32 s14, s14
	v_bfrev_b32_e32 v0, 1
	s_xor_b32 exec_lo, exec_lo, s14
	s_cbranch_execz .LBB6_9976
.LBB6_9980:                             ;   in Loop: Header=BB6_9936 Depth=3
	v_cmp_ne_u16_e64 s13, 0, v22
	v_mov_b32_e32 v0, 0
	s_and_not1_b32 s15, s15, exec_lo
	s_and_b32 s13, s13, exec_lo
	s_delay_alu instid0(SALU_CYCLE_1)
	s_or_b32 s15, s15, s13
	s_or_b32 exec_lo, exec_lo, s14
	s_and_saveexec_b32 s14, s15
	s_cbranch_execz .LBB6_9984
.LBB6_9981:                             ;   in Loop: Header=BB6_9936 Depth=3
	v_and_b32_e32 v2, 0xffff, v22
	v_mov_b32_e32 v0, 0x7f800001
	s_mov_b32 s15, exec_lo
	s_delay_alu instid0(VALU_DEP_2) | instskip(NEXT) | instid1(VALU_DEP_1)
	v_and_b32_e32 v23, 0x7f, v2
	v_cmpx_ne_u32_e32 0x7f, v23
	s_cbranch_execz .LBB6_9983
; %bb.9982:                             ;   in Loop: Header=BB6_9936 Depth=3
	v_and_b32_e32 v0, 7, v2
	v_cmp_gt_u32_e64 s13, 8, v23
	s_delay_alu instid0(VALU_DEP_2) | instskip(NEXT) | instid1(VALU_DEP_1)
	v_clz_i32_u32_e32 v24, v0
	v_min_u32_e32 v26, 32, v24
	s_delay_alu instid0(VALU_DEP_1) | instskip(NEXT) | instid1(VALU_DEP_1)
	v_subrev_nc_u32_e32 v24, 28, v26
	v_lshlrev_b64_e32 v[24:25], v24, v[2:3]
	v_dual_lshrrev_b32 v2, 3, v23 :: v_dual_sub_nc_u32 v25, 29, v26
	s_delay_alu instid0(VALU_DEP_2) | instskip(NEXT) | instid1(VALU_DEP_1)
	v_dual_lshlrev_b32 v22, 24, v22 :: v_dual_bitop2_b32 v23, 7, v24 bitop3:0x40
	v_dual_cndmask_b32 v2, v2, v25, s13 :: v_dual_cndmask_b32 v0, v0, v23, s13
	s_delay_alu instid0(VALU_DEP_2) | instskip(NEXT) | instid1(VALU_DEP_2)
	v_and_b32_e32 v22, 0x80000000, v22
	v_lshl_add_u32 v2, v2, 23, 0x3c000000
	s_delay_alu instid0(VALU_DEP_3) | instskip(NEXT) | instid1(VALU_DEP_1)
	v_lshlrev_b32_e32 v0, 20, v0
	v_or3_b32 v0, v0, v22, v2
.LBB6_9983:                             ;   in Loop: Header=BB6_9936 Depth=3
	s_or_b32 exec_lo, exec_lo, s15
.LBB6_9984:                             ;   in Loop: Header=BB6_9936 Depth=3
	s_delay_alu instid0(SALU_CYCLE_1) | instskip(NEXT) | instid1(VALU_DEP_1)
	s_or_b32 exec_lo, exec_lo, s14
	v_add_f32_e32 v0, v5, v0
                                        ; implicit-def: $vgpr5
	s_mov_b32 s14, exec_lo
	s_delay_alu instid0(VALU_DEP_1) | instskip(SKIP_1) | instid1(VALU_DEP_2)
	v_and_b32_e32 v2, 0x7f800000, v0
	v_lshrrev_b32_e32 v22, 24, v0
	v_cmpx_ne_u64_e32 0x7f800000, v[2:3]
	s_xor_b32 s15, exec_lo, s14
	s_cbranch_execz .LBB6_9998
; %bb.9985:                             ;   in Loop: Header=BB6_9936 Depth=3
	v_and_b32_e32 v2, 0x7fffffff, v0
	v_and_b32_e32 v26, 0x80, v22
                                        ; implicit-def: $vgpr5
	s_mov_b32 s14, exec_lo
	s_delay_alu instid0(VALU_DEP_2)
	v_cmpx_gt_u64_e32 0x43e00001, v[2:3]
	s_xor_b32 s75, exec_lo, s14
	s_cbranch_execz .LBB6_9995
; %bb.9986:                             ;   in Loop: Header=BB6_9936 Depth=3
	v_mov_b32_e32 v5, 0
	s_mov_b32 s76, exec_lo
	v_cmpx_ne_u32_e32 0, v0
	s_cbranch_execz .LBB6_9994
; %bb.9987:                             ;   in Loop: Header=BB6_9936 Depth=3
	v_bfe_u32 v5, v0, 23, 8
	v_and_b32_e32 v0, 0x7fffff, v0
	s_delay_alu instid0(VALU_DEP_2) | instskip(SKIP_1) | instid1(VALU_DEP_3)
	v_sub_nc_u32_e32 v2, 0x79, v5
	v_cmp_gt_u32_e64 s13, 0x7a, v5
	v_or_b32_e32 v24, 0x800000, v0
	s_delay_alu instid0(VALU_DEP_2) | instskip(SKIP_1) | instid1(VALU_DEP_1)
	v_cndmask_b32_e64 v2, 0, v2, s13
	v_cmp_eq_u32_e64 s13, 0, v5
	v_cndmask_b32_e64 v27, v2, 0x78, s13
	s_delay_alu instid0(VALU_DEP_1) | instskip(NEXT) | instid1(VALU_DEP_1)
	v_dual_add_nc_u32 v2, 20, v27 :: v_dual_add_nc_u32 v25, 19, v27
	v_lshlrev_b64_e64 v[22:23], v2, -1
	v_cndmask_b32_e64 v2, v24, v0, s13
	s_delay_alu instid0(VALU_DEP_3) | instskip(NEXT) | instid1(VALU_DEP_3)
	v_lshlrev_b64_e64 v[24:25], v25, 1
	v_bfi_b32 v35, v23, 0, 0
	s_delay_alu instid0(VALU_DEP_3) | instskip(SKIP_1) | instid1(VALU_DEP_2)
	v_bfi_b32 v34, v22, 0, v2
	v_lshrrev_b64 v[22:23], v27, v[2:3]
	v_cmp_eq_u64_e64 s14, v[34:35], v[24:25]
	s_delay_alu instid0(VALU_DEP_2)
	v_mov_b64_e32 v[24:25], v[22:23]
	s_and_saveexec_b32 s77, s14
; %bb.9988:                             ;   in Loop: Header=BB6_9936 Depth=3
	v_bfe_u32 v2, v22, 20, 1
	s_delay_alu instid0(VALU_DEP_1) | instskip(NEXT) | instid1(VALU_DEP_1)
	v_add_nc_u64_e32 v[24:25], v[22:23], v[2:3]
	v_add_nc_u64_e32 v[24:25], -1, v[24:25]
; %bb.9989:                             ;   in Loop: Header=BB6_9936 Depth=3
	s_or_b32 exec_lo, exec_lo, s77
	v_add_nc_u32_e32 v0, 0xffffff81, v5
	v_lshrrev_b32_e32 v2, 23, v22
	s_mov_b32 s14, exec_lo
	s_delay_alu instid0(VALU_DEP_2) | instskip(NEXT) | instid1(VALU_DEP_1)
	v_cndmask_b32_e64 v0, v0, 0xffffff82, s13
	v_add3_u32 v5, v27, v0, v2
	v_and_b32_e32 v0, 0xfffff, v24
	s_delay_alu instid0(VALU_DEP_1) | instskip(NEXT) | instid1(VALU_DEP_1)
	v_dual_add_nc_u32 v24, 6, v5 :: v_dual_add_nc_u32 v2, v0, v22
                                        ; implicit-def: $vgpr22_vgpr23
                                        ; implicit-def: $vgpr0
	v_cmpx_ne_u32_e32 0, v24
	s_xor_b32 s14, exec_lo, s14
; %bb.9990:                             ;   in Loop: Header=BB6_9936 Depth=3
	s_delay_alu instid0(VALU_DEP_2) | instskip(SKIP_1) | instid1(VALU_DEP_2)
	v_cmp_lt_u64_e64 s13, 0xffffff, v[2:3]
	v_add_nc_u32_e32 v0, 7, v5
	v_cndmask_b32_e64 v5, 0, 1, s13
	s_delay_alu instid0(VALU_DEP_2) | instskip(NEXT) | instid1(VALU_DEP_2)
	v_cndmask_b32_e64 v0, v24, v0, s13
	v_lshrrev_b64 v[22:23], v5, v[2:3]
; %bb.9991:                             ;   in Loop: Header=BB6_9936 Depth=3
	s_and_not1_saveexec_b32 s13, s14
; %bb.9992:                             ;   in Loop: Header=BB6_9936 Depth=3
	v_mov_b64_e32 v[22:23], v[2:3]
	v_bfe_u32 v0, v2, 23, 1
; %bb.9993:                             ;   in Loop: Header=BB6_9936 Depth=3
	s_or_b32 exec_lo, exec_lo, s13
	s_delay_alu instid0(VALU_DEP_2) | instskip(NEXT) | instid1(VALU_DEP_2)
	v_lshrrev_b64 v[22:23], 20, v[22:23]
	v_cmp_gt_i32_e64 s13, 16, v0
	v_min_i32_e32 v2, 15, v0
	v_cmp_eq_u32_e64 s14, 0, v0
	s_delay_alu instid0(VALU_DEP_2) | instskip(SKIP_1) | instid1(VALU_DEP_2)
	v_dual_cndmask_b32 v23, 0, v23, s13 :: v_dual_lshlrev_b32 v2, 3, v2
	v_cndmask_b32_e64 v22, 7, v22, s13
	v_and_b32_e32 v2, 0xf8, v2
	s_delay_alu instid0(VALU_DEP_2) | instskip(NEXT) | instid1(VALU_DEP_2)
	v_cmp_eq_u64_e64 s13, 0, v[22:23]
	v_and_or_b32 v0, v22, 7, v2
	s_and_b32 s13, s14, s13
	s_delay_alu instid0(VALU_DEP_1) | instid1(SALU_CYCLE_1)
	v_cndmask_b32_e64 v0, v0, 0, s13
	s_delay_alu instid0(VALU_DEP_1)
	v_or_b32_e32 v5, v0, v26
.LBB6_9994:                             ;   in Loop: Header=BB6_9936 Depth=3
	s_or_b32 exec_lo, exec_lo, s76
                                        ; implicit-def: $vgpr26
.LBB6_9995:                             ;   in Loop: Header=BB6_9936 Depth=3
	s_and_not1_saveexec_b32 s13, s75
; %bb.9996:                             ;   in Loop: Header=BB6_9936 Depth=3
	v_or_b32_e32 v5, 0x7e, v26
; %bb.9997:                             ;   in Loop: Header=BB6_9936 Depth=3
	s_or_b32 exec_lo, exec_lo, s13
                                        ; implicit-def: $vgpr22
.LBB6_9998:                             ;   in Loop: Header=BB6_9936 Depth=3
	s_and_not1_saveexec_b32 s13, s15
; %bb.9999:                             ;   in Loop: Header=BB6_9936 Depth=3
	v_or_b32_e32 v5, 0x7f, v22
; %bb.10000:                            ;   in Loop: Header=BB6_9936 Depth=3
	s_or_b32 exec_lo, exec_lo, s13
	v_dual_lshrrev_b32 v0, 16, v12 :: v_dual_mov_b32 v22, 0
	s_mov_b32 s14, exec_lo
	s_delay_alu instid0(VALU_DEP_1) | instskip(NEXT) | instid1(VALU_DEP_1)
	v_and_b32_e32 v2, 0xff, v0
	v_cmpx_ne_u16_e32 0, v2
	s_cbranch_execz .LBB6_10008
; %bb.10001:                            ;   in Loop: Header=BB6_9936 Depth=3
	v_bfrev_b32_e32 v22, 1
	s_mov_b32 s15, exec_lo
	v_cmpx_ne_u16_e32 0x80, v2
	s_cbranch_execz .LBB6_10007
; %bb.10002:                            ;   in Loop: Header=BB6_9936 Depth=3
	v_bfe_u32 v23, v12, 16, 7
	v_mov_b32_e32 v22, 0x7f800001
	s_mov_b32 s75, exec_lo
	s_delay_alu instid0(VALU_DEP_2)
	v_cmpx_ne_u32_e32 0x7f, v23
	s_cbranch_execz .LBB6_10006
; %bb.10003:                            ;   in Loop: Header=BB6_9936 Depth=3
	v_dual_lshrrev_b32 v24, 3, v23 :: v_dual_bitop2_b32 v2, 7, v0 bitop3:0x40
	v_cmp_gt_u32_e64 s13, 8, v23
	s_delay_alu instid0(VALU_DEP_2)
	v_mov_b64_e32 v[22:23], v[2:3]
	s_and_saveexec_b32 s76, s13
; %bb.10004:                            ;   in Loop: Header=BB6_9936 Depth=3
	v_clz_i32_u32_e32 v22, v2
	s_delay_alu instid0(VALU_DEP_1) | instskip(NEXT) | instid1(VALU_DEP_1)
	v_min_u32_e32 v24, 32, v22
	v_subrev_nc_u32_e32 v22, 28, v24
	s_delay_alu instid0(VALU_DEP_1) | instskip(NEXT) | instid1(VALU_DEP_1)
	v_lshlrev_b64_e32 v[22:23], v22, v[2:3]
	v_dual_sub_nc_u32 v24, 29, v24 :: v_dual_bitop2_b32 v22, 7, v22 bitop3:0x40
; %bb.10005:                            ;   in Loop: Header=BB6_9936 Depth=3
	s_or_b32 exec_lo, exec_lo, s76
	s_delay_alu instid0(VALU_DEP_1) | instskip(NEXT) | instid1(VALU_DEP_2)
	v_dual_lshlrev_b32 v0, 24, v0 :: v_dual_lshlrev_b32 v2, 20, v22
	v_lshl_add_u32 v22, v24, 23, 0x3c000000
	s_delay_alu instid0(VALU_DEP_2) | instskip(NEXT) | instid1(VALU_DEP_1)
	v_and_b32_e32 v0, 0x80000000, v0
	v_or3_b32 v22, v2, v0, v22
.LBB6_10006:                            ;   in Loop: Header=BB6_9936 Depth=3
	s_or_b32 exec_lo, exec_lo, s75
.LBB6_10007:                            ;   in Loop: Header=BB6_9936 Depth=3
	s_delay_alu instid0(SALU_CYCLE_1)
	s_or_b32 exec_lo, exec_lo, s15
.LBB6_10008:                            ;   in Loop: Header=BB6_9936 Depth=3
	s_delay_alu instid0(SALU_CYCLE_1) | instskip(SKIP_3) | instid1(VALU_DEP_1)
	s_or_b32 exec_lo, exec_lo, s14
	v_lshrrev_b32_e32 v2, 16, v8
	s_mov_b32 s15, 0
	s_mov_b32 s14, exec_lo
	v_and_b32_e32 v23, 0xff, v2
	s_delay_alu instid0(VALU_DEP_1)
	v_cmpx_lt_i16_e32 0x7f, v23
	s_xor_b32 s14, exec_lo, s14
	s_cbranch_execz .LBB6_10013
; %bb.10009:                            ;   in Loop: Header=BB6_9936 Depth=3
	s_mov_b32 s15, -1
	s_mov_b32 s75, exec_lo
	v_cmpx_eq_u16_e32 0x80, v23
; %bb.10010:                            ;   in Loop: Header=BB6_9936 Depth=3
	s_xor_b32 s15, exec_lo, -1
; %bb.10011:                            ;   in Loop: Header=BB6_9936 Depth=3
	s_or_b32 exec_lo, exec_lo, s75
	s_delay_alu instid0(SALU_CYCLE_1)
	s_and_b32 s15, s15, exec_lo
                                        ; implicit-def: $vgpr23
	s_or_saveexec_b32 s14, s14
	v_bfrev_b32_e32 v0, 1
	s_xor_b32 exec_lo, exec_lo, s14
	s_cbranch_execnz .LBB6_10014
.LBB6_10012:                            ;   in Loop: Header=BB6_9936 Depth=3
	s_or_b32 exec_lo, exec_lo, s14
	s_and_saveexec_b32 s14, s15
	s_cbranch_execnz .LBB6_10015
	s_branch .LBB6_10018
.LBB6_10013:                            ;   in Loop: Header=BB6_9936 Depth=3
	s_or_saveexec_b32 s14, s14
	v_bfrev_b32_e32 v0, 1
	s_xor_b32 exec_lo, exec_lo, s14
	s_cbranch_execz .LBB6_10012
.LBB6_10014:                            ;   in Loop: Header=BB6_9936 Depth=3
	v_cmp_ne_u16_e64 s13, 0, v23
	v_mov_b32_e32 v0, 0
	s_and_not1_b32 s15, s15, exec_lo
	s_and_b32 s13, s13, exec_lo
	s_delay_alu instid0(SALU_CYCLE_1)
	s_or_b32 s15, s15, s13
	s_or_b32 exec_lo, exec_lo, s14
	s_and_saveexec_b32 s14, s15
	s_cbranch_execz .LBB6_10018
.LBB6_10015:                            ;   in Loop: Header=BB6_9936 Depth=3
	v_and_b32_e32 v23, 0x7f, v2
	v_mov_b32_e32 v0, 0x7f800001
	s_mov_b32 s15, exec_lo
	s_delay_alu instid0(VALU_DEP_2)
	v_cmpx_ne_u32_e32 0x7f, v23
	s_cbranch_execz .LBB6_10017
; %bb.10016:                            ;   in Loop: Header=BB6_9936 Depth=3
	v_and_b32_e32 v0, 7, v2
	v_cmp_gt_u32_e64 s13, 8, v23
	s_delay_alu instid0(VALU_DEP_2) | instskip(NEXT) | instid1(VALU_DEP_1)
	v_clz_i32_u32_e32 v24, v0
	v_min_u32_e32 v26, 32, v24
	s_delay_alu instid0(VALU_DEP_1) | instskip(NEXT) | instid1(VALU_DEP_1)
	v_subrev_nc_u32_e32 v24, 28, v26
	v_lshlrev_b64_e32 v[24:25], v24, v[2:3]
	v_dual_lshrrev_b32 v25, 3, v23 :: v_dual_sub_nc_u32 v26, 29, v26
	s_delay_alu instid0(VALU_DEP_2) | instskip(NEXT) | instid1(VALU_DEP_1)
	v_dual_lshlrev_b32 v2, 24, v2 :: v_dual_bitop2_b32 v23, 7, v24 bitop3:0x40
	v_dual_cndmask_b32 v0, v0, v23, s13 :: v_dual_cndmask_b32 v24, v25, v26, s13
	s_delay_alu instid0(VALU_DEP_2) | instskip(NEXT) | instid1(VALU_DEP_2)
	v_and_b32_e32 v2, 0x80000000, v2
	v_lshlrev_b32_e32 v0, 20, v0
	s_delay_alu instid0(VALU_DEP_3) | instskip(NEXT) | instid1(VALU_DEP_1)
	v_lshl_add_u32 v23, v24, 23, 0x3c000000
	v_or3_b32 v0, v0, v2, v23
.LBB6_10017:                            ;   in Loop: Header=BB6_9936 Depth=3
	s_or_b32 exec_lo, exec_lo, s15
.LBB6_10018:                            ;   in Loop: Header=BB6_9936 Depth=3
	s_delay_alu instid0(SALU_CYCLE_1) | instskip(NEXT) | instid1(VALU_DEP_1)
	s_or_b32 exec_lo, exec_lo, s14
	v_add_f32_e32 v0, v22, v0
                                        ; implicit-def: $vgpr34
	s_mov_b32 s14, exec_lo
	s_delay_alu instid0(VALU_DEP_1) | instskip(SKIP_1) | instid1(VALU_DEP_2)
	v_and_b32_e32 v2, 0x7f800000, v0
	v_lshrrev_b32_e32 v22, 24, v0
	v_cmpx_ne_u64_e32 0x7f800000, v[2:3]
	s_xor_b32 s15, exec_lo, s14
	s_cbranch_execz .LBB6_10032
; %bb.10019:                            ;   in Loop: Header=BB6_9936 Depth=3
	v_and_b32_e32 v2, 0x7fffffff, v0
	v_and_b32_e32 v26, 0x80, v22
                                        ; implicit-def: $vgpr34
	s_mov_b32 s14, exec_lo
	s_delay_alu instid0(VALU_DEP_2)
	v_cmpx_gt_u64_e32 0x43e00001, v[2:3]
	s_xor_b32 s75, exec_lo, s14
	s_cbranch_execz .LBB6_10029
; %bb.10020:                            ;   in Loop: Header=BB6_9936 Depth=3
	v_mov_b32_e32 v34, 0
	s_mov_b32 s76, exec_lo
	v_cmpx_ne_u32_e32 0, v0
	s_cbranch_execz .LBB6_10028
; %bb.10021:                            ;   in Loop: Header=BB6_9936 Depth=3
	v_bfe_u32 v27, v0, 23, 8
	v_and_b32_e32 v0, 0x7fffff, v0
	s_delay_alu instid0(VALU_DEP_2) | instskip(SKIP_1) | instid1(VALU_DEP_3)
	v_sub_nc_u32_e32 v2, 0x79, v27
	v_cmp_gt_u32_e64 s13, 0x7a, v27
	v_or_b32_e32 v24, 0x800000, v0
	s_delay_alu instid0(VALU_DEP_2) | instskip(SKIP_1) | instid1(VALU_DEP_1)
	v_cndmask_b32_e64 v2, 0, v2, s13
	v_cmp_eq_u32_e64 s13, 0, v27
	v_cndmask_b32_e64 v34, v2, 0x78, s13
	s_delay_alu instid0(VALU_DEP_1) | instskip(NEXT) | instid1(VALU_DEP_1)
	v_dual_add_nc_u32 v2, 20, v34 :: v_dual_add_nc_u32 v25, 19, v34
	v_lshlrev_b64_e64 v[22:23], v2, -1
	v_cndmask_b32_e64 v2, v24, v0, s13
	s_delay_alu instid0(VALU_DEP_3) | instskip(NEXT) | instid1(VALU_DEP_3)
	v_lshlrev_b64_e64 v[24:25], v25, 1
	v_bfi_b32 v37, v23, 0, 0
	s_delay_alu instid0(VALU_DEP_3) | instskip(SKIP_1) | instid1(VALU_DEP_2)
	v_bfi_b32 v36, v22, 0, v2
	v_lshrrev_b64 v[22:23], v34, v[2:3]
	v_cmp_eq_u64_e64 s14, v[36:37], v[24:25]
	s_delay_alu instid0(VALU_DEP_2)
	v_mov_b64_e32 v[24:25], v[22:23]
	s_and_saveexec_b32 s77, s14
; %bb.10022:                            ;   in Loop: Header=BB6_9936 Depth=3
	v_bfe_u32 v2, v22, 20, 1
	s_delay_alu instid0(VALU_DEP_1) | instskip(NEXT) | instid1(VALU_DEP_1)
	v_add_nc_u64_e32 v[24:25], v[22:23], v[2:3]
	v_add_nc_u64_e32 v[24:25], -1, v[24:25]
; %bb.10023:                            ;   in Loop: Header=BB6_9936 Depth=3
	s_or_b32 exec_lo, exec_lo, s77
	v_add_nc_u32_e32 v0, 0xffffff81, v27
	v_lshrrev_b32_e32 v2, 23, v22
	s_mov_b32 s14, exec_lo
	s_delay_alu instid0(VALU_DEP_2) | instskip(NEXT) | instid1(VALU_DEP_1)
	v_cndmask_b32_e64 v0, v0, 0xffffff82, s13
	v_add3_u32 v25, v34, v0, v2
	v_and_b32_e32 v0, 0xfffff, v24
	s_delay_alu instid0(VALU_DEP_1) | instskip(NEXT) | instid1(VALU_DEP_1)
	v_dual_add_nc_u32 v24, 6, v25 :: v_dual_add_nc_u32 v2, v0, v22
                                        ; implicit-def: $vgpr22_vgpr23
                                        ; implicit-def: $vgpr0
	v_cmpx_ne_u32_e32 0, v24
	s_xor_b32 s14, exec_lo, s14
; %bb.10024:                            ;   in Loop: Header=BB6_9936 Depth=3
	s_delay_alu instid0(VALU_DEP_2) | instskip(SKIP_1) | instid1(VALU_DEP_2)
	v_cmp_lt_u64_e64 s13, 0xffffff, v[2:3]
	v_add_nc_u32_e32 v0, 7, v25
	v_cndmask_b32_e64 v22, 0, 1, s13
	s_delay_alu instid0(VALU_DEP_2) | instskip(NEXT) | instid1(VALU_DEP_2)
	v_cndmask_b32_e64 v0, v24, v0, s13
	v_lshrrev_b64 v[22:23], v22, v[2:3]
; %bb.10025:                            ;   in Loop: Header=BB6_9936 Depth=3
	s_and_not1_saveexec_b32 s13, s14
; %bb.10026:                            ;   in Loop: Header=BB6_9936 Depth=3
	v_mov_b64_e32 v[22:23], v[2:3]
	v_bfe_u32 v0, v2, 23, 1
; %bb.10027:                            ;   in Loop: Header=BB6_9936 Depth=3
	s_or_b32 exec_lo, exec_lo, s13
	s_delay_alu instid0(VALU_DEP_2) | instskip(NEXT) | instid1(VALU_DEP_2)
	v_lshrrev_b64 v[22:23], 20, v[22:23]
	v_cmp_gt_i32_e64 s13, 16, v0
	v_min_i32_e32 v2, 15, v0
	v_cmp_eq_u32_e64 s14, 0, v0
	s_delay_alu instid0(VALU_DEP_2) | instskip(SKIP_1) | instid1(VALU_DEP_2)
	v_dual_cndmask_b32 v23, 0, v23, s13 :: v_dual_lshlrev_b32 v2, 3, v2
	v_cndmask_b32_e64 v22, 7, v22, s13
	v_and_b32_e32 v2, 0xf8, v2
	s_delay_alu instid0(VALU_DEP_2) | instskip(NEXT) | instid1(VALU_DEP_2)
	v_cmp_eq_u64_e64 s13, 0, v[22:23]
	v_and_or_b32 v0, v22, 7, v2
	s_and_b32 s13, s14, s13
	s_delay_alu instid0(VALU_DEP_1) | instid1(SALU_CYCLE_1)
	v_cndmask_b32_e64 v0, v0, 0, s13
	s_delay_alu instid0(VALU_DEP_1)
	v_or_b32_e32 v34, v0, v26
.LBB6_10028:                            ;   in Loop: Header=BB6_9936 Depth=3
	s_or_b32 exec_lo, exec_lo, s76
                                        ; implicit-def: $vgpr26
.LBB6_10029:                            ;   in Loop: Header=BB6_9936 Depth=3
	s_and_not1_saveexec_b32 s13, s75
; %bb.10030:                            ;   in Loop: Header=BB6_9936 Depth=3
	v_or_b32_e32 v34, 0x7e, v26
; %bb.10031:                            ;   in Loop: Header=BB6_9936 Depth=3
	s_or_b32 exec_lo, exec_lo, s13
                                        ; implicit-def: $vgpr22
.LBB6_10032:                            ;   in Loop: Header=BB6_9936 Depth=3
	s_and_not1_saveexec_b32 s13, s15
; %bb.10033:                            ;   in Loop: Header=BB6_9936 Depth=3
	v_or_b32_e32 v34, 0x7f, v22
; %bb.10034:                            ;   in Loop: Header=BB6_9936 Depth=3
	s_or_b32 exec_lo, exec_lo, s13
	v_mov_b32_e32 v0, 0
	s_mov_b32 s14, exec_lo
	v_cmpx_lt_u32_e32 0xffffff, v12
	s_cbranch_execz .LBB6_10042
; %bb.10035:                            ;   in Loop: Header=BB6_9936 Depth=3
	v_lshrrev_b32_e32 v24, 24, v12
	v_bfrev_b32_e32 v0, 1
	s_mov_b32 s15, exec_lo
	s_delay_alu instid0(VALU_DEP_2)
	v_cmpx_ne_u32_e32 0x80, v24
	s_cbranch_execz .LBB6_10041
; %bb.10036:                            ;   in Loop: Header=BB6_9936 Depth=3
	v_bfe_u32 v22, v12, 24, 7
	v_mov_b32_e32 v0, 0x7f800001
	s_mov_b32 s75, exec_lo
	s_delay_alu instid0(VALU_DEP_2)
	v_cmpx_ne_u32_e32 0x7f, v22
	s_cbranch_execz .LBB6_10040
; %bb.10037:                            ;   in Loop: Header=BB6_9936 Depth=3
	v_dual_lshrrev_b32 v0, 3, v22 :: v_dual_bitop2_b32 v2, 7, v24 bitop3:0x40
	v_cmp_gt_u32_e64 s13, 8, v22
	s_delay_alu instid0(VALU_DEP_2)
	v_mov_b64_e32 v[22:23], v[2:3]
	s_and_saveexec_b32 s76, s13
; %bb.10038:                            ;   in Loop: Header=BB6_9936 Depth=3
	v_clz_i32_u32_e32 v0, v2
	s_delay_alu instid0(VALU_DEP_1) | instskip(NEXT) | instid1(VALU_DEP_1)
	v_min_u32_e32 v0, 32, v0
	v_subrev_nc_u32_e32 v22, 28, v0
	s_delay_alu instid0(VALU_DEP_1) | instskip(NEXT) | instid1(VALU_DEP_1)
	v_lshlrev_b64_e32 v[22:23], v22, v[2:3]
	v_dual_sub_nc_u32 v0, 29, v0 :: v_dual_bitop2_b32 v22, 7, v22 bitop3:0x40
; %bb.10039:                            ;   in Loop: Header=BB6_9936 Depth=3
	s_or_b32 exec_lo, exec_lo, s76
	s_delay_alu instid0(VALU_DEP_1) | instskip(NEXT) | instid1(VALU_DEP_2)
	v_dual_lshlrev_b32 v2, 24, v24 :: v_dual_lshlrev_b32 v22, 20, v22
	v_lshl_add_u32 v0, v0, 23, 0x3c000000
	s_delay_alu instid0(VALU_DEP_2) | instskip(NEXT) | instid1(VALU_DEP_1)
	v_and_b32_e32 v2, 0x80000000, v2
	v_or3_b32 v0, v22, v2, v0
.LBB6_10040:                            ;   in Loop: Header=BB6_9936 Depth=3
	s_or_b32 exec_lo, exec_lo, s75
.LBB6_10041:                            ;   in Loop: Header=BB6_9936 Depth=3
	s_delay_alu instid0(SALU_CYCLE_1)
	s_or_b32 exec_lo, exec_lo, s15
.LBB6_10042:                            ;   in Loop: Header=BB6_9936 Depth=3
	s_delay_alu instid0(SALU_CYCLE_1) | instskip(SKIP_3) | instid1(VALU_DEP_3)
	s_or_b32 exec_lo, exec_lo, s14
	v_lshrrev_b32_e32 v2, 24, v8
	v_bfe_u32 v22, v8, 24, 7
	v_cmp_gt_u32_e64 s15, 0x1000000, v8
	v_cmp_eq_u32_e64 s13, 0x80, v2
	s_delay_alu instid0(VALU_DEP_3) | instskip(NEXT) | instid1(VALU_DEP_2)
	v_cmp_eq_u32_e64 s14, 0x7f, v22
	v_cndmask_b32_e64 v23, 0x7f800001, v125, s13
	s_or_b32 s13, s13, s14
	s_delay_alu instid0(SALU_CYCLE_1) | instskip(NEXT) | instid1(VALU_DEP_1)
	s_nor_b32 s13, s15, s13
	v_cndmask_b32_e64 v23, v23, 0, s15
	s_and_saveexec_b32 s14, s13
	s_cbranch_execz .LBB6_10044
; %bb.10043:                            ;   in Loop: Header=BB6_9936 Depth=3
	v_and_b32_e32 v23, 7, v2
	v_cmp_gt_u32_e64 s13, 8, v22
	s_delay_alu instid0(VALU_DEP_2) | instskip(NEXT) | instid1(VALU_DEP_1)
	v_clz_i32_u32_e32 v24, v23
	v_min_u32_e32 v26, 32, v24
	s_delay_alu instid0(VALU_DEP_1) | instskip(SKIP_1) | instid1(VALU_DEP_2)
	v_subrev_nc_u32_e32 v24, 28, v26
	v_sub_nc_u32_e32 v26, 29, v26
	v_lshlrev_b64_e32 v[24:25], v24, v[2:3]
	v_lshrrev_b32_e32 v25, 3, v22
	v_lshlrev_b32_e32 v2, 24, v2
	s_delay_alu instid0(VALU_DEP_1) | instskip(NEXT) | instid1(VALU_DEP_3)
	v_and_b32_e32 v2, 0x80000000, v2
	v_dual_cndmask_b32 v24, v25, v26, s13 :: v_dual_bitop2_b32 v22, 7, v24 bitop3:0x40
	s_delay_alu instid0(VALU_DEP_1) | instskip(NEXT) | instid1(VALU_DEP_2)
	v_cndmask_b32_e64 v22, v23, v22, s13
	v_lshl_add_u32 v23, v24, 23, 0x3c000000
	s_delay_alu instid0(VALU_DEP_2) | instskip(NEXT) | instid1(VALU_DEP_1)
	v_lshlrev_b32_e32 v22, 20, v22
	v_or3_b32 v23, v22, v2, v23
.LBB6_10044:                            ;   in Loop: Header=BB6_9936 Depth=3
	s_or_b32 exec_lo, exec_lo, s14
	s_delay_alu instid0(VALU_DEP_1) | instskip(SKIP_1) | instid1(VALU_DEP_1)
	v_add_f32_e32 v0, v0, v23
                                        ; implicit-def: $vgpr35
	s_mov_b32 s14, exec_lo
	v_and_b32_e32 v2, 0x7f800000, v0
	v_lshrrev_b32_e32 v22, 24, v0
	s_delay_alu instid0(VALU_DEP_2)
	v_cmpx_ne_u64_e32 0x7f800000, v[2:3]
	s_xor_b32 s15, exec_lo, s14
	s_cbranch_execz .LBB6_10058
; %bb.10045:                            ;   in Loop: Header=BB6_9936 Depth=3
	v_and_b32_e32 v2, 0x7fffffff, v0
	v_and_b32_e32 v26, 0x80, v22
                                        ; implicit-def: $vgpr35
	s_mov_b32 s14, exec_lo
	s_delay_alu instid0(VALU_DEP_2)
	v_cmpx_gt_u64_e32 0x43e00001, v[2:3]
	s_xor_b32 s75, exec_lo, s14
	s_cbranch_execz .LBB6_10055
; %bb.10046:                            ;   in Loop: Header=BB6_9936 Depth=3
	v_mov_b32_e32 v35, 0
	s_mov_b32 s76, exec_lo
	v_cmpx_ne_u32_e32 0, v0
	s_cbranch_execz .LBB6_10054
; %bb.10047:                            ;   in Loop: Header=BB6_9936 Depth=3
	v_bfe_u32 v27, v0, 23, 8
	v_and_b32_e32 v0, 0x7fffff, v0
	s_delay_alu instid0(VALU_DEP_2) | instskip(SKIP_1) | instid1(VALU_DEP_3)
	v_sub_nc_u32_e32 v2, 0x79, v27
	v_cmp_gt_u32_e64 s13, 0x7a, v27
	v_or_b32_e32 v24, 0x800000, v0
	s_delay_alu instid0(VALU_DEP_2) | instskip(SKIP_1) | instid1(VALU_DEP_1)
	v_cndmask_b32_e64 v2, 0, v2, s13
	v_cmp_eq_u32_e64 s13, 0, v27
	v_cndmask_b32_e64 v35, v2, 0x78, s13
	s_delay_alu instid0(VALU_DEP_1) | instskip(NEXT) | instid1(VALU_DEP_1)
	v_dual_add_nc_u32 v2, 20, v35 :: v_dual_add_nc_u32 v25, 19, v35
	v_lshlrev_b64_e64 v[22:23], v2, -1
	v_cndmask_b32_e64 v2, v24, v0, s13
	s_delay_alu instid0(VALU_DEP_3) | instskip(NEXT) | instid1(VALU_DEP_3)
	v_lshlrev_b64_e64 v[24:25], v25, 1
	v_bfi_b32 v37, v23, 0, 0
	s_delay_alu instid0(VALU_DEP_3) | instskip(SKIP_1) | instid1(VALU_DEP_2)
	v_bfi_b32 v36, v22, 0, v2
	v_lshrrev_b64 v[22:23], v35, v[2:3]
	v_cmp_eq_u64_e64 s14, v[36:37], v[24:25]
	s_delay_alu instid0(VALU_DEP_2)
	v_mov_b64_e32 v[24:25], v[22:23]
	s_and_saveexec_b32 s77, s14
; %bb.10048:                            ;   in Loop: Header=BB6_9936 Depth=3
	v_bfe_u32 v2, v22, 20, 1
	s_delay_alu instid0(VALU_DEP_1) | instskip(NEXT) | instid1(VALU_DEP_1)
	v_add_nc_u64_e32 v[24:25], v[22:23], v[2:3]
	v_add_nc_u64_e32 v[24:25], -1, v[24:25]
; %bb.10049:                            ;   in Loop: Header=BB6_9936 Depth=3
	s_or_b32 exec_lo, exec_lo, s77
	v_add_nc_u32_e32 v0, 0xffffff81, v27
	v_lshrrev_b32_e32 v2, 23, v22
	s_mov_b32 s14, exec_lo
	s_delay_alu instid0(VALU_DEP_2) | instskip(NEXT) | instid1(VALU_DEP_1)
	v_cndmask_b32_e64 v0, v0, 0xffffff82, s13
	v_add3_u32 v25, v35, v0, v2
	v_and_b32_e32 v0, 0xfffff, v24
	s_delay_alu instid0(VALU_DEP_1) | instskip(NEXT) | instid1(VALU_DEP_1)
	v_dual_add_nc_u32 v24, 6, v25 :: v_dual_add_nc_u32 v2, v0, v22
                                        ; implicit-def: $vgpr22_vgpr23
                                        ; implicit-def: $vgpr0
	v_cmpx_ne_u32_e32 0, v24
	s_xor_b32 s14, exec_lo, s14
; %bb.10050:                            ;   in Loop: Header=BB6_9936 Depth=3
	s_delay_alu instid0(VALU_DEP_2) | instskip(SKIP_1) | instid1(VALU_DEP_2)
	v_cmp_lt_u64_e64 s13, 0xffffff, v[2:3]
	v_add_nc_u32_e32 v0, 7, v25
	v_cndmask_b32_e64 v22, 0, 1, s13
	s_delay_alu instid0(VALU_DEP_2) | instskip(NEXT) | instid1(VALU_DEP_2)
	v_cndmask_b32_e64 v0, v24, v0, s13
	v_lshrrev_b64 v[22:23], v22, v[2:3]
; %bb.10051:                            ;   in Loop: Header=BB6_9936 Depth=3
	s_and_not1_saveexec_b32 s13, s14
; %bb.10052:                            ;   in Loop: Header=BB6_9936 Depth=3
	v_mov_b64_e32 v[22:23], v[2:3]
	v_bfe_u32 v0, v2, 23, 1
; %bb.10053:                            ;   in Loop: Header=BB6_9936 Depth=3
	s_or_b32 exec_lo, exec_lo, s13
	s_delay_alu instid0(VALU_DEP_2) | instskip(NEXT) | instid1(VALU_DEP_2)
	v_lshrrev_b64 v[22:23], 20, v[22:23]
	v_cmp_gt_i32_e64 s13, 16, v0
	v_min_i32_e32 v2, 15, v0
	v_cmp_eq_u32_e64 s14, 0, v0
	s_delay_alu instid0(VALU_DEP_2) | instskip(SKIP_1) | instid1(VALU_DEP_2)
	v_dual_cndmask_b32 v23, 0, v23, s13 :: v_dual_lshlrev_b32 v2, 3, v2
	v_cndmask_b32_e64 v22, 7, v22, s13
	v_and_b32_e32 v2, 0xf8, v2
	s_delay_alu instid0(VALU_DEP_2) | instskip(NEXT) | instid1(VALU_DEP_2)
	v_cmp_eq_u64_e64 s13, 0, v[22:23]
	v_and_or_b32 v0, v22, 7, v2
	s_and_b32 s13, s14, s13
	s_delay_alu instid0(VALU_DEP_1) | instid1(SALU_CYCLE_1)
	v_cndmask_b32_e64 v0, v0, 0, s13
	s_delay_alu instid0(VALU_DEP_1)
	v_or_b32_e32 v35, v0, v26
.LBB6_10054:                            ;   in Loop: Header=BB6_9936 Depth=3
	s_or_b32 exec_lo, exec_lo, s76
                                        ; implicit-def: $vgpr26
.LBB6_10055:                            ;   in Loop: Header=BB6_9936 Depth=3
	s_and_not1_saveexec_b32 s13, s75
; %bb.10056:                            ;   in Loop: Header=BB6_9936 Depth=3
	v_or_b32_e32 v35, 0x7e, v26
; %bb.10057:                            ;   in Loop: Header=BB6_9936 Depth=3
	s_or_b32 exec_lo, exec_lo, s13
                                        ; implicit-def: $vgpr22
.LBB6_10058:                            ;   in Loop: Header=BB6_9936 Depth=3
	s_and_not1_saveexec_b32 s13, s15
; %bb.10059:                            ;   in Loop: Header=BB6_9936 Depth=3
	v_or_b32_e32 v35, 0x7f, v22
; %bb.10060:                            ;   in Loop: Header=BB6_9936 Depth=3
	s_or_b32 exec_lo, exec_lo, s13
	v_and_b32_e32 v0, 0xff, v13
	v_dual_mov_b32 v2, v13 :: v_dual_mov_b32 v24, 0
	s_mov_b32 s14, exec_lo
	s_delay_alu instid0(VALU_DEP_2)
	v_cmpx_ne_u16_e32 0, v0
	s_cbranch_execz .LBB6_10066
; %bb.10061:                            ;   in Loop: Header=BB6_9936 Depth=3
	v_bfrev_b32_e32 v24, 1
	s_mov_b32 s15, exec_lo
	v_cmpx_ne_u16_e32 0x80, v0
	s_cbranch_execz .LBB6_10065
; %bb.10062:                            ;   in Loop: Header=BB6_9936 Depth=3
	v_and_b32_e32 v0, 0x7f, v13
	v_mov_b32_e32 v24, 0x7f800001
	s_mov_b32 s75, exec_lo
	s_delay_alu instid0(VALU_DEP_2)
	v_cmpx_ne_u32_e32 0x7f, v0
	s_cbranch_execz .LBB6_10064
; %bb.10063:                            ;   in Loop: Header=BB6_9936 Depth=3
	v_dual_lshrrev_b32 v23, 3, v0 :: v_dual_bitop2_b32 v22, 7, v13 bitop3:0x40
	v_cmp_gt_u32_e64 s13, 8, v0
	s_delay_alu instid0(VALU_DEP_2) | instskip(NEXT) | instid1(VALU_DEP_1)
	v_clz_i32_u32_e32 v22, v22
	v_min_u32_e32 v22, 32, v22
	s_delay_alu instid0(VALU_DEP_1) | instskip(SKIP_1) | instid1(VALU_DEP_1)
	v_subrev_nc_u32_e32 v24, 28, v22
	v_sub_nc_u32_e32 v22, 29, v22
	v_dual_cndmask_b32 v0, v23, v22, s13 :: v_dual_cndmask_b32 v22, 0, v24, s13
	s_delay_alu instid0(VALU_DEP_1) | instskip(NEXT) | instid1(VALU_DEP_2)
	v_lshl_add_u32 v0, v0, 23, 0x3c000000
	v_lshlrev_b64_e32 v[22:23], v22, v[2:3]
	v_lshlrev_b32_e32 v23, 24, v2
	s_delay_alu instid0(VALU_DEP_1) | instskip(NEXT) | instid1(VALU_DEP_3)
	v_and_b32_e32 v23, 0x80000000, v23
	v_lshlrev_b32_e32 v22, 20, v22
	s_delay_alu instid0(VALU_DEP_1) | instskip(NEXT) | instid1(VALU_DEP_1)
	v_and_b32_e32 v22, 0x700000, v22
	v_or3_b32 v24, v22, v23, v0
.LBB6_10064:                            ;   in Loop: Header=BB6_9936 Depth=3
	s_or_b32 exec_lo, exec_lo, s75
.LBB6_10065:                            ;   in Loop: Header=BB6_9936 Depth=3
	s_delay_alu instid0(SALU_CYCLE_1)
	s_or_b32 exec_lo, exec_lo, s15
.LBB6_10066:                            ;   in Loop: Header=BB6_9936 Depth=3
	s_delay_alu instid0(SALU_CYCLE_1) | instskip(SKIP_4) | instid1(VALU_DEP_2)
	s_or_b32 exec_lo, exec_lo, s14
	v_and_b32_e32 v23, 0xff, v9
	v_mov_b32_e32 v22, v9
	s_mov_b32 s14, 0
	s_mov_b32 s15, exec_lo
	v_cmpx_lt_i16_e32 0x7f, v23
	s_xor_b32 s15, exec_lo, s15
	s_cbranch_execz .LBB6_10101
; %bb.10067:                            ;   in Loop: Header=BB6_9936 Depth=3
	s_mov_b32 s14, -1
	s_mov_b32 s75, exec_lo
	v_cmpx_eq_u16_e32 0x80, v23
; %bb.10068:                            ;   in Loop: Header=BB6_9936 Depth=3
	s_xor_b32 s14, exec_lo, -1
; %bb.10069:                            ;   in Loop: Header=BB6_9936 Depth=3
	s_or_b32 exec_lo, exec_lo, s75
	s_delay_alu instid0(SALU_CYCLE_1)
	s_and_b32 s14, s14, exec_lo
                                        ; implicit-def: $vgpr23
	s_or_saveexec_b32 s15, s15
	v_bfrev_b32_e32 v0, 1
	s_xor_b32 exec_lo, exec_lo, s15
	s_cbranch_execnz .LBB6_10102
.LBB6_10070:                            ;   in Loop: Header=BB6_9936 Depth=3
	s_or_b32 exec_lo, exec_lo, s15
	v_mov_b32_e32 v23, v3
	s_and_saveexec_b32 s15, s14
	s_cbranch_execz .LBB6_10072
.LBB6_10071:                            ;   in Loop: Header=BB6_9936 Depth=3
	v_and_b32_e32 v25, 0x7f, v9
	v_bfe_u32 v26, v9, 3, 4
	s_delay_alu instid0(VALU_DEP_2) | instskip(SKIP_1) | instid1(VALU_DEP_1)
	v_cmp_gt_u32_e64 s13, 8, v25
	v_and_b32_e32 v0, 7, v9
	v_clz_i32_u32_e32 v0, v0
	s_delay_alu instid0(VALU_DEP_1) | instskip(NEXT) | instid1(VALU_DEP_1)
	v_min_u32_e32 v0, 32, v0
	v_subrev_nc_u32_e32 v27, 28, v0
	v_sub_nc_u32_e32 v0, 29, v0
	s_delay_alu instid0(VALU_DEP_1) | instskip(SKIP_1) | instid1(VALU_DEP_2)
	v_dual_cndmask_b32 v0, v26, v0, s13 :: v_dual_cndmask_b32 v26, 0, v27, s13
	v_cmp_ne_u32_e64 s13, 0x7f, v25
	v_lshlrev_b64_e32 v[26:27], v26, v[22:23]
	v_lshlrev_b32_e32 v23, 24, v22
	s_delay_alu instid0(VALU_DEP_1) | instskip(NEXT) | instid1(VALU_DEP_3)
	v_and_b32_e32 v23, 0x80000000, v23
	v_lshlrev_b32_e32 v26, 20, v26
	v_lshl_add_u32 v0, v0, 23, 0x3c000000
	s_delay_alu instid0(VALU_DEP_2) | instskip(NEXT) | instid1(VALU_DEP_1)
	v_and_b32_e32 v26, 0x700000, v26
	v_or3_b32 v0, v26, v23, v0
	s_delay_alu instid0(VALU_DEP_1)
	v_cndmask_b32_e64 v0, 0x7f800001, v0, s13
.LBB6_10072:                            ;   in Loop: Header=BB6_9936 Depth=3
	s_or_b32 exec_lo, exec_lo, s15
	s_delay_alu instid0(VALU_DEP_1) | instskip(SKIP_1) | instid1(VALU_DEP_1)
	v_dual_add_f32 v0, v24, v0 :: v_dual_mov_b32 v25, v3
                                        ; implicit-def: $vgpr26
	s_mov_b32 s14, exec_lo
	v_and_b32_e32 v24, 0x7f800000, v0
	v_lshrrev_b32_e32 v23, 24, v0
	s_delay_alu instid0(VALU_DEP_2)
	v_cmpx_ne_u64_e32 0x7f800000, v[24:25]
	s_xor_b32 s15, exec_lo, s14
	s_cbranch_execz .LBB6_10086
; %bb.10073:                            ;   in Loop: Header=BB6_9936 Depth=3
	v_and_b32_e32 v24, 0x7fffffff, v0
	v_mov_b32_e32 v25, v3
	v_and_b32_e32 v23, 0x80, v23
                                        ; implicit-def: $vgpr26
	s_mov_b32 s14, exec_lo
	s_delay_alu instid0(VALU_DEP_2)
	v_cmpx_gt_u64_e32 0x43e00001, v[24:25]
	s_xor_b32 s75, exec_lo, s14
	s_cbranch_execz .LBB6_10083
; %bb.10074:                            ;   in Loop: Header=BB6_9936 Depth=3
	v_mov_b32_e32 v26, 0
	s_mov_b32 s76, exec_lo
	v_cmpx_ne_u32_e32 0, v0
	s_cbranch_execz .LBB6_10082
; %bb.10075:                            ;   in Loop: Header=BB6_9936 Depth=3
	v_bfe_u32 v36, v0, 23, 8
	v_and_b32_e32 v0, 0x7fffff, v0
	s_mov_b32 s77, exec_lo
	s_delay_alu instid0(VALU_DEP_2) | instskip(SKIP_1) | instid1(VALU_DEP_3)
	v_dual_mov_b32 v27, v3 :: v_dual_sub_nc_u32 v24, 0x79, v36
	v_cmp_gt_u32_e64 s13, 0x7a, v36
	v_or_b32_e32 v26, 0x800000, v0
	s_delay_alu instid0(VALU_DEP_2) | instskip(SKIP_1) | instid1(VALU_DEP_1)
	v_cndmask_b32_e64 v24, 0, v24, s13
	v_cmp_eq_u32_e64 s13, 0, v36
	v_cndmask_b32_e64 v37, v24, 0x78, s13
	s_delay_alu instid0(VALU_DEP_1) | instskip(SKIP_1) | instid1(VALU_DEP_2)
	v_dual_cndmask_b32 v26, v26, v0, s13 :: v_dual_add_nc_u32 v24, 20, v37
	v_add_nc_u32_e32 v38, 19, v37
	v_lshlrev_b64_e64 v[24:25], v24, -1
	s_delay_alu instid0(VALU_DEP_2) | instskip(NEXT) | instid1(VALU_DEP_2)
	v_lshlrev_b64_e64 v[38:39], v38, 1
	v_bfi_b32 v49, v25, 0, 0
	s_delay_alu instid0(VALU_DEP_3) | instskip(SKIP_1) | instid1(VALU_DEP_1)
	v_bfi_b32 v48, v24, 0, v26
	v_lshrrev_b64 v[24:25], v37, v[26:27]
	v_mov_b64_e32 v[26:27], v[24:25]
	s_delay_alu instid0(VALU_DEP_3)
	v_cmpx_eq_u64_e64 v[48:49], v[38:39]
; %bb.10076:                            ;   in Loop: Header=BB6_9936 Depth=3
	v_bfe_u32 v26, v24, 20, 1
	v_mov_b32_e32 v27, v3
	s_delay_alu instid0(VALU_DEP_1) | instskip(NEXT) | instid1(VALU_DEP_1)
	v_add_nc_u64_e32 v[26:27], v[24:25], v[26:27]
	v_add_nc_u64_e32 v[26:27], -1, v[26:27]
; %bb.10077:                            ;   in Loop: Header=BB6_9936 Depth=3
	s_or_b32 exec_lo, exec_lo, s77
	v_add_nc_u32_e32 v0, 0xffffff81, v36
	v_lshrrev_b32_e32 v25, 23, v24
	s_mov_b32 s14, exec_lo
	s_delay_alu instid0(VALU_DEP_2) | instskip(NEXT) | instid1(VALU_DEP_1)
	v_cndmask_b32_e64 v0, v0, 0xffffff82, s13
	v_add3_u32 v27, v37, v0, v25
	v_and_b32_e32 v0, 0xfffff, v26
	s_delay_alu instid0(VALU_DEP_2) | instskip(NEXT) | instid1(VALU_DEP_2)
	v_dual_mov_b32 v25, v3 :: v_dual_add_nc_u32 v26, 6, v27
	v_add_nc_u32_e32 v24, v0, v24
                                        ; implicit-def: $vgpr0
	s_delay_alu instid0(VALU_DEP_2)
	v_cmpx_ne_u32_e32 0, v26
	s_xor_b32 s14, exec_lo, s14
; %bb.10078:                            ;   in Loop: Header=BB6_9936 Depth=3
	s_delay_alu instid0(VALU_DEP_2) | instskip(SKIP_1) | instid1(VALU_DEP_1)
	v_cmp_lt_u64_e64 s13, 0xffffff, v[24:25]
	v_add_nc_u32_e32 v0, 7, v27
	v_cndmask_b32_e64 v0, v26, v0, s13
	v_cndmask_b32_e64 v26, 0, 1, s13
	s_delay_alu instid0(VALU_DEP_1)
	v_lshrrev_b64 v[24:25], v26, v[24:25]
; %bb.10079:                            ;   in Loop: Header=BB6_9936 Depth=3
	s_and_not1_saveexec_b32 s13, s14
; %bb.10080:                            ;   in Loop: Header=BB6_9936 Depth=3
	s_delay_alu instid0(VALU_DEP_1)
	v_bfe_u32 v0, v24, 23, 1
; %bb.10081:                            ;   in Loop: Header=BB6_9936 Depth=3
	s_or_b32 exec_lo, exec_lo, s13
	s_delay_alu instid0(VALU_DEP_2) | instskip(NEXT) | instid1(VALU_DEP_2)
	v_lshrrev_b64 v[24:25], 20, v[24:25]
	v_cmp_gt_i32_e64 s13, 16, v0
	v_min_i32_e32 v26, 15, v0
	v_cmp_eq_u32_e64 s14, 0, v0
	s_delay_alu instid0(VALU_DEP_2) | instskip(SKIP_1) | instid1(VALU_DEP_2)
	v_dual_cndmask_b32 v25, 0, v25, s13 :: v_dual_lshlrev_b32 v26, 3, v26
	v_cndmask_b32_e64 v24, 7, v24, s13
	v_and_b32_e32 v26, 0xf8, v26
	s_delay_alu instid0(VALU_DEP_2) | instskip(NEXT) | instid1(VALU_DEP_2)
	v_cmp_eq_u64_e64 s13, 0, v[24:25]
	v_and_or_b32 v0, v24, 7, v26
	s_and_b32 s13, s14, s13
	s_delay_alu instid0(VALU_DEP_1) | instid1(SALU_CYCLE_1)
	v_cndmask_b32_e64 v0, v0, 0, s13
	s_delay_alu instid0(VALU_DEP_1)
	v_or_b32_e32 v26, v0, v23
.LBB6_10082:                            ;   in Loop: Header=BB6_9936 Depth=3
	s_or_b32 exec_lo, exec_lo, s76
                                        ; implicit-def: $vgpr23
.LBB6_10083:                            ;   in Loop: Header=BB6_9936 Depth=3
	s_and_not1_saveexec_b32 s13, s75
; %bb.10084:                            ;   in Loop: Header=BB6_9936 Depth=3
	v_or_b32_e32 v26, 0x7e, v23
; %bb.10085:                            ;   in Loop: Header=BB6_9936 Depth=3
	s_or_b32 exec_lo, exec_lo, s13
                                        ; implicit-def: $vgpr23
.LBB6_10086:                            ;   in Loop: Header=BB6_9936 Depth=3
	s_and_not1_saveexec_b32 s13, s15
; %bb.10087:                            ;   in Loop: Header=BB6_9936 Depth=3
	v_or_b32_e32 v26, 0x7f, v23
; %bb.10088:                            ;   in Loop: Header=BB6_9936 Depth=3
	s_or_b32 exec_lo, exec_lo, s13
	v_lshrrev_b16 v0, 8, v2
	v_mov_b32_e32 v23, 0
	s_mov_b32 s14, exec_lo
	s_delay_alu instid0(VALU_DEP_2)
	v_cmpx_ne_u16_e32 0, v0
	s_cbranch_execz .LBB6_10096
; %bb.10089:                            ;   in Loop: Header=BB6_9936 Depth=3
	v_bfrev_b32_e32 v23, 1
	s_mov_b32 s15, exec_lo
	v_cmpx_ne_u16_e32 0x80, v0
	s_cbranch_execz .LBB6_10095
; %bb.10090:                            ;   in Loop: Header=BB6_9936 Depth=3
	v_and_b32_e32 v0, 0xffff, v0
	v_mov_b32_e32 v23, 0x7f800001
	s_mov_b32 s75, exec_lo
	s_delay_alu instid0(VALU_DEP_2) | instskip(NEXT) | instid1(VALU_DEP_1)
	v_and_b32_e32 v27, 0x7f, v0
	v_cmpx_ne_u32_e32 0x7f, v27
	s_cbranch_execz .LBB6_10094
; %bb.10091:                            ;   in Loop: Header=BB6_9936 Depth=3
	v_dual_mov_b32 v25, v3 :: v_dual_bitop2_b32 v24, 7, v0 bitop3:0x40
	v_lshrrev_b32_e32 v0, 3, v27
	s_mov_b32 s76, exec_lo
	v_cmpx_gt_u32_e32 8, v27
; %bb.10092:                            ;   in Loop: Header=BB6_9936 Depth=3
	s_delay_alu instid0(VALU_DEP_3) | instskip(NEXT) | instid1(VALU_DEP_1)
	v_clz_i32_u32_e32 v0, v24
	v_min_u32_e32 v0, 32, v0
	s_delay_alu instid0(VALU_DEP_1) | instskip(SKIP_1) | instid1(VALU_DEP_2)
	v_subrev_nc_u32_e32 v23, 28, v0
	v_sub_nc_u32_e32 v0, 29, v0
	v_lshlrev_b64_e32 v[24:25], v23, v[24:25]
	s_delay_alu instid0(VALU_DEP_1)
	v_and_b32_e32 v24, 7, v24
; %bb.10093:                            ;   in Loop: Header=BB6_9936 Depth=3
	s_or_b32 exec_lo, exec_lo, s76
	s_delay_alu instid0(VALU_DEP_1) | instskip(SKIP_1) | instid1(VALU_DEP_2)
	v_dual_lshlrev_b32 v2, 16, v2 :: v_dual_lshlrev_b32 v23, 20, v24
	v_lshl_add_u32 v0, v0, 23, 0x3c000000
	v_and_b32_e32 v2, 0x80000000, v2
	s_delay_alu instid0(VALU_DEP_1)
	v_or3_b32 v23, v23, v2, v0
.LBB6_10094:                            ;   in Loop: Header=BB6_9936 Depth=3
	s_or_b32 exec_lo, exec_lo, s75
.LBB6_10095:                            ;   in Loop: Header=BB6_9936 Depth=3
	s_delay_alu instid0(SALU_CYCLE_1)
	s_or_b32 exec_lo, exec_lo, s15
.LBB6_10096:                            ;   in Loop: Header=BB6_9936 Depth=3
	s_delay_alu instid0(SALU_CYCLE_1) | instskip(SKIP_3) | instid1(VALU_DEP_1)
	s_or_b32 exec_lo, exec_lo, s14
	v_lshrrev_b16 v22, 8, v22
	s_mov_b32 s15, 0
	s_mov_b32 s14, exec_lo
	v_cmpx_lt_i16_e32 0x7f, v22
	s_xor_b32 s14, exec_lo, s14
	s_cbranch_execz .LBB6_10103
; %bb.10097:                            ;   in Loop: Header=BB6_9936 Depth=3
	s_mov_b32 s15, -1
	s_mov_b32 s75, exec_lo
	v_cmpx_eq_u16_e32 0x80, v22
; %bb.10098:                            ;   in Loop: Header=BB6_9936 Depth=3
	s_xor_b32 s15, exec_lo, -1
; %bb.10099:                            ;   in Loop: Header=BB6_9936 Depth=3
	s_or_b32 exec_lo, exec_lo, s75
	s_delay_alu instid0(SALU_CYCLE_1)
	s_and_b32 s15, s15, exec_lo
	s_or_saveexec_b32 s14, s14
	v_bfrev_b32_e32 v0, 1
	s_xor_b32 exec_lo, exec_lo, s14
	s_cbranch_execnz .LBB6_10104
.LBB6_10100:                            ;   in Loop: Header=BB6_9936 Depth=3
	s_or_b32 exec_lo, exec_lo, s14
	s_and_saveexec_b32 s14, s15
	s_cbranch_execnz .LBB6_10105
	s_branch .LBB6_10108
.LBB6_10101:                            ;   in Loop: Header=BB6_9936 Depth=3
	s_or_saveexec_b32 s15, s15
	v_bfrev_b32_e32 v0, 1
	s_xor_b32 exec_lo, exec_lo, s15
	s_cbranch_execz .LBB6_10070
.LBB6_10102:                            ;   in Loop: Header=BB6_9936 Depth=3
	v_cmp_ne_u16_e64 s13, 0, v23
	v_mov_b32_e32 v0, 0
	s_and_not1_b32 s14, s14, exec_lo
	s_and_b32 s13, s13, exec_lo
	s_delay_alu instid0(SALU_CYCLE_1)
	s_or_b32 s14, s14, s13
	s_or_b32 exec_lo, exec_lo, s15
	v_mov_b32_e32 v23, v3
	s_and_saveexec_b32 s15, s14
	s_cbranch_execnz .LBB6_10071
	s_branch .LBB6_10072
.LBB6_10103:                            ;   in Loop: Header=BB6_9936 Depth=3
	s_or_saveexec_b32 s14, s14
	v_bfrev_b32_e32 v0, 1
	s_xor_b32 exec_lo, exec_lo, s14
	s_cbranch_execz .LBB6_10100
.LBB6_10104:                            ;   in Loop: Header=BB6_9936 Depth=3
	v_cmp_ne_u16_e64 s13, 0, v22
	v_mov_b32_e32 v0, 0
	s_and_not1_b32 s15, s15, exec_lo
	s_and_b32 s13, s13, exec_lo
	s_delay_alu instid0(SALU_CYCLE_1)
	s_or_b32 s15, s15, s13
	s_or_b32 exec_lo, exec_lo, s14
	s_and_saveexec_b32 s14, s15
	s_cbranch_execz .LBB6_10108
.LBB6_10105:                            ;   in Loop: Header=BB6_9936 Depth=3
	v_and_b32_e32 v2, 0xffff, v22
	v_mov_b32_e32 v0, 0x7f800001
	s_mov_b32 s15, exec_lo
	s_delay_alu instid0(VALU_DEP_2) | instskip(NEXT) | instid1(VALU_DEP_1)
	v_and_b32_e32 v24, 0x7f, v2
	v_cmpx_ne_u32_e32 0x7f, v24
	s_cbranch_execz .LBB6_10107
; %bb.10106:                            ;   in Loop: Header=BB6_9936 Depth=3
	v_and_b32_e32 v0, 7, v2
	v_cmp_gt_u32_e64 s13, 8, v24
	s_delay_alu instid0(VALU_DEP_2) | instskip(NEXT) | instid1(VALU_DEP_1)
	v_clz_i32_u32_e32 v25, v0
	v_min_u32_e32 v25, 32, v25
	s_delay_alu instid0(VALU_DEP_1) | instskip(NEXT) | instid1(VALU_DEP_1)
	v_subrev_nc_u32_e32 v27, 28, v25
	v_lshlrev_b64_e32 v[36:37], v27, v[2:3]
	v_dual_lshrrev_b32 v2, 3, v24 :: v_dual_sub_nc_u32 v25, 29, v25
	s_delay_alu instid0(VALU_DEP_2) | instskip(NEXT) | instid1(VALU_DEP_1)
	v_dual_lshlrev_b32 v22, 24, v22 :: v_dual_bitop2_b32 v24, 7, v36 bitop3:0x40
	v_dual_cndmask_b32 v2, v2, v25, s13 :: v_dual_cndmask_b32 v0, v0, v24, s13
	s_delay_alu instid0(VALU_DEP_2) | instskip(NEXT) | instid1(VALU_DEP_2)
	v_and_b32_e32 v22, 0x80000000, v22
	v_lshl_add_u32 v2, v2, 23, 0x3c000000
	s_delay_alu instid0(VALU_DEP_3) | instskip(NEXT) | instid1(VALU_DEP_1)
	v_lshlrev_b32_e32 v0, 20, v0
	v_or3_b32 v0, v0, v22, v2
.LBB6_10107:                            ;   in Loop: Header=BB6_9936 Depth=3
	s_or_b32 exec_lo, exec_lo, s15
.LBB6_10108:                            ;   in Loop: Header=BB6_9936 Depth=3
	s_delay_alu instid0(SALU_CYCLE_1) | instskip(NEXT) | instid1(VALU_DEP_1)
	s_or_b32 exec_lo, exec_lo, s14
	v_add_f32_e32 v0, v23, v0
                                        ; implicit-def: $vgpr27
	s_mov_b32 s14, exec_lo
	s_delay_alu instid0(VALU_DEP_1) | instskip(SKIP_1) | instid1(VALU_DEP_2)
	v_and_b32_e32 v2, 0x7f800000, v0
	v_lshrrev_b32_e32 v22, 24, v0
	v_cmpx_ne_u64_e32 0x7f800000, v[2:3]
	s_xor_b32 s15, exec_lo, s14
	s_cbranch_execz .LBB6_10122
; %bb.10109:                            ;   in Loop: Header=BB6_9936 Depth=3
	v_and_b32_e32 v2, 0x7fffffff, v0
	v_and_b32_e32 v36, 0x80, v22
                                        ; implicit-def: $vgpr27
	s_mov_b32 s14, exec_lo
	s_delay_alu instid0(VALU_DEP_2)
	v_cmpx_gt_u64_e32 0x43e00001, v[2:3]
	s_xor_b32 s75, exec_lo, s14
	s_cbranch_execz .LBB6_10119
; %bb.10110:                            ;   in Loop: Header=BB6_9936 Depth=3
	v_mov_b32_e32 v27, 0
	s_mov_b32 s76, exec_lo
	v_cmpx_ne_u32_e32 0, v0
	s_cbranch_execz .LBB6_10118
; %bb.10111:                            ;   in Loop: Header=BB6_9936 Depth=3
	v_bfe_u32 v27, v0, 23, 8
	v_and_b32_e32 v0, 0x7fffff, v0
	s_delay_alu instid0(VALU_DEP_2) | instskip(SKIP_1) | instid1(VALU_DEP_3)
	v_sub_nc_u32_e32 v2, 0x79, v27
	v_cmp_gt_u32_e64 s13, 0x7a, v27
	v_or_b32_e32 v24, 0x800000, v0
	s_delay_alu instid0(VALU_DEP_2) | instskip(SKIP_1) | instid1(VALU_DEP_1)
	v_cndmask_b32_e64 v2, 0, v2, s13
	v_cmp_eq_u32_e64 s13, 0, v27
	v_cndmask_b32_e64 v37, v2, 0x78, s13
	s_delay_alu instid0(VALU_DEP_1) | instskip(NEXT) | instid1(VALU_DEP_1)
	v_dual_add_nc_u32 v2, 20, v37 :: v_dual_add_nc_u32 v25, 19, v37
	v_lshlrev_b64_e64 v[22:23], v2, -1
	v_cndmask_b32_e64 v2, v24, v0, s13
	s_delay_alu instid0(VALU_DEP_3) | instskip(NEXT) | instid1(VALU_DEP_3)
	v_lshlrev_b64_e64 v[24:25], v25, 1
	v_bfi_b32 v39, v23, 0, 0
	s_delay_alu instid0(VALU_DEP_3) | instskip(SKIP_1) | instid1(VALU_DEP_2)
	v_bfi_b32 v38, v22, 0, v2
	v_lshrrev_b64 v[22:23], v37, v[2:3]
	v_cmp_eq_u64_e64 s14, v[38:39], v[24:25]
	s_delay_alu instid0(VALU_DEP_2)
	v_mov_b64_e32 v[24:25], v[22:23]
	s_and_saveexec_b32 s77, s14
; %bb.10112:                            ;   in Loop: Header=BB6_9936 Depth=3
	v_bfe_u32 v2, v22, 20, 1
	s_delay_alu instid0(VALU_DEP_1) | instskip(NEXT) | instid1(VALU_DEP_1)
	v_add_nc_u64_e32 v[24:25], v[22:23], v[2:3]
	v_add_nc_u64_e32 v[24:25], -1, v[24:25]
; %bb.10113:                            ;   in Loop: Header=BB6_9936 Depth=3
	s_or_b32 exec_lo, exec_lo, s77
	v_add_nc_u32_e32 v0, 0xffffff81, v27
	v_lshrrev_b32_e32 v2, 23, v22
	s_mov_b32 s14, exec_lo
	s_delay_alu instid0(VALU_DEP_2) | instskip(NEXT) | instid1(VALU_DEP_1)
	v_cndmask_b32_e64 v0, v0, 0xffffff82, s13
	v_add3_u32 v25, v37, v0, v2
	v_and_b32_e32 v0, 0xfffff, v24
	s_delay_alu instid0(VALU_DEP_1) | instskip(NEXT) | instid1(VALU_DEP_1)
	v_dual_add_nc_u32 v24, 6, v25 :: v_dual_add_nc_u32 v2, v0, v22
                                        ; implicit-def: $vgpr22_vgpr23
                                        ; implicit-def: $vgpr0
	v_cmpx_ne_u32_e32 0, v24
	s_xor_b32 s14, exec_lo, s14
; %bb.10114:                            ;   in Loop: Header=BB6_9936 Depth=3
	s_delay_alu instid0(VALU_DEP_2) | instskip(SKIP_1) | instid1(VALU_DEP_2)
	v_cmp_lt_u64_e64 s13, 0xffffff, v[2:3]
	v_add_nc_u32_e32 v0, 7, v25
	v_cndmask_b32_e64 v22, 0, 1, s13
	s_delay_alu instid0(VALU_DEP_2) | instskip(NEXT) | instid1(VALU_DEP_2)
	v_cndmask_b32_e64 v0, v24, v0, s13
	v_lshrrev_b64 v[22:23], v22, v[2:3]
; %bb.10115:                            ;   in Loop: Header=BB6_9936 Depth=3
	s_and_not1_saveexec_b32 s13, s14
; %bb.10116:                            ;   in Loop: Header=BB6_9936 Depth=3
	v_mov_b64_e32 v[22:23], v[2:3]
	v_bfe_u32 v0, v2, 23, 1
; %bb.10117:                            ;   in Loop: Header=BB6_9936 Depth=3
	s_or_b32 exec_lo, exec_lo, s13
	s_delay_alu instid0(VALU_DEP_2) | instskip(NEXT) | instid1(VALU_DEP_2)
	v_lshrrev_b64 v[22:23], 20, v[22:23]
	v_cmp_gt_i32_e64 s13, 16, v0
	v_min_i32_e32 v2, 15, v0
	v_cmp_eq_u32_e64 s14, 0, v0
	s_delay_alu instid0(VALU_DEP_2) | instskip(SKIP_1) | instid1(VALU_DEP_2)
	v_dual_cndmask_b32 v23, 0, v23, s13 :: v_dual_lshlrev_b32 v2, 3, v2
	v_cndmask_b32_e64 v22, 7, v22, s13
	v_and_b32_e32 v2, 0xf8, v2
	s_delay_alu instid0(VALU_DEP_2) | instskip(NEXT) | instid1(VALU_DEP_2)
	v_cmp_eq_u64_e64 s13, 0, v[22:23]
	v_and_or_b32 v0, v22, 7, v2
	s_and_b32 s13, s14, s13
	s_delay_alu instid0(VALU_DEP_1) | instid1(SALU_CYCLE_1)
	v_cndmask_b32_e64 v0, v0, 0, s13
	s_delay_alu instid0(VALU_DEP_1)
	v_or_b32_e32 v27, v0, v36
.LBB6_10118:                            ;   in Loop: Header=BB6_9936 Depth=3
	s_or_b32 exec_lo, exec_lo, s76
                                        ; implicit-def: $vgpr36
.LBB6_10119:                            ;   in Loop: Header=BB6_9936 Depth=3
	s_and_not1_saveexec_b32 s13, s75
; %bb.10120:                            ;   in Loop: Header=BB6_9936 Depth=3
	v_or_b32_e32 v27, 0x7e, v36
; %bb.10121:                            ;   in Loop: Header=BB6_9936 Depth=3
	s_or_b32 exec_lo, exec_lo, s13
                                        ; implicit-def: $vgpr22
.LBB6_10122:                            ;   in Loop: Header=BB6_9936 Depth=3
	s_and_not1_saveexec_b32 s13, s15
; %bb.10123:                            ;   in Loop: Header=BB6_9936 Depth=3
	v_or_b32_e32 v27, 0x7f, v22
; %bb.10124:                            ;   in Loop: Header=BB6_9936 Depth=3
	s_or_b32 exec_lo, exec_lo, s13
	v_dual_lshrrev_b32 v0, 16, v13 :: v_dual_mov_b32 v22, 0
	s_mov_b32 s14, exec_lo
	s_delay_alu instid0(VALU_DEP_1) | instskip(NEXT) | instid1(VALU_DEP_1)
	v_and_b32_e32 v2, 0xff, v0
	v_cmpx_ne_u16_e32 0, v2
	s_cbranch_execz .LBB6_10132
; %bb.10125:                            ;   in Loop: Header=BB6_9936 Depth=3
	v_bfrev_b32_e32 v22, 1
	s_mov_b32 s15, exec_lo
	v_cmpx_ne_u16_e32 0x80, v2
	s_cbranch_execz .LBB6_10131
; %bb.10126:                            ;   in Loop: Header=BB6_9936 Depth=3
	v_bfe_u32 v23, v13, 16, 7
	v_mov_b32_e32 v22, 0x7f800001
	s_mov_b32 s75, exec_lo
	s_delay_alu instid0(VALU_DEP_2)
	v_cmpx_ne_u32_e32 0x7f, v23
	s_cbranch_execz .LBB6_10130
; %bb.10127:                            ;   in Loop: Header=BB6_9936 Depth=3
	v_dual_lshrrev_b32 v24, 3, v23 :: v_dual_bitop2_b32 v2, 7, v0 bitop3:0x40
	v_cmp_gt_u32_e64 s13, 8, v23
	s_delay_alu instid0(VALU_DEP_2)
	v_mov_b64_e32 v[22:23], v[2:3]
	s_and_saveexec_b32 s76, s13
; %bb.10128:                            ;   in Loop: Header=BB6_9936 Depth=3
	v_clz_i32_u32_e32 v22, v2
	s_delay_alu instid0(VALU_DEP_1) | instskip(NEXT) | instid1(VALU_DEP_1)
	v_min_u32_e32 v24, 32, v22
	v_subrev_nc_u32_e32 v22, 28, v24
	s_delay_alu instid0(VALU_DEP_1) | instskip(NEXT) | instid1(VALU_DEP_1)
	v_lshlrev_b64_e32 v[22:23], v22, v[2:3]
	v_dual_sub_nc_u32 v24, 29, v24 :: v_dual_bitop2_b32 v22, 7, v22 bitop3:0x40
; %bb.10129:                            ;   in Loop: Header=BB6_9936 Depth=3
	s_or_b32 exec_lo, exec_lo, s76
	s_delay_alu instid0(VALU_DEP_1) | instskip(NEXT) | instid1(VALU_DEP_2)
	v_dual_lshlrev_b32 v0, 24, v0 :: v_dual_lshlrev_b32 v2, 20, v22
	v_lshl_add_u32 v22, v24, 23, 0x3c000000
	s_delay_alu instid0(VALU_DEP_2) | instskip(NEXT) | instid1(VALU_DEP_1)
	v_and_b32_e32 v0, 0x80000000, v0
	v_or3_b32 v22, v2, v0, v22
.LBB6_10130:                            ;   in Loop: Header=BB6_9936 Depth=3
	s_or_b32 exec_lo, exec_lo, s75
.LBB6_10131:                            ;   in Loop: Header=BB6_9936 Depth=3
	s_delay_alu instid0(SALU_CYCLE_1)
	s_or_b32 exec_lo, exec_lo, s15
.LBB6_10132:                            ;   in Loop: Header=BB6_9936 Depth=3
	s_delay_alu instid0(SALU_CYCLE_1) | instskip(SKIP_3) | instid1(VALU_DEP_1)
	s_or_b32 exec_lo, exec_lo, s14
	v_lshrrev_b32_e32 v2, 16, v9
	s_mov_b32 s15, 0
	s_mov_b32 s14, exec_lo
	v_and_b32_e32 v23, 0xff, v2
	s_delay_alu instid0(VALU_DEP_1)
	v_cmpx_lt_i16_e32 0x7f, v23
	s_xor_b32 s14, exec_lo, s14
	s_cbranch_execz .LBB6_10137
; %bb.10133:                            ;   in Loop: Header=BB6_9936 Depth=3
	s_mov_b32 s15, -1
	s_mov_b32 s75, exec_lo
	v_cmpx_eq_u16_e32 0x80, v23
; %bb.10134:                            ;   in Loop: Header=BB6_9936 Depth=3
	s_xor_b32 s15, exec_lo, -1
; %bb.10135:                            ;   in Loop: Header=BB6_9936 Depth=3
	s_or_b32 exec_lo, exec_lo, s75
	s_delay_alu instid0(SALU_CYCLE_1)
	s_and_b32 s15, s15, exec_lo
                                        ; implicit-def: $vgpr23
	s_or_saveexec_b32 s14, s14
	v_bfrev_b32_e32 v0, 1
	s_xor_b32 exec_lo, exec_lo, s14
	s_cbranch_execnz .LBB6_10138
.LBB6_10136:                            ;   in Loop: Header=BB6_9936 Depth=3
	s_or_b32 exec_lo, exec_lo, s14
	s_and_saveexec_b32 s14, s15
	s_cbranch_execnz .LBB6_10139
	s_branch .LBB6_10142
.LBB6_10137:                            ;   in Loop: Header=BB6_9936 Depth=3
	s_or_saveexec_b32 s14, s14
	v_bfrev_b32_e32 v0, 1
	s_xor_b32 exec_lo, exec_lo, s14
	s_cbranch_execz .LBB6_10136
.LBB6_10138:                            ;   in Loop: Header=BB6_9936 Depth=3
	v_cmp_ne_u16_e64 s13, 0, v23
	v_mov_b32_e32 v0, 0
	s_and_not1_b32 s15, s15, exec_lo
	s_and_b32 s13, s13, exec_lo
	s_delay_alu instid0(SALU_CYCLE_1)
	s_or_b32 s15, s15, s13
	s_or_b32 exec_lo, exec_lo, s14
	s_and_saveexec_b32 s14, s15
	s_cbranch_execz .LBB6_10142
.LBB6_10139:                            ;   in Loop: Header=BB6_9936 Depth=3
	v_and_b32_e32 v23, 0x7f, v2
	v_mov_b32_e32 v0, 0x7f800001
	s_mov_b32 s15, exec_lo
	s_delay_alu instid0(VALU_DEP_2)
	v_cmpx_ne_u32_e32 0x7f, v23
	s_cbranch_execz .LBB6_10141
; %bb.10140:                            ;   in Loop: Header=BB6_9936 Depth=3
	v_and_b32_e32 v0, 7, v2
	v_cmp_gt_u32_e64 s13, 8, v23
	s_delay_alu instid0(VALU_DEP_2) | instskip(NEXT) | instid1(VALU_DEP_1)
	v_clz_i32_u32_e32 v24, v0
	v_min_u32_e32 v36, 32, v24
	s_delay_alu instid0(VALU_DEP_1) | instskip(SKIP_1) | instid1(VALU_DEP_2)
	v_subrev_nc_u32_e32 v24, 28, v36
	v_sub_nc_u32_e32 v36, 29, v36
	v_lshlrev_b64_e32 v[24:25], v24, v[2:3]
	v_dual_lshrrev_b32 v25, 3, v23 :: v_dual_lshlrev_b32 v2, 24, v2
	s_delay_alu instid0(VALU_DEP_1) | instskip(NEXT) | instid1(VALU_DEP_3)
	v_and_b32_e32 v2, 0x80000000, v2
	v_and_b32_e32 v23, 7, v24
	s_delay_alu instid0(VALU_DEP_1) | instskip(NEXT) | instid1(VALU_DEP_1)
	v_dual_cndmask_b32 v24, v25, v36, s13 :: v_dual_cndmask_b32 v0, v0, v23, s13
	v_lshl_add_u32 v23, v24, 23, 0x3c000000
	s_delay_alu instid0(VALU_DEP_2) | instskip(NEXT) | instid1(VALU_DEP_1)
	v_lshlrev_b32_e32 v0, 20, v0
	v_or3_b32 v0, v0, v2, v23
.LBB6_10141:                            ;   in Loop: Header=BB6_9936 Depth=3
	s_or_b32 exec_lo, exec_lo, s15
.LBB6_10142:                            ;   in Loop: Header=BB6_9936 Depth=3
	s_delay_alu instid0(SALU_CYCLE_1) | instskip(NEXT) | instid1(VALU_DEP_1)
	s_or_b32 exec_lo, exec_lo, s14
	v_add_f32_e32 v0, v22, v0
                                        ; implicit-def: $vgpr24
	s_mov_b32 s14, exec_lo
	s_delay_alu instid0(VALU_DEP_1) | instskip(SKIP_1) | instid1(VALU_DEP_2)
	v_and_b32_e32 v2, 0x7f800000, v0
	v_lshrrev_b32_e32 v22, 24, v0
	v_cmpx_ne_u64_e32 0x7f800000, v[2:3]
	s_xor_b32 s15, exec_lo, s14
	s_cbranch_execz .LBB6_10156
; %bb.10143:                            ;   in Loop: Header=BB6_9936 Depth=3
	v_and_b32_e32 v2, 0x7fffffff, v0
	v_and_b32_e32 v36, 0x80, v22
                                        ; implicit-def: $vgpr24
	s_mov_b32 s14, exec_lo
	s_delay_alu instid0(VALU_DEP_2)
	v_cmpx_gt_u64_e32 0x43e00001, v[2:3]
	s_xor_b32 s75, exec_lo, s14
	s_cbranch_execz .LBB6_10153
; %bb.10144:                            ;   in Loop: Header=BB6_9936 Depth=3
	v_mov_b32_e32 v24, 0
	s_mov_b32 s76, exec_lo
	v_cmpx_ne_u32_e32 0, v0
	s_cbranch_execz .LBB6_10152
; %bb.10145:                            ;   in Loop: Header=BB6_9936 Depth=3
	v_bfe_u32 v37, v0, 23, 8
	v_and_b32_e32 v0, 0x7fffff, v0
	s_delay_alu instid0(VALU_DEP_2) | instskip(SKIP_1) | instid1(VALU_DEP_3)
	v_sub_nc_u32_e32 v2, 0x79, v37
	v_cmp_gt_u32_e64 s13, 0x7a, v37
	v_or_b32_e32 v24, 0x800000, v0
	s_delay_alu instid0(VALU_DEP_2) | instskip(SKIP_1) | instid1(VALU_DEP_1)
	v_cndmask_b32_e64 v2, 0, v2, s13
	v_cmp_eq_u32_e64 s13, 0, v37
	v_cndmask_b32_e64 v38, v2, 0x78, s13
	s_delay_alu instid0(VALU_DEP_1) | instskip(NEXT) | instid1(VALU_DEP_1)
	v_dual_add_nc_u32 v2, 20, v38 :: v_dual_add_nc_u32 v25, 19, v38
	v_lshlrev_b64_e64 v[22:23], v2, -1
	v_cndmask_b32_e64 v2, v24, v0, s13
	s_delay_alu instid0(VALU_DEP_3) | instskip(NEXT) | instid1(VALU_DEP_3)
	v_lshlrev_b64_e64 v[24:25], v25, 1
	v_bfi_b32 v49, v23, 0, 0
	s_delay_alu instid0(VALU_DEP_3) | instskip(SKIP_1) | instid1(VALU_DEP_2)
	v_bfi_b32 v48, v22, 0, v2
	v_lshrrev_b64 v[22:23], v38, v[2:3]
	v_cmp_eq_u64_e64 s14, v[48:49], v[24:25]
	s_delay_alu instid0(VALU_DEP_2)
	v_mov_b64_e32 v[24:25], v[22:23]
	s_and_saveexec_b32 s77, s14
; %bb.10146:                            ;   in Loop: Header=BB6_9936 Depth=3
	v_bfe_u32 v2, v22, 20, 1
	s_delay_alu instid0(VALU_DEP_1) | instskip(NEXT) | instid1(VALU_DEP_1)
	v_add_nc_u64_e32 v[24:25], v[22:23], v[2:3]
	v_add_nc_u64_e32 v[24:25], -1, v[24:25]
; %bb.10147:                            ;   in Loop: Header=BB6_9936 Depth=3
	s_or_b32 exec_lo, exec_lo, s77
	v_add_nc_u32_e32 v0, 0xffffff81, v37
	v_lshrrev_b32_e32 v2, 23, v22
	s_mov_b32 s14, exec_lo
	s_delay_alu instid0(VALU_DEP_2) | instskip(NEXT) | instid1(VALU_DEP_1)
	v_cndmask_b32_e64 v0, v0, 0xffffff82, s13
	v_add3_u32 v25, v38, v0, v2
	v_and_b32_e32 v0, 0xfffff, v24
	s_delay_alu instid0(VALU_DEP_1) | instskip(NEXT) | instid1(VALU_DEP_1)
	v_dual_add_nc_u32 v24, 6, v25 :: v_dual_add_nc_u32 v2, v0, v22
                                        ; implicit-def: $vgpr22_vgpr23
                                        ; implicit-def: $vgpr0
	v_cmpx_ne_u32_e32 0, v24
	s_xor_b32 s14, exec_lo, s14
; %bb.10148:                            ;   in Loop: Header=BB6_9936 Depth=3
	s_delay_alu instid0(VALU_DEP_2) | instskip(SKIP_1) | instid1(VALU_DEP_2)
	v_cmp_lt_u64_e64 s13, 0xffffff, v[2:3]
	v_add_nc_u32_e32 v0, 7, v25
	v_cndmask_b32_e64 v22, 0, 1, s13
	s_delay_alu instid0(VALU_DEP_2) | instskip(NEXT) | instid1(VALU_DEP_2)
	v_cndmask_b32_e64 v0, v24, v0, s13
	v_lshrrev_b64 v[22:23], v22, v[2:3]
; %bb.10149:                            ;   in Loop: Header=BB6_9936 Depth=3
	s_and_not1_saveexec_b32 s13, s14
; %bb.10150:                            ;   in Loop: Header=BB6_9936 Depth=3
	v_mov_b64_e32 v[22:23], v[2:3]
	v_bfe_u32 v0, v2, 23, 1
; %bb.10151:                            ;   in Loop: Header=BB6_9936 Depth=3
	s_or_b32 exec_lo, exec_lo, s13
	s_delay_alu instid0(VALU_DEP_2) | instskip(NEXT) | instid1(VALU_DEP_2)
	v_lshrrev_b64 v[22:23], 20, v[22:23]
	v_cmp_gt_i32_e64 s13, 16, v0
	v_min_i32_e32 v2, 15, v0
	v_cmp_eq_u32_e64 s14, 0, v0
	s_delay_alu instid0(VALU_DEP_2) | instskip(SKIP_1) | instid1(VALU_DEP_2)
	v_dual_cndmask_b32 v23, 0, v23, s13 :: v_dual_lshlrev_b32 v2, 3, v2
	v_cndmask_b32_e64 v22, 7, v22, s13
	v_and_b32_e32 v2, 0xf8, v2
	s_delay_alu instid0(VALU_DEP_2) | instskip(NEXT) | instid1(VALU_DEP_2)
	v_cmp_eq_u64_e64 s13, 0, v[22:23]
	v_and_or_b32 v0, v22, 7, v2
	s_and_b32 s13, s14, s13
	s_delay_alu instid0(VALU_DEP_1) | instid1(SALU_CYCLE_1)
	v_cndmask_b32_e64 v0, v0, 0, s13
	s_delay_alu instid0(VALU_DEP_1)
	v_or_b32_e32 v24, v0, v36
.LBB6_10152:                            ;   in Loop: Header=BB6_9936 Depth=3
	s_or_b32 exec_lo, exec_lo, s76
                                        ; implicit-def: $vgpr36
.LBB6_10153:                            ;   in Loop: Header=BB6_9936 Depth=3
	s_and_not1_saveexec_b32 s13, s75
; %bb.10154:                            ;   in Loop: Header=BB6_9936 Depth=3
	v_or_b32_e32 v24, 0x7e, v36
; %bb.10155:                            ;   in Loop: Header=BB6_9936 Depth=3
	s_or_b32 exec_lo, exec_lo, s13
                                        ; implicit-def: $vgpr22
.LBB6_10156:                            ;   in Loop: Header=BB6_9936 Depth=3
	s_and_not1_saveexec_b32 s13, s15
; %bb.10157:                            ;   in Loop: Header=BB6_9936 Depth=3
	v_or_b32_e32 v24, 0x7f, v22
; %bb.10158:                            ;   in Loop: Header=BB6_9936 Depth=3
	s_or_b32 exec_lo, exec_lo, s13
	v_cmp_lt_u64_e64 s13, s[22:23], v[12:13]
	v_mov_b32_e32 v12, 0
	s_and_saveexec_b32 s14, s13
	s_cbranch_execz .LBB6_10166
; %bb.10159:                            ;   in Loop: Header=BB6_9936 Depth=3
	v_lshrrev_b32_e32 v0, 24, v13
	v_bfrev_b32_e32 v12, 1
	s_mov_b32 s15, exec_lo
	s_delay_alu instid0(VALU_DEP_2)
	v_cmpx_ne_u32_e32 0x80, v0
	s_cbranch_execz .LBB6_10165
; %bb.10160:                            ;   in Loop: Header=BB6_9936 Depth=3
	v_bfe_u32 v13, v13, 24, 7
	v_mov_b32_e32 v12, 0x7f800001
	s_mov_b32 s75, exec_lo
	s_delay_alu instid0(VALU_DEP_2)
	v_cmpx_ne_u32_e32 0x7f, v13
	s_cbranch_execz .LBB6_10164
; %bb.10161:                            ;   in Loop: Header=BB6_9936 Depth=3
	v_dual_lshrrev_b32 v22, 3, v13 :: v_dual_bitop2_b32 v2, 7, v0 bitop3:0x40
	v_cmp_gt_u32_e64 s13, 8, v13
	s_delay_alu instid0(VALU_DEP_2)
	v_mov_b64_e32 v[12:13], v[2:3]
	s_and_saveexec_b32 s76, s13
; %bb.10162:                            ;   in Loop: Header=BB6_9936 Depth=3
	v_clz_i32_u32_e32 v12, v2
	s_delay_alu instid0(VALU_DEP_1) | instskip(NEXT) | instid1(VALU_DEP_1)
	v_min_u32_e32 v22, 32, v12
	v_subrev_nc_u32_e32 v12, 28, v22
	s_delay_alu instid0(VALU_DEP_1) | instskip(NEXT) | instid1(VALU_DEP_1)
	v_lshlrev_b64_e32 v[12:13], v12, v[2:3]
	v_dual_sub_nc_u32 v22, 29, v22 :: v_dual_bitop2_b32 v12, 7, v12 bitop3:0x40
; %bb.10163:                            ;   in Loop: Header=BB6_9936 Depth=3
	s_or_b32 exec_lo, exec_lo, s76
	v_lshlrev_b32_e32 v0, 24, v0
	s_delay_alu instid0(VALU_DEP_2) | instskip(NEXT) | instid1(VALU_DEP_3)
	v_lshlrev_b32_e32 v2, 20, v12
	v_lshl_add_u32 v12, v22, 23, 0x3c000000
	s_delay_alu instid0(VALU_DEP_3) | instskip(NEXT) | instid1(VALU_DEP_1)
	v_and_b32_e32 v0, 0x80000000, v0
	v_or3_b32 v12, v2, v0, v12
.LBB6_10164:                            ;   in Loop: Header=BB6_9936 Depth=3
	s_or_b32 exec_lo, exec_lo, s75
.LBB6_10165:                            ;   in Loop: Header=BB6_9936 Depth=3
	s_delay_alu instid0(SALU_CYCLE_1)
	s_or_b32 exec_lo, exec_lo, s15
.LBB6_10166:                            ;   in Loop: Header=BB6_9936 Depth=3
	s_delay_alu instid0(SALU_CYCLE_1) | instskip(SKIP_3) | instid1(VALU_DEP_3)
	s_or_b32 exec_lo, exec_lo, s14
	v_lshrrev_b32_e32 v2, 24, v9
	v_bfe_u32 v0, v9, 24, 7
	v_cmp_gt_u64_e64 s15, s[24:25], v[8:9]
	v_cmp_eq_u32_e64 s14, 0x80, v2
	s_delay_alu instid0(VALU_DEP_3) | instskip(NEXT) | instid1(VALU_DEP_2)
	v_cmp_eq_u32_e64 s13, 0x7f, v0
	v_cndmask_b32_e64 v13, 0x7f800001, v125, s14
	s_or_b32 s13, s14, s13
	s_delay_alu instid0(SALU_CYCLE_1) | instskip(NEXT) | instid1(VALU_DEP_1)
	s_nor_b32 s13, s15, s13
	v_cndmask_b32_e64 v8, v13, 0, s15
	s_and_saveexec_b32 s14, s13
	s_cbranch_execz .LBB6_10168
; %bb.10167:                            ;   in Loop: Header=BB6_9936 Depth=3
	v_and_b32_e32 v13, 7, v2
	v_cmp_gt_u32_e64 s13, 8, v0
	s_delay_alu instid0(VALU_DEP_2) | instskip(NEXT) | instid1(VALU_DEP_1)
	v_clz_i32_u32_e32 v8, v13
	v_min_u32_e32 v22, 32, v8
	s_delay_alu instid0(VALU_DEP_1) | instskip(NEXT) | instid1(VALU_DEP_1)
	v_subrev_nc_u32_e32 v8, 28, v22
	v_lshlrev_b64_e32 v[8:9], v8, v[2:3]
	v_dual_lshrrev_b32 v9, 3, v0 :: v_dual_sub_nc_u32 v22, 29, v22
	s_delay_alu instid0(VALU_DEP_2) | instskip(NEXT) | instid1(VALU_DEP_1)
	v_dual_lshlrev_b32 v2, 24, v2 :: v_dual_bitop2_b32 v0, 7, v8 bitop3:0x40
	v_cndmask_b32_e64 v0, v13, v0, s13
	s_delay_alu instid0(VALU_DEP_3) | instskip(NEXT) | instid1(VALU_DEP_3)
	v_cndmask_b32_e64 v8, v9, v22, s13
	v_and_b32_e32 v2, 0x80000000, v2
	s_delay_alu instid0(VALU_DEP_3) | instskip(NEXT) | instid1(VALU_DEP_3)
	v_lshlrev_b32_e32 v0, 20, v0
	v_lshl_add_u32 v8, v8, 23, 0x3c000000
	s_delay_alu instid0(VALU_DEP_1)
	v_or3_b32 v8, v0, v2, v8
.LBB6_10168:                            ;   in Loop: Header=BB6_9936 Depth=3
	s_or_b32 exec_lo, exec_lo, s14
	s_delay_alu instid0(VALU_DEP_1) | instskip(SKIP_1) | instid1(VALU_DEP_1)
	v_add_f32_e32 v0, v12, v8
                                        ; implicit-def: $vgpr25
	s_mov_b32 s14, exec_lo
	v_and_b32_e32 v2, 0x7f800000, v0
	v_lshrrev_b32_e32 v8, 24, v0
	s_delay_alu instid0(VALU_DEP_2)
	v_cmpx_ne_u64_e32 0x7f800000, v[2:3]
	s_xor_b32 s15, exec_lo, s14
	s_cbranch_execz .LBB6_10182
; %bb.10169:                            ;   in Loop: Header=BB6_9936 Depth=3
	v_and_b32_e32 v2, 0x7fffffff, v0
	v_and_b32_e32 v22, 0x80, v8
                                        ; implicit-def: $vgpr25
	s_mov_b32 s14, exec_lo
	s_delay_alu instid0(VALU_DEP_2)
	v_cmpx_gt_u64_e32 0x43e00001, v[2:3]
	s_xor_b32 s75, exec_lo, s14
	s_cbranch_execz .LBB6_10179
; %bb.10170:                            ;   in Loop: Header=BB6_9936 Depth=3
	v_mov_b32_e32 v25, 0
	s_mov_b32 s76, exec_lo
	v_cmpx_ne_u32_e32 0, v0
	s_cbranch_execz .LBB6_10178
; %bb.10171:                            ;   in Loop: Header=BB6_9936 Depth=3
	v_bfe_u32 v23, v0, 23, 8
	v_and_b32_e32 v0, 0x7fffff, v0
	s_delay_alu instid0(VALU_DEP_2) | instskip(SKIP_1) | instid1(VALU_DEP_3)
	v_sub_nc_u32_e32 v2, 0x79, v23
	v_cmp_gt_u32_e64 s13, 0x7a, v23
	v_or_b32_e32 v12, 0x800000, v0
	s_delay_alu instid0(VALU_DEP_2) | instskip(SKIP_1) | instid1(VALU_DEP_1)
	v_cndmask_b32_e64 v2, 0, v2, s13
	v_cmp_eq_u32_e64 s13, 0, v23
	v_cndmask_b32_e64 v25, v2, 0x78, s13
	s_delay_alu instid0(VALU_DEP_1) | instskip(NEXT) | instid1(VALU_DEP_1)
	v_dual_add_nc_u32 v2, 20, v25 :: v_dual_add_nc_u32 v13, 19, v25
	v_lshlrev_b64_e64 v[8:9], v2, -1
	v_cndmask_b32_e64 v2, v12, v0, s13
	s_delay_alu instid0(VALU_DEP_3) | instskip(NEXT) | instid1(VALU_DEP_3)
	v_lshlrev_b64_e64 v[12:13], v13, 1
	v_bfi_b32 v37, v9, 0, 0
	s_delay_alu instid0(VALU_DEP_3) | instskip(SKIP_1) | instid1(VALU_DEP_2)
	v_bfi_b32 v36, v8, 0, v2
	v_lshrrev_b64 v[8:9], v25, v[2:3]
	v_cmp_eq_u64_e64 s14, v[36:37], v[12:13]
	s_delay_alu instid0(VALU_DEP_2)
	v_mov_b64_e32 v[12:13], v[8:9]
	s_and_saveexec_b32 s77, s14
; %bb.10172:                            ;   in Loop: Header=BB6_9936 Depth=3
	v_bfe_u32 v2, v8, 20, 1
	s_delay_alu instid0(VALU_DEP_1) | instskip(NEXT) | instid1(VALU_DEP_1)
	v_add_nc_u64_e32 v[12:13], v[8:9], v[2:3]
	v_add_nc_u64_e32 v[12:13], -1, v[12:13]
; %bb.10173:                            ;   in Loop: Header=BB6_9936 Depth=3
	s_or_b32 exec_lo, exec_lo, s77
	v_add_nc_u32_e32 v0, 0xffffff81, v23
	v_lshrrev_b32_e32 v2, 23, v8
	s_mov_b32 s14, exec_lo
	s_delay_alu instid0(VALU_DEP_2) | instskip(NEXT) | instid1(VALU_DEP_1)
	v_cndmask_b32_e64 v0, v0, 0xffffff82, s13
	v_add3_u32 v13, v25, v0, v2
	v_and_b32_e32 v0, 0xfffff, v12
	s_delay_alu instid0(VALU_DEP_1) | instskip(NEXT) | instid1(VALU_DEP_1)
	v_dual_add_nc_u32 v12, 6, v13 :: v_dual_add_nc_u32 v2, v0, v8
                                        ; implicit-def: $vgpr8_vgpr9
                                        ; implicit-def: $vgpr0
	v_cmpx_ne_u32_e32 0, v12
	s_xor_b32 s14, exec_lo, s14
; %bb.10174:                            ;   in Loop: Header=BB6_9936 Depth=3
	s_delay_alu instid0(VALU_DEP_2) | instskip(SKIP_1) | instid1(VALU_DEP_2)
	v_cmp_lt_u64_e64 s13, 0xffffff, v[2:3]
	v_add_nc_u32_e32 v0, 7, v13
	v_cndmask_b32_e64 v8, 0, 1, s13
	s_delay_alu instid0(VALU_DEP_2) | instskip(NEXT) | instid1(VALU_DEP_2)
	v_cndmask_b32_e64 v0, v12, v0, s13
	v_lshrrev_b64 v[8:9], v8, v[2:3]
; %bb.10175:                            ;   in Loop: Header=BB6_9936 Depth=3
	s_and_not1_saveexec_b32 s13, s14
; %bb.10176:                            ;   in Loop: Header=BB6_9936 Depth=3
	v_mov_b64_e32 v[8:9], v[2:3]
	v_bfe_u32 v0, v2, 23, 1
; %bb.10177:                            ;   in Loop: Header=BB6_9936 Depth=3
	s_or_b32 exec_lo, exec_lo, s13
	s_delay_alu instid0(VALU_DEP_2) | instskip(NEXT) | instid1(VALU_DEP_2)
	v_lshrrev_b64 v[8:9], 20, v[8:9]
	v_cmp_gt_i32_e64 s13, 16, v0
	v_min_i32_e32 v2, 15, v0
	v_cmp_eq_u32_e64 s14, 0, v0
	s_delay_alu instid0(VALU_DEP_2) | instskip(SKIP_1) | instid1(VALU_DEP_2)
	v_dual_cndmask_b32 v9, 0, v9, s13 :: v_dual_lshlrev_b32 v2, 3, v2
	v_cndmask_b32_e64 v8, 7, v8, s13
	v_and_b32_e32 v2, 0xf8, v2
	s_delay_alu instid0(VALU_DEP_2) | instskip(NEXT) | instid1(VALU_DEP_2)
	v_cmp_eq_u64_e64 s13, 0, v[8:9]
	v_and_or_b32 v0, v8, 7, v2
	s_and_b32 s13, s14, s13
	s_delay_alu instid0(VALU_DEP_1) | instid1(SALU_CYCLE_1)
	v_cndmask_b32_e64 v0, v0, 0, s13
	s_delay_alu instid0(VALU_DEP_1)
	v_or_b32_e32 v25, v0, v22
.LBB6_10178:                            ;   in Loop: Header=BB6_9936 Depth=3
	s_or_b32 exec_lo, exec_lo, s76
                                        ; implicit-def: $vgpr22
.LBB6_10179:                            ;   in Loop: Header=BB6_9936 Depth=3
	s_and_not1_saveexec_b32 s13, s75
; %bb.10180:                            ;   in Loop: Header=BB6_9936 Depth=3
	v_or_b32_e32 v25, 0x7e, v22
; %bb.10181:                            ;   in Loop: Header=BB6_9936 Depth=3
	s_or_b32 exec_lo, exec_lo, s13
                                        ; implicit-def: $vgpr8
.LBB6_10182:                            ;   in Loop: Header=BB6_9936 Depth=3
	s_and_not1_saveexec_b32 s13, s15
; %bb.10183:                            ;   in Loop: Header=BB6_9936 Depth=3
	v_or_b32_e32 v25, 0x7f, v8
; %bb.10184:                            ;   in Loop: Header=BB6_9936 Depth=3
	s_or_b32 exec_lo, exec_lo, s13
	v_and_b32_e32 v0, 0xff, v14
	v_mov_b32_e32 v2, 0
	s_mov_b32 s14, exec_lo
	s_delay_alu instid0(VALU_DEP_2)
	v_cmpx_ne_u16_e32 0, v0
	s_cbranch_execz .LBB6_10190
; %bb.10185:                            ;   in Loop: Header=BB6_9936 Depth=3
	v_bfrev_b32_e32 v2, 1
	s_mov_b32 s15, exec_lo
	v_cmpx_ne_u16_e32 0x80, v0
	s_cbranch_execz .LBB6_10189
; %bb.10186:                            ;   in Loop: Header=BB6_9936 Depth=3
	v_and_b32_e32 v0, 0x7f, v14
	v_mov_b32_e32 v2, 0x7f800001
	s_mov_b32 s75, exec_lo
	s_delay_alu instid0(VALU_DEP_2)
	v_cmpx_ne_u32_e32 0x7f, v0
	s_cbranch_execz .LBB6_10188
; %bb.10187:                            ;   in Loop: Header=BB6_9936 Depth=3
	v_dual_lshrrev_b32 v8, 3, v0 :: v_dual_bitop2_b32 v2, 7, v14 bitop3:0x40
	v_cmp_gt_u32_e64 s13, 8, v0
	s_delay_alu instid0(VALU_DEP_2) | instskip(NEXT) | instid1(VALU_DEP_1)
	v_clz_i32_u32_e32 v2, v2
	v_min_u32_e32 v2, 32, v2
	s_delay_alu instid0(VALU_DEP_1) | instskip(SKIP_1) | instid1(VALU_DEP_1)
	v_subrev_nc_u32_e32 v9, 28, v2
	v_sub_nc_u32_e32 v2, 29, v2
	v_dual_cndmask_b32 v0, v8, v2, s13 :: v_dual_cndmask_b32 v2, 0, v9, s13
	s_delay_alu instid0(VALU_DEP_1) | instskip(NEXT) | instid1(VALU_DEP_2)
	v_lshl_add_u32 v0, v0, 23, 0x3c000000
	v_lshlrev_b64_e32 v[8:9], v2, v[14:15]
	v_lshlrev_b32_e32 v2, 24, v14
	s_delay_alu instid0(VALU_DEP_1) | instskip(NEXT) | instid1(VALU_DEP_3)
	v_and_b32_e32 v2, 0x80000000, v2
	v_lshlrev_b32_e32 v8, 20, v8
	s_delay_alu instid0(VALU_DEP_1) | instskip(NEXT) | instid1(VALU_DEP_1)
	v_and_b32_e32 v8, 0x700000, v8
	v_or3_b32 v2, v8, v2, v0
.LBB6_10188:                            ;   in Loop: Header=BB6_9936 Depth=3
	s_or_b32 exec_lo, exec_lo, s75
.LBB6_10189:                            ;   in Loop: Header=BB6_9936 Depth=3
	s_delay_alu instid0(SALU_CYCLE_1)
	s_or_b32 exec_lo, exec_lo, s15
.LBB6_10190:                            ;   in Loop: Header=BB6_9936 Depth=3
	s_delay_alu instid0(SALU_CYCLE_1) | instskip(SKIP_3) | instid1(VALU_DEP_1)
	s_or_b32 exec_lo, exec_lo, s14
	v_and_b32_e32 v8, 0xff, v10
	s_mov_b32 s14, 0
	s_mov_b32 s15, exec_lo
	v_cmpx_lt_i16_e32 0x7f, v8
	s_xor_b32 s15, exec_lo, s15
	s_cbranch_execz .LBB6_10225
; %bb.10191:                            ;   in Loop: Header=BB6_9936 Depth=3
	s_mov_b32 s14, -1
	s_mov_b32 s75, exec_lo
	v_cmpx_eq_u16_e32 0x80, v8
; %bb.10192:                            ;   in Loop: Header=BB6_9936 Depth=3
	s_xor_b32 s14, exec_lo, -1
; %bb.10193:                            ;   in Loop: Header=BB6_9936 Depth=3
	s_or_b32 exec_lo, exec_lo, s75
	s_delay_alu instid0(SALU_CYCLE_1)
	s_and_b32 s14, s14, exec_lo
                                        ; implicit-def: $vgpr8
	s_or_saveexec_b32 s15, s15
	v_bfrev_b32_e32 v0, 1
	s_xor_b32 exec_lo, exec_lo, s15
	s_cbranch_execnz .LBB6_10226
.LBB6_10194:                            ;   in Loop: Header=BB6_9936 Depth=3
	s_or_b32 exec_lo, exec_lo, s15
	s_and_saveexec_b32 s15, s14
	s_cbranch_execz .LBB6_10196
.LBB6_10195:                            ;   in Loop: Header=BB6_9936 Depth=3
	v_and_b32_e32 v12, 0x7f, v10
	v_bfe_u32 v8, v10, 3, 4
	s_delay_alu instid0(VALU_DEP_2) | instskip(SKIP_1) | instid1(VALU_DEP_1)
	v_cmp_gt_u32_e64 s13, 8, v12
	v_and_b32_e32 v0, 7, v10
	v_clz_i32_u32_e32 v0, v0
	s_delay_alu instid0(VALU_DEP_1) | instskip(NEXT) | instid1(VALU_DEP_1)
	v_min_u32_e32 v0, 32, v0
	v_subrev_nc_u32_e32 v9, 28, v0
	v_sub_nc_u32_e32 v0, 29, v0
	s_delay_alu instid0(VALU_DEP_1) | instskip(SKIP_1) | instid1(VALU_DEP_2)
	v_dual_cndmask_b32 v0, v8, v0, s13 :: v_dual_cndmask_b32 v8, 0, v9, s13
	v_cmp_ne_u32_e64 s13, 0x7f, v12
	v_lshl_add_u32 v0, v0, 23, 0x3c000000
	s_delay_alu instid0(VALU_DEP_3) | instskip(SKIP_1) | instid1(VALU_DEP_1)
	v_lshlrev_b64_e32 v[8:9], v8, v[10:11]
	v_lshlrev_b32_e32 v9, 24, v10
	v_and_b32_e32 v9, 0x80000000, v9
	s_delay_alu instid0(VALU_DEP_3) | instskip(NEXT) | instid1(VALU_DEP_1)
	v_lshlrev_b32_e32 v8, 20, v8
	v_and_b32_e32 v8, 0x700000, v8
	s_delay_alu instid0(VALU_DEP_1) | instskip(NEXT) | instid1(VALU_DEP_1)
	v_or3_b32 v0, v8, v9, v0
	v_cndmask_b32_e64 v0, 0x7f800001, v0, s13
.LBB6_10196:                            ;   in Loop: Header=BB6_9936 Depth=3
	s_or_b32 exec_lo, exec_lo, s15
	s_delay_alu instid0(VALU_DEP_1) | instskip(SKIP_1) | instid1(VALU_DEP_1)
	v_add_f32_e32 v0, v2, v0
                                        ; implicit-def: $vgpr36
	s_mov_b32 s14, exec_lo
	v_and_b32_e32 v2, 0x7f800000, v0
	v_lshrrev_b32_e32 v8, 24, v0
	s_delay_alu instid0(VALU_DEP_2)
	v_cmpx_ne_u64_e32 0x7f800000, v[2:3]
	s_xor_b32 s15, exec_lo, s14
	s_cbranch_execz .LBB6_10210
; %bb.10197:                            ;   in Loop: Header=BB6_9936 Depth=3
	v_and_b32_e32 v2, 0x7fffffff, v0
	v_and_b32_e32 v22, 0x80, v8
                                        ; implicit-def: $vgpr36
	s_mov_b32 s14, exec_lo
	s_delay_alu instid0(VALU_DEP_2)
	v_cmpx_gt_u64_e32 0x43e00001, v[2:3]
	s_xor_b32 s75, exec_lo, s14
	s_cbranch_execz .LBB6_10207
; %bb.10198:                            ;   in Loop: Header=BB6_9936 Depth=3
	v_mov_b32_e32 v36, 0
	s_mov_b32 s76, exec_lo
	v_cmpx_ne_u32_e32 0, v0
	s_cbranch_execz .LBB6_10206
; %bb.10199:                            ;   in Loop: Header=BB6_9936 Depth=3
	v_bfe_u32 v23, v0, 23, 8
	v_and_b32_e32 v0, 0x7fffff, v0
	s_delay_alu instid0(VALU_DEP_2) | instskip(SKIP_1) | instid1(VALU_DEP_3)
	v_sub_nc_u32_e32 v2, 0x79, v23
	v_cmp_gt_u32_e64 s13, 0x7a, v23
	v_or_b32_e32 v12, 0x800000, v0
	s_delay_alu instid0(VALU_DEP_2) | instskip(SKIP_1) | instid1(VALU_DEP_1)
	v_cndmask_b32_e64 v2, 0, v2, s13
	v_cmp_eq_u32_e64 s13, 0, v23
	v_cndmask_b32_e64 v36, v2, 0x78, s13
	s_delay_alu instid0(VALU_DEP_1) | instskip(NEXT) | instid1(VALU_DEP_1)
	v_dual_add_nc_u32 v2, 20, v36 :: v_dual_add_nc_u32 v13, 19, v36
	v_lshlrev_b64_e64 v[8:9], v2, -1
	v_cndmask_b32_e64 v2, v12, v0, s13
	s_delay_alu instid0(VALU_DEP_3) | instskip(NEXT) | instid1(VALU_DEP_3)
	v_lshlrev_b64_e64 v[12:13], v13, 1
	v_bfi_b32 v39, v9, 0, 0
	s_delay_alu instid0(VALU_DEP_3) | instskip(SKIP_1) | instid1(VALU_DEP_2)
	v_bfi_b32 v38, v8, 0, v2
	v_lshrrev_b64 v[8:9], v36, v[2:3]
	v_cmp_eq_u64_e64 s14, v[38:39], v[12:13]
	s_delay_alu instid0(VALU_DEP_2)
	v_mov_b64_e32 v[12:13], v[8:9]
	s_and_saveexec_b32 s77, s14
; %bb.10200:                            ;   in Loop: Header=BB6_9936 Depth=3
	v_bfe_u32 v2, v8, 20, 1
	s_delay_alu instid0(VALU_DEP_1) | instskip(NEXT) | instid1(VALU_DEP_1)
	v_add_nc_u64_e32 v[12:13], v[8:9], v[2:3]
	v_add_nc_u64_e32 v[12:13], -1, v[12:13]
; %bb.10201:                            ;   in Loop: Header=BB6_9936 Depth=3
	s_or_b32 exec_lo, exec_lo, s77
	v_add_nc_u32_e32 v0, 0xffffff81, v23
	v_lshrrev_b32_e32 v2, 23, v8
	s_mov_b32 s14, exec_lo
	s_delay_alu instid0(VALU_DEP_2) | instskip(NEXT) | instid1(VALU_DEP_1)
	v_cndmask_b32_e64 v0, v0, 0xffffff82, s13
	v_add3_u32 v13, v36, v0, v2
	v_and_b32_e32 v0, 0xfffff, v12
	s_delay_alu instid0(VALU_DEP_1) | instskip(NEXT) | instid1(VALU_DEP_1)
	v_dual_add_nc_u32 v12, 6, v13 :: v_dual_add_nc_u32 v2, v0, v8
                                        ; implicit-def: $vgpr8_vgpr9
                                        ; implicit-def: $vgpr0
	v_cmpx_ne_u32_e32 0, v12
	s_xor_b32 s14, exec_lo, s14
; %bb.10202:                            ;   in Loop: Header=BB6_9936 Depth=3
	s_delay_alu instid0(VALU_DEP_2) | instskip(SKIP_1) | instid1(VALU_DEP_2)
	v_cmp_lt_u64_e64 s13, 0xffffff, v[2:3]
	v_add_nc_u32_e32 v0, 7, v13
	v_cndmask_b32_e64 v8, 0, 1, s13
	s_delay_alu instid0(VALU_DEP_2) | instskip(NEXT) | instid1(VALU_DEP_2)
	v_cndmask_b32_e64 v0, v12, v0, s13
	v_lshrrev_b64 v[8:9], v8, v[2:3]
; %bb.10203:                            ;   in Loop: Header=BB6_9936 Depth=3
	s_and_not1_saveexec_b32 s13, s14
; %bb.10204:                            ;   in Loop: Header=BB6_9936 Depth=3
	v_mov_b64_e32 v[8:9], v[2:3]
	v_bfe_u32 v0, v2, 23, 1
; %bb.10205:                            ;   in Loop: Header=BB6_9936 Depth=3
	s_or_b32 exec_lo, exec_lo, s13
	s_delay_alu instid0(VALU_DEP_2) | instskip(NEXT) | instid1(VALU_DEP_2)
	v_lshrrev_b64 v[8:9], 20, v[8:9]
	v_cmp_gt_i32_e64 s13, 16, v0
	v_min_i32_e32 v2, 15, v0
	v_cmp_eq_u32_e64 s14, 0, v0
	s_delay_alu instid0(VALU_DEP_2) | instskip(SKIP_1) | instid1(VALU_DEP_2)
	v_dual_cndmask_b32 v9, 0, v9, s13 :: v_dual_lshlrev_b32 v2, 3, v2
	v_cndmask_b32_e64 v8, 7, v8, s13
	v_and_b32_e32 v2, 0xf8, v2
	s_delay_alu instid0(VALU_DEP_2) | instskip(NEXT) | instid1(VALU_DEP_2)
	v_cmp_eq_u64_e64 s13, 0, v[8:9]
	v_and_or_b32 v0, v8, 7, v2
	s_and_b32 s13, s14, s13
	s_delay_alu instid0(VALU_DEP_1) | instid1(SALU_CYCLE_1)
	v_cndmask_b32_e64 v0, v0, 0, s13
	s_delay_alu instid0(VALU_DEP_1)
	v_or_b32_e32 v36, v0, v22
.LBB6_10206:                            ;   in Loop: Header=BB6_9936 Depth=3
	s_or_b32 exec_lo, exec_lo, s76
                                        ; implicit-def: $vgpr22
.LBB6_10207:                            ;   in Loop: Header=BB6_9936 Depth=3
	s_and_not1_saveexec_b32 s13, s75
; %bb.10208:                            ;   in Loop: Header=BB6_9936 Depth=3
	v_or_b32_e32 v36, 0x7e, v22
; %bb.10209:                            ;   in Loop: Header=BB6_9936 Depth=3
	s_or_b32 exec_lo, exec_lo, s13
                                        ; implicit-def: $vgpr8
.LBB6_10210:                            ;   in Loop: Header=BB6_9936 Depth=3
	s_and_not1_saveexec_b32 s13, s15
; %bb.10211:                            ;   in Loop: Header=BB6_9936 Depth=3
	v_or_b32_e32 v36, 0x7f, v8
; %bb.10212:                            ;   in Loop: Header=BB6_9936 Depth=3
	s_or_b32 exec_lo, exec_lo, s13
	v_lshrrev_b16 v0, 8, v14
	v_mov_b32_e32 v8, 0
	s_mov_b32 s14, exec_lo
	s_delay_alu instid0(VALU_DEP_2)
	v_cmpx_ne_u16_e32 0, v0
	s_cbranch_execz .LBB6_10220
; %bb.10213:                            ;   in Loop: Header=BB6_9936 Depth=3
	v_bfrev_b32_e32 v8, 1
	s_mov_b32 s15, exec_lo
	v_cmpx_ne_u16_e32 0x80, v0
	s_cbranch_execz .LBB6_10219
; %bb.10214:                            ;   in Loop: Header=BB6_9936 Depth=3
	v_and_b32_e32 v0, 0xffff, v0
	v_mov_b32_e32 v8, 0x7f800001
	s_mov_b32 s75, exec_lo
	s_delay_alu instid0(VALU_DEP_2) | instskip(NEXT) | instid1(VALU_DEP_1)
	v_and_b32_e32 v9, 0x7f, v0
	v_cmpx_ne_u32_e32 0x7f, v9
	s_cbranch_execz .LBB6_10218
; %bb.10215:                            ;   in Loop: Header=BB6_9936 Depth=3
	v_dual_lshrrev_b32 v0, 3, v9 :: v_dual_bitop2_b32 v2, 7, v0 bitop3:0x40
	v_cmp_gt_u32_e64 s13, 8, v9
	s_delay_alu instid0(VALU_DEP_2)
	v_mov_b64_e32 v[8:9], v[2:3]
	s_and_saveexec_b32 s76, s13
; %bb.10216:                            ;   in Loop: Header=BB6_9936 Depth=3
	v_clz_i32_u32_e32 v0, v2
	s_delay_alu instid0(VALU_DEP_1) | instskip(NEXT) | instid1(VALU_DEP_1)
	v_min_u32_e32 v0, 32, v0
	v_subrev_nc_u32_e32 v8, 28, v0
	v_sub_nc_u32_e32 v0, 29, v0
	s_delay_alu instid0(VALU_DEP_2) | instskip(NEXT) | instid1(VALU_DEP_1)
	v_lshlrev_b64_e32 v[8:9], v8, v[2:3]
	v_and_b32_e32 v8, 7, v8
; %bb.10217:                            ;   in Loop: Header=BB6_9936 Depth=3
	s_or_b32 exec_lo, exec_lo, s76
	s_delay_alu instid0(VALU_DEP_1) | instskip(SKIP_1) | instid1(VALU_DEP_2)
	v_dual_lshlrev_b32 v2, 16, v14 :: v_dual_lshlrev_b32 v8, 20, v8
	v_lshl_add_u32 v0, v0, 23, 0x3c000000
	v_and_b32_e32 v2, 0x80000000, v2
	s_delay_alu instid0(VALU_DEP_1)
	v_or3_b32 v8, v8, v2, v0
.LBB6_10218:                            ;   in Loop: Header=BB6_9936 Depth=3
	s_or_b32 exec_lo, exec_lo, s75
.LBB6_10219:                            ;   in Loop: Header=BB6_9936 Depth=3
	s_delay_alu instid0(SALU_CYCLE_1)
	s_or_b32 exec_lo, exec_lo, s15
.LBB6_10220:                            ;   in Loop: Header=BB6_9936 Depth=3
	s_delay_alu instid0(SALU_CYCLE_1) | instskip(SKIP_3) | instid1(VALU_DEP_1)
	s_or_b32 exec_lo, exec_lo, s14
	v_lshrrev_b16 v9, 8, v10
	s_mov_b32 s15, 0
	s_mov_b32 s14, exec_lo
	v_cmpx_lt_i16_e32 0x7f, v9
	s_xor_b32 s14, exec_lo, s14
	s_cbranch_execz .LBB6_10227
; %bb.10221:                            ;   in Loop: Header=BB6_9936 Depth=3
	s_mov_b32 s15, -1
	s_mov_b32 s75, exec_lo
	v_cmpx_eq_u16_e32 0x80, v9
; %bb.10222:                            ;   in Loop: Header=BB6_9936 Depth=3
	s_xor_b32 s15, exec_lo, -1
; %bb.10223:                            ;   in Loop: Header=BB6_9936 Depth=3
	s_or_b32 exec_lo, exec_lo, s75
	s_delay_alu instid0(SALU_CYCLE_1)
	s_and_b32 s15, s15, exec_lo
	s_or_saveexec_b32 s14, s14
	v_bfrev_b32_e32 v0, 1
	s_xor_b32 exec_lo, exec_lo, s14
	s_cbranch_execnz .LBB6_10228
.LBB6_10224:                            ;   in Loop: Header=BB6_9936 Depth=3
	s_or_b32 exec_lo, exec_lo, s14
	s_and_saveexec_b32 s14, s15
	s_cbranch_execnz .LBB6_10229
	s_branch .LBB6_10232
.LBB6_10225:                            ;   in Loop: Header=BB6_9936 Depth=3
	s_or_saveexec_b32 s15, s15
	v_bfrev_b32_e32 v0, 1
	s_xor_b32 exec_lo, exec_lo, s15
	s_cbranch_execz .LBB6_10194
.LBB6_10226:                            ;   in Loop: Header=BB6_9936 Depth=3
	v_cmp_ne_u16_e64 s13, 0, v8
	v_mov_b32_e32 v0, 0
	s_and_not1_b32 s14, s14, exec_lo
	s_and_b32 s13, s13, exec_lo
	s_delay_alu instid0(SALU_CYCLE_1)
	s_or_b32 s14, s14, s13
	s_or_b32 exec_lo, exec_lo, s15
	s_and_saveexec_b32 s15, s14
	s_cbranch_execnz .LBB6_10195
	s_branch .LBB6_10196
.LBB6_10227:                            ;   in Loop: Header=BB6_9936 Depth=3
	s_or_saveexec_b32 s14, s14
	v_bfrev_b32_e32 v0, 1
	s_xor_b32 exec_lo, exec_lo, s14
	s_cbranch_execz .LBB6_10224
.LBB6_10228:                            ;   in Loop: Header=BB6_9936 Depth=3
	v_cmp_ne_u16_e64 s13, 0, v9
	v_mov_b32_e32 v0, 0
	s_and_not1_b32 s15, s15, exec_lo
	s_and_b32 s13, s13, exec_lo
	s_delay_alu instid0(SALU_CYCLE_1)
	s_or_b32 s15, s15, s13
	s_or_b32 exec_lo, exec_lo, s14
	s_and_saveexec_b32 s14, s15
	s_cbranch_execz .LBB6_10232
.LBB6_10229:                            ;   in Loop: Header=BB6_9936 Depth=3
	v_and_b32_e32 v2, 0xffff, v9
	v_mov_b32_e32 v0, 0x7f800001
	s_mov_b32 s15, exec_lo
	s_delay_alu instid0(VALU_DEP_2) | instskip(NEXT) | instid1(VALU_DEP_1)
	v_and_b32_e32 v12, 0x7f, v2
	v_cmpx_ne_u32_e32 0x7f, v12
	s_cbranch_execz .LBB6_10231
; %bb.10230:                            ;   in Loop: Header=BB6_9936 Depth=3
	v_and_b32_e32 v0, 7, v2
	v_cmp_gt_u32_e64 s13, 8, v12
	s_delay_alu instid0(VALU_DEP_2) | instskip(NEXT) | instid1(VALU_DEP_1)
	v_clz_i32_u32_e32 v13, v0
	v_min_u32_e32 v13, 32, v13
	s_delay_alu instid0(VALU_DEP_1) | instskip(NEXT) | instid1(VALU_DEP_1)
	v_subrev_nc_u32_e32 v22, 28, v13
	v_lshlrev_b64_e32 v[22:23], v22, v[2:3]
	v_dual_lshrrev_b32 v2, 3, v12 :: v_dual_sub_nc_u32 v13, 29, v13
	s_delay_alu instid0(VALU_DEP_2) | instskip(NEXT) | instid1(VALU_DEP_1)
	v_dual_lshlrev_b32 v9, 24, v9 :: v_dual_bitop2_b32 v12, 7, v22 bitop3:0x40
	v_dual_cndmask_b32 v0, v0, v12, s13 :: v_dual_cndmask_b32 v2, v2, v13, s13
	s_delay_alu instid0(VALU_DEP_2) | instskip(NEXT) | instid1(VALU_DEP_2)
	v_and_b32_e32 v9, 0x80000000, v9
	v_lshlrev_b32_e32 v0, 20, v0
	s_delay_alu instid0(VALU_DEP_3) | instskip(NEXT) | instid1(VALU_DEP_1)
	v_lshl_add_u32 v2, v2, 23, 0x3c000000
	v_or3_b32 v0, v0, v9, v2
.LBB6_10231:                            ;   in Loop: Header=BB6_9936 Depth=3
	s_or_b32 exec_lo, exec_lo, s15
.LBB6_10232:                            ;   in Loop: Header=BB6_9936 Depth=3
	s_delay_alu instid0(SALU_CYCLE_1) | instskip(NEXT) | instid1(VALU_DEP_1)
	s_or_b32 exec_lo, exec_lo, s14
	v_add_f32_e32 v0, v8, v0
                                        ; implicit-def: $vgpr37
	s_mov_b32 s14, exec_lo
	s_delay_alu instid0(VALU_DEP_1) | instskip(SKIP_1) | instid1(VALU_DEP_2)
	v_and_b32_e32 v2, 0x7f800000, v0
	v_lshrrev_b32_e32 v8, 24, v0
	v_cmpx_ne_u64_e32 0x7f800000, v[2:3]
	s_xor_b32 s15, exec_lo, s14
	s_cbranch_execz .LBB6_10246
; %bb.10233:                            ;   in Loop: Header=BB6_9936 Depth=3
	v_and_b32_e32 v2, 0x7fffffff, v0
	v_and_b32_e32 v22, 0x80, v8
                                        ; implicit-def: $vgpr37
	s_mov_b32 s14, exec_lo
	s_delay_alu instid0(VALU_DEP_2)
	v_cmpx_gt_u64_e32 0x43e00001, v[2:3]
	s_xor_b32 s75, exec_lo, s14
	s_cbranch_execz .LBB6_10243
; %bb.10234:                            ;   in Loop: Header=BB6_9936 Depth=3
	v_mov_b32_e32 v37, 0
	s_mov_b32 s76, exec_lo
	v_cmpx_ne_u32_e32 0, v0
	s_cbranch_execz .LBB6_10242
; %bb.10235:                            ;   in Loop: Header=BB6_9936 Depth=3
	v_bfe_u32 v23, v0, 23, 8
	v_and_b32_e32 v0, 0x7fffff, v0
	s_delay_alu instid0(VALU_DEP_2) | instskip(SKIP_1) | instid1(VALU_DEP_3)
	v_sub_nc_u32_e32 v2, 0x79, v23
	v_cmp_gt_u32_e64 s13, 0x7a, v23
	v_or_b32_e32 v12, 0x800000, v0
	s_delay_alu instid0(VALU_DEP_2) | instskip(SKIP_1) | instid1(VALU_DEP_1)
	v_cndmask_b32_e64 v2, 0, v2, s13
	v_cmp_eq_u32_e64 s13, 0, v23
	v_cndmask_b32_e64 v37, v2, 0x78, s13
	s_delay_alu instid0(VALU_DEP_1) | instskip(NEXT) | instid1(VALU_DEP_1)
	v_dual_add_nc_u32 v2, 20, v37 :: v_dual_add_nc_u32 v13, 19, v37
	v_lshlrev_b64_e64 v[8:9], v2, -1
	v_cndmask_b32_e64 v2, v12, v0, s13
	s_delay_alu instid0(VALU_DEP_3) | instskip(NEXT) | instid1(VALU_DEP_3)
	v_lshlrev_b64_e64 v[12:13], v13, 1
	v_bfi_b32 v39, v9, 0, 0
	s_delay_alu instid0(VALU_DEP_3) | instskip(SKIP_1) | instid1(VALU_DEP_2)
	v_bfi_b32 v38, v8, 0, v2
	v_lshrrev_b64 v[8:9], v37, v[2:3]
	v_cmp_eq_u64_e64 s14, v[38:39], v[12:13]
	s_delay_alu instid0(VALU_DEP_2)
	v_mov_b64_e32 v[12:13], v[8:9]
	s_and_saveexec_b32 s77, s14
; %bb.10236:                            ;   in Loop: Header=BB6_9936 Depth=3
	v_bfe_u32 v2, v8, 20, 1
	s_delay_alu instid0(VALU_DEP_1) | instskip(NEXT) | instid1(VALU_DEP_1)
	v_add_nc_u64_e32 v[12:13], v[8:9], v[2:3]
	v_add_nc_u64_e32 v[12:13], -1, v[12:13]
; %bb.10237:                            ;   in Loop: Header=BB6_9936 Depth=3
	s_or_b32 exec_lo, exec_lo, s77
	v_add_nc_u32_e32 v0, 0xffffff81, v23
	v_lshrrev_b32_e32 v2, 23, v8
	s_mov_b32 s14, exec_lo
	s_delay_alu instid0(VALU_DEP_2) | instskip(NEXT) | instid1(VALU_DEP_1)
	v_cndmask_b32_e64 v0, v0, 0xffffff82, s13
	v_add3_u32 v13, v37, v0, v2
	v_and_b32_e32 v0, 0xfffff, v12
	s_delay_alu instid0(VALU_DEP_1) | instskip(NEXT) | instid1(VALU_DEP_1)
	v_dual_add_nc_u32 v12, 6, v13 :: v_dual_add_nc_u32 v2, v0, v8
                                        ; implicit-def: $vgpr8_vgpr9
                                        ; implicit-def: $vgpr0
	v_cmpx_ne_u32_e32 0, v12
	s_xor_b32 s14, exec_lo, s14
; %bb.10238:                            ;   in Loop: Header=BB6_9936 Depth=3
	s_delay_alu instid0(VALU_DEP_2) | instskip(SKIP_1) | instid1(VALU_DEP_2)
	v_cmp_lt_u64_e64 s13, 0xffffff, v[2:3]
	v_add_nc_u32_e32 v0, 7, v13
	v_cndmask_b32_e64 v8, 0, 1, s13
	s_delay_alu instid0(VALU_DEP_2) | instskip(NEXT) | instid1(VALU_DEP_2)
	v_cndmask_b32_e64 v0, v12, v0, s13
	v_lshrrev_b64 v[8:9], v8, v[2:3]
; %bb.10239:                            ;   in Loop: Header=BB6_9936 Depth=3
	s_and_not1_saveexec_b32 s13, s14
; %bb.10240:                            ;   in Loop: Header=BB6_9936 Depth=3
	v_mov_b64_e32 v[8:9], v[2:3]
	v_bfe_u32 v0, v2, 23, 1
; %bb.10241:                            ;   in Loop: Header=BB6_9936 Depth=3
	s_or_b32 exec_lo, exec_lo, s13
	s_delay_alu instid0(VALU_DEP_2) | instskip(NEXT) | instid1(VALU_DEP_2)
	v_lshrrev_b64 v[8:9], 20, v[8:9]
	v_cmp_gt_i32_e64 s13, 16, v0
	v_min_i32_e32 v2, 15, v0
	v_cmp_eq_u32_e64 s14, 0, v0
	s_delay_alu instid0(VALU_DEP_2) | instskip(SKIP_1) | instid1(VALU_DEP_2)
	v_dual_cndmask_b32 v9, 0, v9, s13 :: v_dual_lshlrev_b32 v2, 3, v2
	v_cndmask_b32_e64 v8, 7, v8, s13
	v_and_b32_e32 v2, 0xf8, v2
	s_delay_alu instid0(VALU_DEP_2) | instskip(NEXT) | instid1(VALU_DEP_2)
	v_cmp_eq_u64_e64 s13, 0, v[8:9]
	v_and_or_b32 v0, v8, 7, v2
	s_and_b32 s13, s14, s13
	s_delay_alu instid0(VALU_DEP_1) | instid1(SALU_CYCLE_1)
	v_cndmask_b32_e64 v0, v0, 0, s13
	s_delay_alu instid0(VALU_DEP_1)
	v_or_b32_e32 v37, v0, v22
.LBB6_10242:                            ;   in Loop: Header=BB6_9936 Depth=3
	s_or_b32 exec_lo, exec_lo, s76
                                        ; implicit-def: $vgpr22
.LBB6_10243:                            ;   in Loop: Header=BB6_9936 Depth=3
	s_and_not1_saveexec_b32 s13, s75
; %bb.10244:                            ;   in Loop: Header=BB6_9936 Depth=3
	v_or_b32_e32 v37, 0x7e, v22
; %bb.10245:                            ;   in Loop: Header=BB6_9936 Depth=3
	s_or_b32 exec_lo, exec_lo, s13
                                        ; implicit-def: $vgpr8
.LBB6_10246:                            ;   in Loop: Header=BB6_9936 Depth=3
	s_and_not1_saveexec_b32 s13, s15
; %bb.10247:                            ;   in Loop: Header=BB6_9936 Depth=3
	v_or_b32_e32 v37, 0x7f, v8
; %bb.10248:                            ;   in Loop: Header=BB6_9936 Depth=3
	s_or_b32 exec_lo, exec_lo, s13
	v_dual_lshrrev_b32 v0, 16, v14 :: v_dual_mov_b32 v8, 0
	s_mov_b32 s14, exec_lo
	s_delay_alu instid0(VALU_DEP_1) | instskip(NEXT) | instid1(VALU_DEP_1)
	v_and_b32_e32 v2, 0xff, v0
	v_cmpx_ne_u16_e32 0, v2
	s_cbranch_execz .LBB6_10256
; %bb.10249:                            ;   in Loop: Header=BB6_9936 Depth=3
	v_bfrev_b32_e32 v8, 1
	s_mov_b32 s15, exec_lo
	v_cmpx_ne_u16_e32 0x80, v2
	s_cbranch_execz .LBB6_10255
; %bb.10250:                            ;   in Loop: Header=BB6_9936 Depth=3
	v_bfe_u32 v9, v14, 16, 7
	v_mov_b32_e32 v8, 0x7f800001
	s_mov_b32 s75, exec_lo
	s_delay_alu instid0(VALU_DEP_2)
	v_cmpx_ne_u32_e32 0x7f, v9
	s_cbranch_execz .LBB6_10254
; %bb.10251:                            ;   in Loop: Header=BB6_9936 Depth=3
	v_dual_lshrrev_b32 v12, 3, v9 :: v_dual_bitop2_b32 v2, 7, v0 bitop3:0x40
	v_cmp_gt_u32_e64 s13, 8, v9
	s_delay_alu instid0(VALU_DEP_2)
	v_mov_b64_e32 v[8:9], v[2:3]
	s_and_saveexec_b32 s76, s13
; %bb.10252:                            ;   in Loop: Header=BB6_9936 Depth=3
	v_clz_i32_u32_e32 v8, v2
	s_delay_alu instid0(VALU_DEP_1) | instskip(NEXT) | instid1(VALU_DEP_1)
	v_min_u32_e32 v12, 32, v8
	v_subrev_nc_u32_e32 v8, 28, v12
	v_sub_nc_u32_e32 v12, 29, v12
	s_delay_alu instid0(VALU_DEP_2) | instskip(NEXT) | instid1(VALU_DEP_1)
	v_lshlrev_b64_e32 v[8:9], v8, v[2:3]
	v_and_b32_e32 v8, 7, v8
; %bb.10253:                            ;   in Loop: Header=BB6_9936 Depth=3
	s_or_b32 exec_lo, exec_lo, s76
	v_lshlrev_b32_e32 v0, 24, v0
	s_delay_alu instid0(VALU_DEP_2) | instskip(SKIP_1) | instid1(VALU_DEP_3)
	v_lshlrev_b32_e32 v2, 20, v8
	v_lshl_add_u32 v8, v12, 23, 0x3c000000
	v_and_b32_e32 v0, 0x80000000, v0
	s_delay_alu instid0(VALU_DEP_1)
	v_or3_b32 v8, v2, v0, v8
.LBB6_10254:                            ;   in Loop: Header=BB6_9936 Depth=3
	s_or_b32 exec_lo, exec_lo, s75
.LBB6_10255:                            ;   in Loop: Header=BB6_9936 Depth=3
	s_delay_alu instid0(SALU_CYCLE_1)
	s_or_b32 exec_lo, exec_lo, s15
.LBB6_10256:                            ;   in Loop: Header=BB6_9936 Depth=3
	s_delay_alu instid0(SALU_CYCLE_1) | instskip(SKIP_3) | instid1(VALU_DEP_1)
	s_or_b32 exec_lo, exec_lo, s14
	v_lshrrev_b32_e32 v2, 16, v10
	s_mov_b32 s15, 0
	s_mov_b32 s14, exec_lo
	v_and_b32_e32 v9, 0xff, v2
	s_delay_alu instid0(VALU_DEP_1)
	v_cmpx_lt_i16_e32 0x7f, v9
	s_xor_b32 s14, exec_lo, s14
	s_cbranch_execz .LBB6_10261
; %bb.10257:                            ;   in Loop: Header=BB6_9936 Depth=3
	s_mov_b32 s15, -1
	s_mov_b32 s75, exec_lo
	v_cmpx_eq_u16_e32 0x80, v9
; %bb.10258:                            ;   in Loop: Header=BB6_9936 Depth=3
	s_xor_b32 s15, exec_lo, -1
; %bb.10259:                            ;   in Loop: Header=BB6_9936 Depth=3
	s_or_b32 exec_lo, exec_lo, s75
	s_delay_alu instid0(SALU_CYCLE_1)
	s_and_b32 s15, s15, exec_lo
                                        ; implicit-def: $vgpr9
	s_or_saveexec_b32 s14, s14
	v_bfrev_b32_e32 v0, 1
	s_xor_b32 exec_lo, exec_lo, s14
	s_cbranch_execnz .LBB6_10262
.LBB6_10260:                            ;   in Loop: Header=BB6_9936 Depth=3
	s_or_b32 exec_lo, exec_lo, s14
	s_and_saveexec_b32 s14, s15
	s_cbranch_execnz .LBB6_10263
	s_branch .LBB6_10266
.LBB6_10261:                            ;   in Loop: Header=BB6_9936 Depth=3
	s_or_saveexec_b32 s14, s14
	v_bfrev_b32_e32 v0, 1
	s_xor_b32 exec_lo, exec_lo, s14
	s_cbranch_execz .LBB6_10260
.LBB6_10262:                            ;   in Loop: Header=BB6_9936 Depth=3
	v_cmp_ne_u16_e64 s13, 0, v9
	v_mov_b32_e32 v0, 0
	s_and_not1_b32 s15, s15, exec_lo
	s_and_b32 s13, s13, exec_lo
	s_delay_alu instid0(SALU_CYCLE_1)
	s_or_b32 s15, s15, s13
	s_or_b32 exec_lo, exec_lo, s14
	s_and_saveexec_b32 s14, s15
	s_cbranch_execz .LBB6_10266
.LBB6_10263:                            ;   in Loop: Header=BB6_9936 Depth=3
	v_and_b32_e32 v9, 0x7f, v2
	v_mov_b32_e32 v0, 0x7f800001
	s_mov_b32 s15, exec_lo
	s_delay_alu instid0(VALU_DEP_2)
	v_cmpx_ne_u32_e32 0x7f, v9
	s_cbranch_execz .LBB6_10265
; %bb.10264:                            ;   in Loop: Header=BB6_9936 Depth=3
	v_and_b32_e32 v0, 7, v2
	v_cmp_gt_u32_e64 s13, 8, v9
	s_delay_alu instid0(VALU_DEP_2) | instskip(NEXT) | instid1(VALU_DEP_1)
	v_clz_i32_u32_e32 v12, v0
	v_min_u32_e32 v22, 32, v12
	s_delay_alu instid0(VALU_DEP_1) | instskip(NEXT) | instid1(VALU_DEP_1)
	v_subrev_nc_u32_e32 v12, 28, v22
	v_lshlrev_b64_e32 v[12:13], v12, v[2:3]
	v_dual_lshrrev_b32 v13, 3, v9 :: v_dual_sub_nc_u32 v22, 29, v22
	s_delay_alu instid0(VALU_DEP_2) | instskip(NEXT) | instid1(VALU_DEP_1)
	v_dual_lshlrev_b32 v2, 24, v2 :: v_dual_bitop2_b32 v9, 7, v12 bitop3:0x40
	v_dual_cndmask_b32 v0, v0, v9, s13 :: v_dual_cndmask_b32 v12, v13, v22, s13
	s_delay_alu instid0(VALU_DEP_2) | instskip(NEXT) | instid1(VALU_DEP_2)
	v_and_b32_e32 v2, 0x80000000, v2
	v_lshlrev_b32_e32 v0, 20, v0
	s_delay_alu instid0(VALU_DEP_3) | instskip(NEXT) | instid1(VALU_DEP_1)
	v_lshl_add_u32 v9, v12, 23, 0x3c000000
	v_or3_b32 v0, v0, v2, v9
.LBB6_10265:                            ;   in Loop: Header=BB6_9936 Depth=3
	s_or_b32 exec_lo, exec_lo, s15
.LBB6_10266:                            ;   in Loop: Header=BB6_9936 Depth=3
	s_delay_alu instid0(SALU_CYCLE_1) | instskip(NEXT) | instid1(VALU_DEP_1)
	s_or_b32 exec_lo, exec_lo, s14
	v_add_f32_e32 v0, v8, v0
                                        ; implicit-def: $vgpr38
	s_mov_b32 s14, exec_lo
	s_delay_alu instid0(VALU_DEP_1) | instskip(SKIP_1) | instid1(VALU_DEP_2)
	v_and_b32_e32 v2, 0x7f800000, v0
	v_lshrrev_b32_e32 v8, 24, v0
	v_cmpx_ne_u64_e32 0x7f800000, v[2:3]
	s_xor_b32 s15, exec_lo, s14
	s_cbranch_execz .LBB6_10280
; %bb.10267:                            ;   in Loop: Header=BB6_9936 Depth=3
	v_and_b32_e32 v2, 0x7fffffff, v0
	v_and_b32_e32 v22, 0x80, v8
                                        ; implicit-def: $vgpr38
	s_mov_b32 s14, exec_lo
	s_delay_alu instid0(VALU_DEP_2)
	v_cmpx_gt_u64_e32 0x43e00001, v[2:3]
	s_xor_b32 s75, exec_lo, s14
	s_cbranch_execz .LBB6_10277
; %bb.10268:                            ;   in Loop: Header=BB6_9936 Depth=3
	v_mov_b32_e32 v38, 0
	s_mov_b32 s76, exec_lo
	v_cmpx_ne_u32_e32 0, v0
	s_cbranch_execz .LBB6_10276
; %bb.10269:                            ;   in Loop: Header=BB6_9936 Depth=3
	v_bfe_u32 v23, v0, 23, 8
	v_and_b32_e32 v0, 0x7fffff, v0
	s_delay_alu instid0(VALU_DEP_2) | instskip(SKIP_1) | instid1(VALU_DEP_3)
	v_sub_nc_u32_e32 v2, 0x79, v23
	v_cmp_gt_u32_e64 s13, 0x7a, v23
	v_or_b32_e32 v12, 0x800000, v0
	s_delay_alu instid0(VALU_DEP_2) | instskip(SKIP_1) | instid1(VALU_DEP_1)
	v_cndmask_b32_e64 v2, 0, v2, s13
	v_cmp_eq_u32_e64 s13, 0, v23
	v_cndmask_b32_e64 v38, v2, 0x78, s13
	s_delay_alu instid0(VALU_DEP_1) | instskip(NEXT) | instid1(VALU_DEP_1)
	v_dual_add_nc_u32 v2, 20, v38 :: v_dual_add_nc_u32 v13, 19, v38
	v_lshlrev_b64_e64 v[8:9], v2, -1
	v_cndmask_b32_e64 v2, v12, v0, s13
	s_delay_alu instid0(VALU_DEP_3) | instskip(NEXT) | instid1(VALU_DEP_3)
	v_lshlrev_b64_e64 v[12:13], v13, 1
	v_bfi_b32 v49, v9, 0, 0
	s_delay_alu instid0(VALU_DEP_3) | instskip(SKIP_1) | instid1(VALU_DEP_2)
	v_bfi_b32 v48, v8, 0, v2
	v_lshrrev_b64 v[8:9], v38, v[2:3]
	v_cmp_eq_u64_e64 s14, v[48:49], v[12:13]
	s_delay_alu instid0(VALU_DEP_2)
	v_mov_b64_e32 v[12:13], v[8:9]
	s_and_saveexec_b32 s77, s14
; %bb.10270:                            ;   in Loop: Header=BB6_9936 Depth=3
	v_bfe_u32 v2, v8, 20, 1
	s_delay_alu instid0(VALU_DEP_1) | instskip(NEXT) | instid1(VALU_DEP_1)
	v_add_nc_u64_e32 v[12:13], v[8:9], v[2:3]
	v_add_nc_u64_e32 v[12:13], -1, v[12:13]
; %bb.10271:                            ;   in Loop: Header=BB6_9936 Depth=3
	s_or_b32 exec_lo, exec_lo, s77
	v_add_nc_u32_e32 v0, 0xffffff81, v23
	v_lshrrev_b32_e32 v2, 23, v8
	s_mov_b32 s14, exec_lo
	s_delay_alu instid0(VALU_DEP_2) | instskip(NEXT) | instid1(VALU_DEP_1)
	v_cndmask_b32_e64 v0, v0, 0xffffff82, s13
	v_add3_u32 v13, v38, v0, v2
	v_and_b32_e32 v0, 0xfffff, v12
	s_delay_alu instid0(VALU_DEP_1) | instskip(NEXT) | instid1(VALU_DEP_1)
	v_dual_add_nc_u32 v12, 6, v13 :: v_dual_add_nc_u32 v2, v0, v8
                                        ; implicit-def: $vgpr8_vgpr9
                                        ; implicit-def: $vgpr0
	v_cmpx_ne_u32_e32 0, v12
	s_xor_b32 s14, exec_lo, s14
; %bb.10272:                            ;   in Loop: Header=BB6_9936 Depth=3
	s_delay_alu instid0(VALU_DEP_2) | instskip(SKIP_1) | instid1(VALU_DEP_2)
	v_cmp_lt_u64_e64 s13, 0xffffff, v[2:3]
	v_add_nc_u32_e32 v0, 7, v13
	v_cndmask_b32_e64 v8, 0, 1, s13
	s_delay_alu instid0(VALU_DEP_2) | instskip(NEXT) | instid1(VALU_DEP_2)
	v_cndmask_b32_e64 v0, v12, v0, s13
	v_lshrrev_b64 v[8:9], v8, v[2:3]
; %bb.10273:                            ;   in Loop: Header=BB6_9936 Depth=3
	s_and_not1_saveexec_b32 s13, s14
; %bb.10274:                            ;   in Loop: Header=BB6_9936 Depth=3
	v_mov_b64_e32 v[8:9], v[2:3]
	v_bfe_u32 v0, v2, 23, 1
; %bb.10275:                            ;   in Loop: Header=BB6_9936 Depth=3
	s_or_b32 exec_lo, exec_lo, s13
	s_delay_alu instid0(VALU_DEP_2) | instskip(NEXT) | instid1(VALU_DEP_2)
	v_lshrrev_b64 v[8:9], 20, v[8:9]
	v_cmp_gt_i32_e64 s13, 16, v0
	v_min_i32_e32 v2, 15, v0
	v_cmp_eq_u32_e64 s14, 0, v0
	s_delay_alu instid0(VALU_DEP_2) | instskip(SKIP_1) | instid1(VALU_DEP_2)
	v_dual_cndmask_b32 v9, 0, v9, s13 :: v_dual_lshlrev_b32 v2, 3, v2
	v_cndmask_b32_e64 v8, 7, v8, s13
	v_and_b32_e32 v2, 0xf8, v2
	s_delay_alu instid0(VALU_DEP_2) | instskip(NEXT) | instid1(VALU_DEP_2)
	v_cmp_eq_u64_e64 s13, 0, v[8:9]
	v_and_or_b32 v0, v8, 7, v2
	s_and_b32 s13, s14, s13
	s_delay_alu instid0(VALU_DEP_1) | instid1(SALU_CYCLE_1)
	v_cndmask_b32_e64 v0, v0, 0, s13
	s_delay_alu instid0(VALU_DEP_1)
	v_or_b32_e32 v38, v0, v22
.LBB6_10276:                            ;   in Loop: Header=BB6_9936 Depth=3
	s_or_b32 exec_lo, exec_lo, s76
                                        ; implicit-def: $vgpr22
.LBB6_10277:                            ;   in Loop: Header=BB6_9936 Depth=3
	s_and_not1_saveexec_b32 s13, s75
; %bb.10278:                            ;   in Loop: Header=BB6_9936 Depth=3
	v_or_b32_e32 v38, 0x7e, v22
; %bb.10279:                            ;   in Loop: Header=BB6_9936 Depth=3
	s_or_b32 exec_lo, exec_lo, s13
                                        ; implicit-def: $vgpr8
.LBB6_10280:                            ;   in Loop: Header=BB6_9936 Depth=3
	s_and_not1_saveexec_b32 s13, s15
; %bb.10281:                            ;   in Loop: Header=BB6_9936 Depth=3
	v_or_b32_e32 v38, 0x7f, v8
; %bb.10282:                            ;   in Loop: Header=BB6_9936 Depth=3
	s_or_b32 exec_lo, exec_lo, s13
	v_mov_b32_e32 v0, 0
	s_mov_b32 s14, exec_lo
	v_cmpx_lt_u32_e32 0xffffff, v14
	s_cbranch_execz .LBB6_10290
; %bb.10283:                            ;   in Loop: Header=BB6_9936 Depth=3
	v_lshrrev_b32_e32 v12, 24, v14
	v_bfrev_b32_e32 v0, 1
	s_mov_b32 s15, exec_lo
	s_delay_alu instid0(VALU_DEP_2)
	v_cmpx_ne_u32_e32 0x80, v12
	s_cbranch_execz .LBB6_10289
; %bb.10284:                            ;   in Loop: Header=BB6_9936 Depth=3
	v_bfe_u32 v8, v14, 24, 7
	v_mov_b32_e32 v0, 0x7f800001
	s_mov_b32 s75, exec_lo
	s_delay_alu instid0(VALU_DEP_2)
	v_cmpx_ne_u32_e32 0x7f, v8
	s_cbranch_execz .LBB6_10288
; %bb.10285:                            ;   in Loop: Header=BB6_9936 Depth=3
	v_and_b32_e32 v2, 7, v12
	v_lshrrev_b32_e32 v0, 3, v8
	v_cmp_gt_u32_e64 s13, 8, v8
	s_delay_alu instid0(VALU_DEP_3)
	v_mov_b64_e32 v[8:9], v[2:3]
	s_and_saveexec_b32 s76, s13
; %bb.10286:                            ;   in Loop: Header=BB6_9936 Depth=3
	v_clz_i32_u32_e32 v0, v2
	s_delay_alu instid0(VALU_DEP_1) | instskip(NEXT) | instid1(VALU_DEP_1)
	v_min_u32_e32 v0, 32, v0
	v_subrev_nc_u32_e32 v8, 28, v0
	v_sub_nc_u32_e32 v0, 29, v0
	s_delay_alu instid0(VALU_DEP_2) | instskip(NEXT) | instid1(VALU_DEP_1)
	v_lshlrev_b64_e32 v[8:9], v8, v[2:3]
	v_and_b32_e32 v8, 7, v8
; %bb.10287:                            ;   in Loop: Header=BB6_9936 Depth=3
	s_or_b32 exec_lo, exec_lo, s76
	v_lshlrev_b32_e32 v2, 24, v12
	s_delay_alu instid0(VALU_DEP_2) | instskip(SKIP_1) | instid1(VALU_DEP_3)
	v_lshlrev_b32_e32 v8, 20, v8
	v_lshl_add_u32 v0, v0, 23, 0x3c000000
	v_and_b32_e32 v2, 0x80000000, v2
	s_delay_alu instid0(VALU_DEP_1)
	v_or3_b32 v0, v8, v2, v0
.LBB6_10288:                            ;   in Loop: Header=BB6_9936 Depth=3
	s_or_b32 exec_lo, exec_lo, s75
.LBB6_10289:                            ;   in Loop: Header=BB6_9936 Depth=3
	s_delay_alu instid0(SALU_CYCLE_1)
	s_or_b32 exec_lo, exec_lo, s15
.LBB6_10290:                            ;   in Loop: Header=BB6_9936 Depth=3
	s_delay_alu instid0(SALU_CYCLE_1) | instskip(SKIP_3) | instid1(VALU_DEP_3)
	s_or_b32 exec_lo, exec_lo, s14
	v_lshrrev_b32_e32 v2, 24, v10
	v_bfe_u32 v8, v10, 24, 7
	v_cmp_gt_u32_e64 s15, 0x1000000, v10
	v_cmp_eq_u32_e64 s13, 0x80, v2
	s_delay_alu instid0(VALU_DEP_3) | instskip(NEXT) | instid1(VALU_DEP_2)
	v_cmp_eq_u32_e64 s14, 0x7f, v8
	v_cndmask_b32_e64 v9, 0x7f800001, v125, s13
	s_or_b32 s13, s13, s14
	s_delay_alu instid0(SALU_CYCLE_1) | instskip(NEXT) | instid1(VALU_DEP_1)
	s_nor_b32 s13, s15, s13
	v_cndmask_b32_e64 v9, v9, 0, s15
	s_and_saveexec_b32 s14, s13
	s_cbranch_execz .LBB6_10292
; %bb.10291:                            ;   in Loop: Header=BB6_9936 Depth=3
	v_and_b32_e32 v9, 7, v2
	v_cmp_gt_u32_e64 s13, 8, v8
	s_delay_alu instid0(VALU_DEP_2) | instskip(NEXT) | instid1(VALU_DEP_1)
	v_clz_i32_u32_e32 v12, v9
	v_min_u32_e32 v22, 32, v12
	s_delay_alu instid0(VALU_DEP_1) | instskip(NEXT) | instid1(VALU_DEP_1)
	v_subrev_nc_u32_e32 v12, 28, v22
	v_lshlrev_b64_e32 v[12:13], v12, v[2:3]
	v_dual_lshrrev_b32 v13, 3, v8 :: v_dual_sub_nc_u32 v22, 29, v22
	s_delay_alu instid0(VALU_DEP_2) | instskip(NEXT) | instid1(VALU_DEP_1)
	v_dual_lshlrev_b32 v2, 24, v2 :: v_dual_bitop2_b32 v8, 7, v12 bitop3:0x40
	v_cndmask_b32_e64 v8, v9, v8, s13
	s_delay_alu instid0(VALU_DEP_3) | instskip(NEXT) | instid1(VALU_DEP_3)
	v_cndmask_b32_e64 v12, v13, v22, s13
	v_and_b32_e32 v2, 0x80000000, v2
	s_delay_alu instid0(VALU_DEP_3) | instskip(NEXT) | instid1(VALU_DEP_3)
	v_lshlrev_b32_e32 v8, 20, v8
	v_lshl_add_u32 v9, v12, 23, 0x3c000000
	s_delay_alu instid0(VALU_DEP_1)
	v_or3_b32 v9, v8, v2, v9
.LBB6_10292:                            ;   in Loop: Header=BB6_9936 Depth=3
	s_or_b32 exec_lo, exec_lo, s14
	s_delay_alu instid0(VALU_DEP_1) | instskip(SKIP_1) | instid1(VALU_DEP_1)
	v_add_f32_e32 v0, v0, v9
                                        ; implicit-def: $vgpr39
	s_mov_b32 s14, exec_lo
	v_and_b32_e32 v2, 0x7f800000, v0
	v_lshrrev_b32_e32 v8, 24, v0
	s_delay_alu instid0(VALU_DEP_2)
	v_cmpx_ne_u64_e32 0x7f800000, v[2:3]
	s_xor_b32 s15, exec_lo, s14
	s_cbranch_execz .LBB6_10306
; %bb.10293:                            ;   in Loop: Header=BB6_9936 Depth=3
	v_and_b32_e32 v2, 0x7fffffff, v0
	v_and_b32_e32 v22, 0x80, v8
                                        ; implicit-def: $vgpr39
	s_mov_b32 s14, exec_lo
	s_delay_alu instid0(VALU_DEP_2)
	v_cmpx_gt_u64_e32 0x43e00001, v[2:3]
	s_xor_b32 s75, exec_lo, s14
	s_cbranch_execz .LBB6_10303
; %bb.10294:                            ;   in Loop: Header=BB6_9936 Depth=3
	v_mov_b32_e32 v39, 0
	s_mov_b32 s76, exec_lo
	v_cmpx_ne_u32_e32 0, v0
	s_cbranch_execz .LBB6_10302
; %bb.10295:                            ;   in Loop: Header=BB6_9936 Depth=3
	v_bfe_u32 v23, v0, 23, 8
	v_and_b32_e32 v0, 0x7fffff, v0
	s_delay_alu instid0(VALU_DEP_2) | instskip(SKIP_1) | instid1(VALU_DEP_3)
	v_sub_nc_u32_e32 v2, 0x79, v23
	v_cmp_gt_u32_e64 s13, 0x7a, v23
	v_or_b32_e32 v12, 0x800000, v0
	s_delay_alu instid0(VALU_DEP_2) | instskip(SKIP_1) | instid1(VALU_DEP_1)
	v_cndmask_b32_e64 v2, 0, v2, s13
	v_cmp_eq_u32_e64 s13, 0, v23
	v_cndmask_b32_e64 v39, v2, 0x78, s13
	s_delay_alu instid0(VALU_DEP_1) | instskip(NEXT) | instid1(VALU_DEP_1)
	v_dual_add_nc_u32 v2, 20, v39 :: v_dual_add_nc_u32 v13, 19, v39
	v_lshlrev_b64_e64 v[8:9], v2, -1
	v_cndmask_b32_e64 v2, v12, v0, s13
	s_delay_alu instid0(VALU_DEP_3) | instskip(NEXT) | instid1(VALU_DEP_3)
	v_lshlrev_b64_e64 v[12:13], v13, 1
	v_bfi_b32 v49, v9, 0, 0
	s_delay_alu instid0(VALU_DEP_3) | instskip(SKIP_1) | instid1(VALU_DEP_2)
	v_bfi_b32 v48, v8, 0, v2
	v_lshrrev_b64 v[8:9], v39, v[2:3]
	v_cmp_eq_u64_e64 s14, v[48:49], v[12:13]
	s_delay_alu instid0(VALU_DEP_2)
	v_mov_b64_e32 v[12:13], v[8:9]
	s_and_saveexec_b32 s77, s14
; %bb.10296:                            ;   in Loop: Header=BB6_9936 Depth=3
	v_bfe_u32 v2, v8, 20, 1
	s_delay_alu instid0(VALU_DEP_1) | instskip(NEXT) | instid1(VALU_DEP_1)
	v_add_nc_u64_e32 v[12:13], v[8:9], v[2:3]
	v_add_nc_u64_e32 v[12:13], -1, v[12:13]
; %bb.10297:                            ;   in Loop: Header=BB6_9936 Depth=3
	s_or_b32 exec_lo, exec_lo, s77
	v_add_nc_u32_e32 v0, 0xffffff81, v23
	v_lshrrev_b32_e32 v2, 23, v8
	s_mov_b32 s14, exec_lo
	s_delay_alu instid0(VALU_DEP_2) | instskip(NEXT) | instid1(VALU_DEP_1)
	v_cndmask_b32_e64 v0, v0, 0xffffff82, s13
	v_add3_u32 v13, v39, v0, v2
	v_and_b32_e32 v0, 0xfffff, v12
	s_delay_alu instid0(VALU_DEP_1) | instskip(NEXT) | instid1(VALU_DEP_1)
	v_dual_add_nc_u32 v12, 6, v13 :: v_dual_add_nc_u32 v2, v0, v8
                                        ; implicit-def: $vgpr8_vgpr9
                                        ; implicit-def: $vgpr0
	v_cmpx_ne_u32_e32 0, v12
	s_xor_b32 s14, exec_lo, s14
; %bb.10298:                            ;   in Loop: Header=BB6_9936 Depth=3
	s_delay_alu instid0(VALU_DEP_2) | instskip(SKIP_1) | instid1(VALU_DEP_2)
	v_cmp_lt_u64_e64 s13, 0xffffff, v[2:3]
	v_add_nc_u32_e32 v0, 7, v13
	v_cndmask_b32_e64 v8, 0, 1, s13
	s_delay_alu instid0(VALU_DEP_2) | instskip(NEXT) | instid1(VALU_DEP_2)
	v_cndmask_b32_e64 v0, v12, v0, s13
	v_lshrrev_b64 v[8:9], v8, v[2:3]
; %bb.10299:                            ;   in Loop: Header=BB6_9936 Depth=3
	s_and_not1_saveexec_b32 s13, s14
; %bb.10300:                            ;   in Loop: Header=BB6_9936 Depth=3
	v_mov_b64_e32 v[8:9], v[2:3]
	v_bfe_u32 v0, v2, 23, 1
; %bb.10301:                            ;   in Loop: Header=BB6_9936 Depth=3
	s_or_b32 exec_lo, exec_lo, s13
	s_delay_alu instid0(VALU_DEP_2) | instskip(NEXT) | instid1(VALU_DEP_2)
	v_lshrrev_b64 v[8:9], 20, v[8:9]
	v_cmp_gt_i32_e64 s13, 16, v0
	v_min_i32_e32 v2, 15, v0
	v_cmp_eq_u32_e64 s14, 0, v0
	s_delay_alu instid0(VALU_DEP_2) | instskip(SKIP_1) | instid1(VALU_DEP_2)
	v_dual_cndmask_b32 v9, 0, v9, s13 :: v_dual_lshlrev_b32 v2, 3, v2
	v_cndmask_b32_e64 v8, 7, v8, s13
	v_and_b32_e32 v2, 0xf8, v2
	s_delay_alu instid0(VALU_DEP_2) | instskip(NEXT) | instid1(VALU_DEP_2)
	v_cmp_eq_u64_e64 s13, 0, v[8:9]
	v_and_or_b32 v0, v8, 7, v2
	s_and_b32 s13, s14, s13
	s_delay_alu instid0(VALU_DEP_1) | instid1(SALU_CYCLE_1)
	v_cndmask_b32_e64 v0, v0, 0, s13
	s_delay_alu instid0(VALU_DEP_1)
	v_or_b32_e32 v39, v0, v22
.LBB6_10302:                            ;   in Loop: Header=BB6_9936 Depth=3
	s_or_b32 exec_lo, exec_lo, s76
                                        ; implicit-def: $vgpr22
.LBB6_10303:                            ;   in Loop: Header=BB6_9936 Depth=3
	s_and_not1_saveexec_b32 s13, s75
; %bb.10304:                            ;   in Loop: Header=BB6_9936 Depth=3
	v_or_b32_e32 v39, 0x7e, v22
; %bb.10305:                            ;   in Loop: Header=BB6_9936 Depth=3
	s_or_b32 exec_lo, exec_lo, s13
                                        ; implicit-def: $vgpr8
.LBB6_10306:                            ;   in Loop: Header=BB6_9936 Depth=3
	s_and_not1_saveexec_b32 s13, s15
; %bb.10307:                            ;   in Loop: Header=BB6_9936 Depth=3
	v_or_b32_e32 v39, 0x7f, v8
; %bb.10308:                            ;   in Loop: Header=BB6_9936 Depth=3
	s_or_b32 exec_lo, exec_lo, s13
	v_and_b32_e32 v0, 0xff, v15
	v_dual_mov_b32 v2, v15 :: v_dual_mov_b32 v12, 0
	s_mov_b32 s14, exec_lo
	s_delay_alu instid0(VALU_DEP_2)
	v_cmpx_ne_u16_e32 0, v0
	s_cbranch_execz .LBB6_10314
; %bb.10309:                            ;   in Loop: Header=BB6_9936 Depth=3
	v_bfrev_b32_e32 v12, 1
	s_mov_b32 s15, exec_lo
	v_cmpx_ne_u16_e32 0x80, v0
	s_cbranch_execz .LBB6_10313
; %bb.10310:                            ;   in Loop: Header=BB6_9936 Depth=3
	v_and_b32_e32 v0, 0x7f, v15
	v_mov_b32_e32 v12, 0x7f800001
	s_mov_b32 s75, exec_lo
	s_delay_alu instid0(VALU_DEP_2)
	v_cmpx_ne_u32_e32 0x7f, v0
	s_cbranch_execz .LBB6_10312
; %bb.10311:                            ;   in Loop: Header=BB6_9936 Depth=3
	v_dual_lshrrev_b32 v9, 3, v0 :: v_dual_bitop2_b32 v8, 7, v15 bitop3:0x40
	v_cmp_gt_u32_e64 s13, 8, v0
	s_delay_alu instid0(VALU_DEP_2) | instskip(NEXT) | instid1(VALU_DEP_1)
	v_clz_i32_u32_e32 v8, v8
	v_min_u32_e32 v8, 32, v8
	s_delay_alu instid0(VALU_DEP_1) | instskip(SKIP_1) | instid1(VALU_DEP_1)
	v_subrev_nc_u32_e32 v12, 28, v8
	v_sub_nc_u32_e32 v8, 29, v8
	v_cndmask_b32_e64 v0, v9, v8, s13
	s_delay_alu instid0(VALU_DEP_3) | instskip(NEXT) | instid1(VALU_DEP_1)
	v_cndmask_b32_e64 v8, 0, v12, s13
	v_lshlrev_b64_e32 v[8:9], v8, v[2:3]
	v_lshlrev_b32_e32 v9, 24, v2
	s_delay_alu instid0(VALU_DEP_1) | instskip(NEXT) | instid1(VALU_DEP_3)
	v_and_b32_e32 v9, 0x80000000, v9
	v_lshlrev_b32_e32 v8, 20, v8
	v_lshl_add_u32 v0, v0, 23, 0x3c000000
	s_delay_alu instid0(VALU_DEP_2) | instskip(NEXT) | instid1(VALU_DEP_1)
	v_and_b32_e32 v8, 0x700000, v8
	v_or3_b32 v12, v8, v9, v0
.LBB6_10312:                            ;   in Loop: Header=BB6_9936 Depth=3
	s_or_b32 exec_lo, exec_lo, s75
.LBB6_10313:                            ;   in Loop: Header=BB6_9936 Depth=3
	s_delay_alu instid0(SALU_CYCLE_1)
	s_or_b32 exec_lo, exec_lo, s15
.LBB6_10314:                            ;   in Loop: Header=BB6_9936 Depth=3
	s_delay_alu instid0(SALU_CYCLE_1) | instskip(SKIP_4) | instid1(VALU_DEP_2)
	s_or_b32 exec_lo, exec_lo, s14
	v_and_b32_e32 v9, 0xff, v11
	v_mov_b32_e32 v8, v11
	s_mov_b32 s14, 0
	s_mov_b32 s15, exec_lo
	v_cmpx_lt_i16_e32 0x7f, v9
	s_xor_b32 s15, exec_lo, s15
	s_cbranch_execz .LBB6_10349
; %bb.10315:                            ;   in Loop: Header=BB6_9936 Depth=3
	s_mov_b32 s14, -1
	s_mov_b32 s75, exec_lo
	v_cmpx_eq_u16_e32 0x80, v9
; %bb.10316:                            ;   in Loop: Header=BB6_9936 Depth=3
	s_xor_b32 s14, exec_lo, -1
; %bb.10317:                            ;   in Loop: Header=BB6_9936 Depth=3
	s_or_b32 exec_lo, exec_lo, s75
	s_delay_alu instid0(SALU_CYCLE_1)
	s_and_b32 s14, s14, exec_lo
                                        ; implicit-def: $vgpr9
	s_or_saveexec_b32 s15, s15
	v_bfrev_b32_e32 v0, 1
	s_xor_b32 exec_lo, exec_lo, s15
	s_cbranch_execnz .LBB6_10350
.LBB6_10318:                            ;   in Loop: Header=BB6_9936 Depth=3
	s_or_b32 exec_lo, exec_lo, s15
	v_mov_b32_e32 v9, v3
	s_and_saveexec_b32 s15, s14
	s_cbranch_execz .LBB6_10320
.LBB6_10319:                            ;   in Loop: Header=BB6_9936 Depth=3
	v_and_b32_e32 v0, 7, v11
	v_and_b32_e32 v13, 0x7f, v11
	v_bfe_u32 v22, v11, 3, 4
	s_delay_alu instid0(VALU_DEP_3) | instskip(NEXT) | instid1(VALU_DEP_3)
	v_clz_i32_u32_e32 v0, v0
	v_cmp_gt_u32_e64 s13, 8, v13
	s_delay_alu instid0(VALU_DEP_2) | instskip(NEXT) | instid1(VALU_DEP_1)
	v_min_u32_e32 v0, 32, v0
	v_subrev_nc_u32_e32 v23, 28, v0
	v_sub_nc_u32_e32 v0, 29, v0
	s_delay_alu instid0(VALU_DEP_1) | instskip(SKIP_1) | instid1(VALU_DEP_2)
	v_dual_cndmask_b32 v0, v22, v0, s13 :: v_dual_cndmask_b32 v22, 0, v23, s13
	v_cmp_ne_u32_e64 s13, 0x7f, v13
	v_lshlrev_b64_e32 v[22:23], v22, v[8:9]
	v_lshlrev_b32_e32 v9, 24, v8
	s_delay_alu instid0(VALU_DEP_1) | instskip(NEXT) | instid1(VALU_DEP_3)
	v_and_b32_e32 v9, 0x80000000, v9
	v_lshlrev_b32_e32 v22, 20, v22
	v_lshl_add_u32 v0, v0, 23, 0x3c000000
	s_delay_alu instid0(VALU_DEP_2) | instskip(NEXT) | instid1(VALU_DEP_1)
	v_and_b32_e32 v22, 0x700000, v22
	v_or3_b32 v0, v22, v9, v0
	s_delay_alu instid0(VALU_DEP_1)
	v_cndmask_b32_e64 v0, 0x7f800001, v0, s13
.LBB6_10320:                            ;   in Loop: Header=BB6_9936 Depth=3
	s_or_b32 exec_lo, exec_lo, s15
	s_delay_alu instid0(VALU_DEP_1) | instskip(SKIP_1) | instid1(VALU_DEP_1)
	v_dual_add_f32 v0, v12, v0 :: v_dual_mov_b32 v13, v3
                                        ; implicit-def: $vgpr22
	s_mov_b32 s14, exec_lo
	v_and_b32_e32 v12, 0x7f800000, v0
	v_lshrrev_b32_e32 v9, 24, v0
	s_delay_alu instid0(VALU_DEP_2)
	v_cmpx_ne_u64_e32 0x7f800000, v[12:13]
	s_xor_b32 s15, exec_lo, s14
	s_cbranch_execz .LBB6_10334
; %bb.10321:                            ;   in Loop: Header=BB6_9936 Depth=3
	v_and_b32_e32 v12, 0x7fffffff, v0
	v_mov_b32_e32 v13, v3
	v_and_b32_e32 v9, 0x80, v9
                                        ; implicit-def: $vgpr22
	s_mov_b32 s14, exec_lo
	s_delay_alu instid0(VALU_DEP_2)
	v_cmpx_gt_u64_e32 0x43e00001, v[12:13]
	s_xor_b32 s75, exec_lo, s14
	s_cbranch_execz .LBB6_10331
; %bb.10322:                            ;   in Loop: Header=BB6_9936 Depth=3
	v_mov_b32_e32 v22, 0
	s_mov_b32 s76, exec_lo
	v_cmpx_ne_u32_e32 0, v0
	s_cbranch_execz .LBB6_10330
; %bb.10323:                            ;   in Loop: Header=BB6_9936 Depth=3
	v_bfe_u32 v48, v0, 23, 8
	v_and_b32_e32 v0, 0x7fffff, v0
	s_mov_b32 s77, exec_lo
	s_delay_alu instid0(VALU_DEP_2) | instskip(SKIP_1) | instid1(VALU_DEP_3)
	v_dual_mov_b32 v23, v3 :: v_dual_sub_nc_u32 v12, 0x79, v48
	v_cmp_gt_u32_e64 s13, 0x7a, v48
	v_or_b32_e32 v22, 0x800000, v0
	s_delay_alu instid0(VALU_DEP_2) | instskip(SKIP_1) | instid1(VALU_DEP_1)
	v_cndmask_b32_e64 v12, 0, v12, s13
	v_cmp_eq_u32_e64 s13, 0, v48
	v_cndmask_b32_e64 v49, v12, 0x78, s13
	s_delay_alu instid0(VALU_DEP_1) | instskip(SKIP_1) | instid1(VALU_DEP_2)
	v_dual_cndmask_b32 v22, v22, v0, s13 :: v_dual_add_nc_u32 v12, 20, v49
	v_add_nc_u32_e32 v50, 19, v49
	v_lshlrev_b64_e64 v[12:13], v12, -1
	s_delay_alu instid0(VALU_DEP_2) | instskip(NEXT) | instid1(VALU_DEP_2)
	v_lshlrev_b64_e64 v[50:51], v50, 1
	v_bfi_b32 v53, v13, 0, 0
	s_delay_alu instid0(VALU_DEP_3) | instskip(SKIP_1) | instid1(VALU_DEP_1)
	v_bfi_b32 v52, v12, 0, v22
	v_lshrrev_b64 v[12:13], v49, v[22:23]
	v_mov_b64_e32 v[22:23], v[12:13]
	s_delay_alu instid0(VALU_DEP_3)
	v_cmpx_eq_u64_e64 v[52:53], v[50:51]
; %bb.10324:                            ;   in Loop: Header=BB6_9936 Depth=3
	v_bfe_u32 v22, v12, 20, 1
	v_mov_b32_e32 v23, v3
	s_delay_alu instid0(VALU_DEP_1) | instskip(NEXT) | instid1(VALU_DEP_1)
	v_add_nc_u64_e32 v[22:23], v[12:13], v[22:23]
	v_add_nc_u64_e32 v[22:23], -1, v[22:23]
; %bb.10325:                            ;   in Loop: Header=BB6_9936 Depth=3
	s_or_b32 exec_lo, exec_lo, s77
	v_add_nc_u32_e32 v0, 0xffffff81, v48
	v_lshrrev_b32_e32 v13, 23, v12
	s_mov_b32 s14, exec_lo
	s_delay_alu instid0(VALU_DEP_2) | instskip(NEXT) | instid1(VALU_DEP_1)
	v_cndmask_b32_e64 v0, v0, 0xffffff82, s13
	v_add3_u32 v23, v49, v0, v13
	v_and_b32_e32 v0, 0xfffff, v22
	s_delay_alu instid0(VALU_DEP_2) | instskip(NEXT) | instid1(VALU_DEP_2)
	v_dual_mov_b32 v13, v3 :: v_dual_add_nc_u32 v22, 6, v23
	v_add_nc_u32_e32 v12, v0, v12
                                        ; implicit-def: $vgpr0
	s_delay_alu instid0(VALU_DEP_2)
	v_cmpx_ne_u32_e32 0, v22
	s_xor_b32 s14, exec_lo, s14
; %bb.10326:                            ;   in Loop: Header=BB6_9936 Depth=3
	s_delay_alu instid0(VALU_DEP_2) | instskip(SKIP_1) | instid1(VALU_DEP_1)
	v_cmp_lt_u64_e64 s13, 0xffffff, v[12:13]
	v_add_nc_u32_e32 v0, 7, v23
	v_cndmask_b32_e64 v0, v22, v0, s13
	v_cndmask_b32_e64 v22, 0, 1, s13
	s_delay_alu instid0(VALU_DEP_1)
	v_lshrrev_b64 v[12:13], v22, v[12:13]
; %bb.10327:                            ;   in Loop: Header=BB6_9936 Depth=3
	s_and_not1_saveexec_b32 s13, s14
; %bb.10328:                            ;   in Loop: Header=BB6_9936 Depth=3
	s_delay_alu instid0(VALU_DEP_1)
	v_bfe_u32 v0, v12, 23, 1
; %bb.10329:                            ;   in Loop: Header=BB6_9936 Depth=3
	s_or_b32 exec_lo, exec_lo, s13
	s_delay_alu instid0(VALU_DEP_2) | instskip(NEXT) | instid1(VALU_DEP_2)
	v_lshrrev_b64 v[12:13], 20, v[12:13]
	v_cmp_gt_i32_e64 s13, 16, v0
	v_min_i32_e32 v22, 15, v0
	v_cmp_eq_u32_e64 s14, 0, v0
	s_delay_alu instid0(VALU_DEP_2) | instskip(SKIP_1) | instid1(VALU_DEP_2)
	v_dual_cndmask_b32 v13, 0, v13, s13 :: v_dual_lshlrev_b32 v22, 3, v22
	v_cndmask_b32_e64 v12, 7, v12, s13
	v_and_b32_e32 v22, 0xf8, v22
	s_delay_alu instid0(VALU_DEP_2) | instskip(NEXT) | instid1(VALU_DEP_2)
	v_cmp_eq_u64_e64 s13, 0, v[12:13]
	v_and_or_b32 v0, v12, 7, v22
	s_and_b32 s13, s14, s13
	s_delay_alu instid0(VALU_DEP_1) | instid1(SALU_CYCLE_1)
	v_cndmask_b32_e64 v0, v0, 0, s13
	s_delay_alu instid0(VALU_DEP_1)
	v_or_b32_e32 v22, v0, v9
.LBB6_10330:                            ;   in Loop: Header=BB6_9936 Depth=3
	s_or_b32 exec_lo, exec_lo, s76
                                        ; implicit-def: $vgpr9
.LBB6_10331:                            ;   in Loop: Header=BB6_9936 Depth=3
	s_and_not1_saveexec_b32 s13, s75
; %bb.10332:                            ;   in Loop: Header=BB6_9936 Depth=3
	v_or_b32_e32 v22, 0x7e, v9
; %bb.10333:                            ;   in Loop: Header=BB6_9936 Depth=3
	s_or_b32 exec_lo, exec_lo, s13
                                        ; implicit-def: $vgpr9
.LBB6_10334:                            ;   in Loop: Header=BB6_9936 Depth=3
	s_and_not1_saveexec_b32 s13, s15
; %bb.10335:                            ;   in Loop: Header=BB6_9936 Depth=3
	v_or_b32_e32 v22, 0x7f, v9
; %bb.10336:                            ;   in Loop: Header=BB6_9936 Depth=3
	s_or_b32 exec_lo, exec_lo, s13
	v_lshrrev_b16 v0, 8, v2
	v_mov_b32_e32 v9, 0
	s_mov_b32 s14, exec_lo
	s_delay_alu instid0(VALU_DEP_2)
	v_cmpx_ne_u16_e32 0, v0
	s_cbranch_execz .LBB6_10344
; %bb.10337:                            ;   in Loop: Header=BB6_9936 Depth=3
	v_bfrev_b32_e32 v9, 1
	s_mov_b32 s15, exec_lo
	v_cmpx_ne_u16_e32 0x80, v0
	s_cbranch_execz .LBB6_10343
; %bb.10338:                            ;   in Loop: Header=BB6_9936 Depth=3
	v_and_b32_e32 v0, 0xffff, v0
	v_mov_b32_e32 v9, 0x7f800001
	s_mov_b32 s75, exec_lo
	s_delay_alu instid0(VALU_DEP_2) | instskip(NEXT) | instid1(VALU_DEP_1)
	v_and_b32_e32 v23, 0x7f, v0
	v_cmpx_ne_u32_e32 0x7f, v23
	s_cbranch_execz .LBB6_10342
; %bb.10339:                            ;   in Loop: Header=BB6_9936 Depth=3
	v_dual_mov_b32 v13, v3 :: v_dual_bitop2_b32 v12, 7, v0 bitop3:0x40
	v_lshrrev_b32_e32 v0, 3, v23
	s_mov_b32 s76, exec_lo
	v_cmpx_gt_u32_e32 8, v23
; %bb.10340:                            ;   in Loop: Header=BB6_9936 Depth=3
	s_delay_alu instid0(VALU_DEP_3) | instskip(NEXT) | instid1(VALU_DEP_1)
	v_clz_i32_u32_e32 v0, v12
	v_min_u32_e32 v0, 32, v0
	s_delay_alu instid0(VALU_DEP_1) | instskip(SKIP_1) | instid1(VALU_DEP_2)
	v_subrev_nc_u32_e32 v9, 28, v0
	v_sub_nc_u32_e32 v0, 29, v0
	v_lshlrev_b64_e32 v[12:13], v9, v[12:13]
	s_delay_alu instid0(VALU_DEP_1)
	v_and_b32_e32 v12, 7, v12
; %bb.10341:                            ;   in Loop: Header=BB6_9936 Depth=3
	s_or_b32 exec_lo, exec_lo, s76
	s_delay_alu instid0(VALU_DEP_1) | instskip(SKIP_1) | instid1(VALU_DEP_2)
	v_dual_lshlrev_b32 v2, 16, v2 :: v_dual_lshlrev_b32 v9, 20, v12
	v_lshl_add_u32 v0, v0, 23, 0x3c000000
	v_and_b32_e32 v2, 0x80000000, v2
	s_delay_alu instid0(VALU_DEP_1)
	v_or3_b32 v9, v9, v2, v0
.LBB6_10342:                            ;   in Loop: Header=BB6_9936 Depth=3
	s_or_b32 exec_lo, exec_lo, s75
.LBB6_10343:                            ;   in Loop: Header=BB6_9936 Depth=3
	s_delay_alu instid0(SALU_CYCLE_1)
	s_or_b32 exec_lo, exec_lo, s15
.LBB6_10344:                            ;   in Loop: Header=BB6_9936 Depth=3
	s_delay_alu instid0(SALU_CYCLE_1) | instskip(SKIP_3) | instid1(VALU_DEP_1)
	s_or_b32 exec_lo, exec_lo, s14
	v_lshrrev_b16 v8, 8, v8
	s_mov_b32 s15, 0
	s_mov_b32 s14, exec_lo
	v_cmpx_lt_i16_e32 0x7f, v8
	s_xor_b32 s14, exec_lo, s14
	s_cbranch_execz .LBB6_10351
; %bb.10345:                            ;   in Loop: Header=BB6_9936 Depth=3
	s_mov_b32 s15, -1
	s_mov_b32 s75, exec_lo
	v_cmpx_eq_u16_e32 0x80, v8
; %bb.10346:                            ;   in Loop: Header=BB6_9936 Depth=3
	s_xor_b32 s15, exec_lo, -1
; %bb.10347:                            ;   in Loop: Header=BB6_9936 Depth=3
	s_or_b32 exec_lo, exec_lo, s75
	s_delay_alu instid0(SALU_CYCLE_1)
	s_and_b32 s15, s15, exec_lo
	s_or_saveexec_b32 s14, s14
	v_bfrev_b32_e32 v0, 1
	s_xor_b32 exec_lo, exec_lo, s14
	s_cbranch_execnz .LBB6_10352
.LBB6_10348:                            ;   in Loop: Header=BB6_9936 Depth=3
	s_or_b32 exec_lo, exec_lo, s14
	s_and_saveexec_b32 s14, s15
	s_cbranch_execnz .LBB6_10353
	s_branch .LBB6_10356
.LBB6_10349:                            ;   in Loop: Header=BB6_9936 Depth=3
	s_or_saveexec_b32 s15, s15
	v_bfrev_b32_e32 v0, 1
	s_xor_b32 exec_lo, exec_lo, s15
	s_cbranch_execz .LBB6_10318
.LBB6_10350:                            ;   in Loop: Header=BB6_9936 Depth=3
	v_cmp_ne_u16_e64 s13, 0, v9
	v_mov_b32_e32 v0, 0
	s_and_not1_b32 s14, s14, exec_lo
	s_and_b32 s13, s13, exec_lo
	s_delay_alu instid0(SALU_CYCLE_1)
	s_or_b32 s14, s14, s13
	s_or_b32 exec_lo, exec_lo, s15
	v_mov_b32_e32 v9, v3
	s_and_saveexec_b32 s15, s14
	s_cbranch_execnz .LBB6_10319
	s_branch .LBB6_10320
.LBB6_10351:                            ;   in Loop: Header=BB6_9936 Depth=3
	s_or_saveexec_b32 s14, s14
	v_bfrev_b32_e32 v0, 1
	s_xor_b32 exec_lo, exec_lo, s14
	s_cbranch_execz .LBB6_10348
.LBB6_10352:                            ;   in Loop: Header=BB6_9936 Depth=3
	v_cmp_ne_u16_e64 s13, 0, v8
	v_mov_b32_e32 v0, 0
	s_and_not1_b32 s15, s15, exec_lo
	s_and_b32 s13, s13, exec_lo
	s_delay_alu instid0(SALU_CYCLE_1)
	s_or_b32 s15, s15, s13
	s_or_b32 exec_lo, exec_lo, s14
	s_and_saveexec_b32 s14, s15
	s_cbranch_execz .LBB6_10356
.LBB6_10353:                            ;   in Loop: Header=BB6_9936 Depth=3
	v_and_b32_e32 v2, 0xffff, v8
	v_mov_b32_e32 v0, 0x7f800001
	s_mov_b32 s15, exec_lo
	s_delay_alu instid0(VALU_DEP_2) | instskip(NEXT) | instid1(VALU_DEP_1)
	v_and_b32_e32 v12, 0x7f, v2
	v_cmpx_ne_u32_e32 0x7f, v12
	s_cbranch_execz .LBB6_10355
; %bb.10354:                            ;   in Loop: Header=BB6_9936 Depth=3
	v_and_b32_e32 v0, 7, v2
	v_cmp_gt_u32_e64 s13, 8, v12
	s_delay_alu instid0(VALU_DEP_2) | instskip(NEXT) | instid1(VALU_DEP_1)
	v_clz_i32_u32_e32 v13, v0
	v_min_u32_e32 v13, 32, v13
	s_delay_alu instid0(VALU_DEP_1) | instskip(NEXT) | instid1(VALU_DEP_1)
	v_subrev_nc_u32_e32 v23, 28, v13
	v_lshlrev_b64_e32 v[48:49], v23, v[2:3]
	v_dual_lshrrev_b32 v2, 3, v12 :: v_dual_sub_nc_u32 v13, 29, v13
	s_delay_alu instid0(VALU_DEP_2) | instskip(NEXT) | instid1(VALU_DEP_2)
	v_and_b32_e32 v12, 7, v48
	v_dual_lshlrev_b32 v8, 24, v8 :: v_dual_cndmask_b32 v2, v2, v13, s13
	s_delay_alu instid0(VALU_DEP_2) | instskip(NEXT) | instid1(VALU_DEP_2)
	v_cndmask_b32_e64 v0, v0, v12, s13
	v_and_b32_e32 v8, 0x80000000, v8
	s_delay_alu instid0(VALU_DEP_3) | instskip(NEXT) | instid1(VALU_DEP_3)
	v_lshl_add_u32 v2, v2, 23, 0x3c000000
	v_lshlrev_b32_e32 v0, 20, v0
	s_delay_alu instid0(VALU_DEP_1)
	v_or3_b32 v0, v0, v8, v2
.LBB6_10355:                            ;   in Loop: Header=BB6_9936 Depth=3
	s_or_b32 exec_lo, exec_lo, s15
.LBB6_10356:                            ;   in Loop: Header=BB6_9936 Depth=3
	s_delay_alu instid0(SALU_CYCLE_1) | instskip(NEXT) | instid1(VALU_DEP_1)
	s_or_b32 exec_lo, exec_lo, s14
	v_add_f32_e32 v0, v9, v0
                                        ; implicit-def: $vgpr23
	s_mov_b32 s14, exec_lo
	s_delay_alu instid0(VALU_DEP_1) | instskip(SKIP_1) | instid1(VALU_DEP_2)
	v_and_b32_e32 v2, 0x7f800000, v0
	v_lshrrev_b32_e32 v8, 24, v0
	v_cmpx_ne_u64_e32 0x7f800000, v[2:3]
	s_xor_b32 s15, exec_lo, s14
	s_cbranch_execz .LBB6_10370
; %bb.10357:                            ;   in Loop: Header=BB6_9936 Depth=3
	v_and_b32_e32 v2, 0x7fffffff, v0
	v_and_b32_e32 v48, 0x80, v8
                                        ; implicit-def: $vgpr23
	s_mov_b32 s14, exec_lo
	s_delay_alu instid0(VALU_DEP_2)
	v_cmpx_gt_u64_e32 0x43e00001, v[2:3]
	s_xor_b32 s75, exec_lo, s14
	s_cbranch_execz .LBB6_10367
; %bb.10358:                            ;   in Loop: Header=BB6_9936 Depth=3
	v_mov_b32_e32 v23, 0
	s_mov_b32 s76, exec_lo
	v_cmpx_ne_u32_e32 0, v0
	s_cbranch_execz .LBB6_10366
; %bb.10359:                            ;   in Loop: Header=BB6_9936 Depth=3
	v_bfe_u32 v23, v0, 23, 8
	v_and_b32_e32 v0, 0x7fffff, v0
	s_delay_alu instid0(VALU_DEP_2) | instskip(SKIP_1) | instid1(VALU_DEP_3)
	v_sub_nc_u32_e32 v2, 0x79, v23
	v_cmp_gt_u32_e64 s13, 0x7a, v23
	v_or_b32_e32 v12, 0x800000, v0
	s_delay_alu instid0(VALU_DEP_2) | instskip(SKIP_1) | instid1(VALU_DEP_1)
	v_cndmask_b32_e64 v2, 0, v2, s13
	v_cmp_eq_u32_e64 s13, 0, v23
	v_cndmask_b32_e64 v49, v2, 0x78, s13
	s_delay_alu instid0(VALU_DEP_1) | instskip(NEXT) | instid1(VALU_DEP_1)
	v_dual_add_nc_u32 v2, 20, v49 :: v_dual_add_nc_u32 v13, 19, v49
	v_lshlrev_b64_e64 v[8:9], v2, -1
	v_cndmask_b32_e64 v2, v12, v0, s13
	s_delay_alu instid0(VALU_DEP_3) | instskip(NEXT) | instid1(VALU_DEP_3)
	v_lshlrev_b64_e64 v[12:13], v13, 1
	v_bfi_b32 v51, v9, 0, 0
	s_delay_alu instid0(VALU_DEP_3) | instskip(SKIP_1) | instid1(VALU_DEP_2)
	v_bfi_b32 v50, v8, 0, v2
	v_lshrrev_b64 v[8:9], v49, v[2:3]
	v_cmp_eq_u64_e64 s14, v[50:51], v[12:13]
	s_delay_alu instid0(VALU_DEP_2)
	v_mov_b64_e32 v[12:13], v[8:9]
	s_and_saveexec_b32 s77, s14
; %bb.10360:                            ;   in Loop: Header=BB6_9936 Depth=3
	v_bfe_u32 v2, v8, 20, 1
	s_delay_alu instid0(VALU_DEP_1) | instskip(NEXT) | instid1(VALU_DEP_1)
	v_add_nc_u64_e32 v[12:13], v[8:9], v[2:3]
	v_add_nc_u64_e32 v[12:13], -1, v[12:13]
; %bb.10361:                            ;   in Loop: Header=BB6_9936 Depth=3
	s_or_b32 exec_lo, exec_lo, s77
	v_add_nc_u32_e32 v0, 0xffffff81, v23
	v_lshrrev_b32_e32 v2, 23, v8
	s_mov_b32 s14, exec_lo
	s_delay_alu instid0(VALU_DEP_2) | instskip(NEXT) | instid1(VALU_DEP_1)
	v_cndmask_b32_e64 v0, v0, 0xffffff82, s13
	v_add3_u32 v13, v49, v0, v2
	v_and_b32_e32 v0, 0xfffff, v12
	s_delay_alu instid0(VALU_DEP_1) | instskip(NEXT) | instid1(VALU_DEP_1)
	v_dual_add_nc_u32 v12, 6, v13 :: v_dual_add_nc_u32 v2, v0, v8
                                        ; implicit-def: $vgpr8_vgpr9
                                        ; implicit-def: $vgpr0
	v_cmpx_ne_u32_e32 0, v12
	s_xor_b32 s14, exec_lo, s14
; %bb.10362:                            ;   in Loop: Header=BB6_9936 Depth=3
	s_delay_alu instid0(VALU_DEP_2) | instskip(SKIP_1) | instid1(VALU_DEP_2)
	v_cmp_lt_u64_e64 s13, 0xffffff, v[2:3]
	v_add_nc_u32_e32 v0, 7, v13
	v_cndmask_b32_e64 v8, 0, 1, s13
	s_delay_alu instid0(VALU_DEP_2) | instskip(NEXT) | instid1(VALU_DEP_2)
	v_cndmask_b32_e64 v0, v12, v0, s13
	v_lshrrev_b64 v[8:9], v8, v[2:3]
; %bb.10363:                            ;   in Loop: Header=BB6_9936 Depth=3
	s_and_not1_saveexec_b32 s13, s14
; %bb.10364:                            ;   in Loop: Header=BB6_9936 Depth=3
	v_mov_b64_e32 v[8:9], v[2:3]
	v_bfe_u32 v0, v2, 23, 1
; %bb.10365:                            ;   in Loop: Header=BB6_9936 Depth=3
	s_or_b32 exec_lo, exec_lo, s13
	s_delay_alu instid0(VALU_DEP_2) | instskip(NEXT) | instid1(VALU_DEP_2)
	v_lshrrev_b64 v[8:9], 20, v[8:9]
	v_cmp_gt_i32_e64 s13, 16, v0
	v_min_i32_e32 v2, 15, v0
	v_cmp_eq_u32_e64 s14, 0, v0
	s_delay_alu instid0(VALU_DEP_2) | instskip(SKIP_1) | instid1(VALU_DEP_2)
	v_dual_cndmask_b32 v9, 0, v9, s13 :: v_dual_lshlrev_b32 v2, 3, v2
	v_cndmask_b32_e64 v8, 7, v8, s13
	v_and_b32_e32 v2, 0xf8, v2
	s_delay_alu instid0(VALU_DEP_2) | instskip(NEXT) | instid1(VALU_DEP_2)
	v_cmp_eq_u64_e64 s13, 0, v[8:9]
	v_and_or_b32 v0, v8, 7, v2
	s_and_b32 s13, s14, s13
	s_delay_alu instid0(VALU_DEP_1) | instid1(SALU_CYCLE_1)
	v_cndmask_b32_e64 v0, v0, 0, s13
	s_delay_alu instid0(VALU_DEP_1)
	v_or_b32_e32 v23, v0, v48
.LBB6_10366:                            ;   in Loop: Header=BB6_9936 Depth=3
	s_or_b32 exec_lo, exec_lo, s76
                                        ; implicit-def: $vgpr48
.LBB6_10367:                            ;   in Loop: Header=BB6_9936 Depth=3
	s_and_not1_saveexec_b32 s13, s75
; %bb.10368:                            ;   in Loop: Header=BB6_9936 Depth=3
	v_or_b32_e32 v23, 0x7e, v48
; %bb.10369:                            ;   in Loop: Header=BB6_9936 Depth=3
	s_or_b32 exec_lo, exec_lo, s13
                                        ; implicit-def: $vgpr8
.LBB6_10370:                            ;   in Loop: Header=BB6_9936 Depth=3
	s_and_not1_saveexec_b32 s13, s15
; %bb.10371:                            ;   in Loop: Header=BB6_9936 Depth=3
	v_or_b32_e32 v23, 0x7f, v8
; %bb.10372:                            ;   in Loop: Header=BB6_9936 Depth=3
	s_or_b32 exec_lo, exec_lo, s13
	v_dual_lshrrev_b32 v0, 16, v15 :: v_dual_mov_b32 v8, 0
	s_mov_b32 s14, exec_lo
	s_delay_alu instid0(VALU_DEP_1) | instskip(NEXT) | instid1(VALU_DEP_1)
	v_and_b32_e32 v2, 0xff, v0
	v_cmpx_ne_u16_e32 0, v2
	s_cbranch_execz .LBB6_10380
; %bb.10373:                            ;   in Loop: Header=BB6_9936 Depth=3
	v_bfrev_b32_e32 v8, 1
	s_mov_b32 s15, exec_lo
	v_cmpx_ne_u16_e32 0x80, v2
	s_cbranch_execz .LBB6_10379
; %bb.10374:                            ;   in Loop: Header=BB6_9936 Depth=3
	v_bfe_u32 v9, v15, 16, 7
	v_mov_b32_e32 v8, 0x7f800001
	s_mov_b32 s75, exec_lo
	s_delay_alu instid0(VALU_DEP_2)
	v_cmpx_ne_u32_e32 0x7f, v9
	s_cbranch_execz .LBB6_10378
; %bb.10375:                            ;   in Loop: Header=BB6_9936 Depth=3
	v_dual_lshrrev_b32 v12, 3, v9 :: v_dual_bitop2_b32 v2, 7, v0 bitop3:0x40
	v_cmp_gt_u32_e64 s13, 8, v9
	s_delay_alu instid0(VALU_DEP_2)
	v_mov_b64_e32 v[8:9], v[2:3]
	s_and_saveexec_b32 s76, s13
; %bb.10376:                            ;   in Loop: Header=BB6_9936 Depth=3
	v_clz_i32_u32_e32 v8, v2
	s_delay_alu instid0(VALU_DEP_1) | instskip(NEXT) | instid1(VALU_DEP_1)
	v_min_u32_e32 v12, 32, v8
	v_subrev_nc_u32_e32 v8, 28, v12
	v_sub_nc_u32_e32 v12, 29, v12
	s_delay_alu instid0(VALU_DEP_2) | instskip(NEXT) | instid1(VALU_DEP_1)
	v_lshlrev_b64_e32 v[8:9], v8, v[2:3]
	v_and_b32_e32 v8, 7, v8
; %bb.10377:                            ;   in Loop: Header=BB6_9936 Depth=3
	s_or_b32 exec_lo, exec_lo, s76
	v_lshlrev_b32_e32 v0, 24, v0
	s_delay_alu instid0(VALU_DEP_2) | instskip(SKIP_1) | instid1(VALU_DEP_3)
	v_lshlrev_b32_e32 v2, 20, v8
	v_lshl_add_u32 v8, v12, 23, 0x3c000000
	v_and_b32_e32 v0, 0x80000000, v0
	s_delay_alu instid0(VALU_DEP_1)
	v_or3_b32 v8, v2, v0, v8
.LBB6_10378:                            ;   in Loop: Header=BB6_9936 Depth=3
	s_or_b32 exec_lo, exec_lo, s75
.LBB6_10379:                            ;   in Loop: Header=BB6_9936 Depth=3
	s_delay_alu instid0(SALU_CYCLE_1)
	s_or_b32 exec_lo, exec_lo, s15
.LBB6_10380:                            ;   in Loop: Header=BB6_9936 Depth=3
	s_delay_alu instid0(SALU_CYCLE_1) | instskip(SKIP_3) | instid1(VALU_DEP_1)
	s_or_b32 exec_lo, exec_lo, s14
	v_lshrrev_b32_e32 v2, 16, v11
	s_mov_b32 s15, 0
	s_mov_b32 s14, exec_lo
	v_and_b32_e32 v9, 0xff, v2
	s_delay_alu instid0(VALU_DEP_1)
	v_cmpx_lt_i16_e32 0x7f, v9
	s_xor_b32 s14, exec_lo, s14
	s_cbranch_execz .LBB6_10385
; %bb.10381:                            ;   in Loop: Header=BB6_9936 Depth=3
	s_mov_b32 s15, -1
	s_mov_b32 s75, exec_lo
	v_cmpx_eq_u16_e32 0x80, v9
; %bb.10382:                            ;   in Loop: Header=BB6_9936 Depth=3
	s_xor_b32 s15, exec_lo, -1
; %bb.10383:                            ;   in Loop: Header=BB6_9936 Depth=3
	s_or_b32 exec_lo, exec_lo, s75
	s_delay_alu instid0(SALU_CYCLE_1)
	s_and_b32 s15, s15, exec_lo
                                        ; implicit-def: $vgpr9
	s_or_saveexec_b32 s14, s14
	v_bfrev_b32_e32 v0, 1
	s_xor_b32 exec_lo, exec_lo, s14
	s_cbranch_execnz .LBB6_10386
.LBB6_10384:                            ;   in Loop: Header=BB6_9936 Depth=3
	s_or_b32 exec_lo, exec_lo, s14
	s_and_saveexec_b32 s14, s15
	s_cbranch_execnz .LBB6_10387
	s_branch .LBB6_10390
.LBB6_10385:                            ;   in Loop: Header=BB6_9936 Depth=3
	s_or_saveexec_b32 s14, s14
	v_bfrev_b32_e32 v0, 1
	s_xor_b32 exec_lo, exec_lo, s14
	s_cbranch_execz .LBB6_10384
.LBB6_10386:                            ;   in Loop: Header=BB6_9936 Depth=3
	v_cmp_ne_u16_e64 s13, 0, v9
	v_mov_b32_e32 v0, 0
	s_and_not1_b32 s15, s15, exec_lo
	s_and_b32 s13, s13, exec_lo
	s_delay_alu instid0(SALU_CYCLE_1)
	s_or_b32 s15, s15, s13
	s_or_b32 exec_lo, exec_lo, s14
	s_and_saveexec_b32 s14, s15
	s_cbranch_execz .LBB6_10390
.LBB6_10387:                            ;   in Loop: Header=BB6_9936 Depth=3
	v_and_b32_e32 v9, 0x7f, v2
	v_mov_b32_e32 v0, 0x7f800001
	s_mov_b32 s15, exec_lo
	s_delay_alu instid0(VALU_DEP_2)
	v_cmpx_ne_u32_e32 0x7f, v9
	s_cbranch_execz .LBB6_10389
; %bb.10388:                            ;   in Loop: Header=BB6_9936 Depth=3
	v_and_b32_e32 v0, 7, v2
	v_cmp_gt_u32_e64 s13, 8, v9
	s_delay_alu instid0(VALU_DEP_2) | instskip(NEXT) | instid1(VALU_DEP_1)
	v_clz_i32_u32_e32 v12, v0
	v_min_u32_e32 v48, 32, v12
	s_delay_alu instid0(VALU_DEP_1) | instskip(SKIP_1) | instid1(VALU_DEP_2)
	v_subrev_nc_u32_e32 v12, 28, v48
	v_sub_nc_u32_e32 v48, 29, v48
	v_lshlrev_b64_e32 v[12:13], v12, v[2:3]
	v_dual_lshrrev_b32 v13, 3, v9 :: v_dual_lshlrev_b32 v2, 24, v2
	s_delay_alu instid0(VALU_DEP_1) | instskip(NEXT) | instid1(VALU_DEP_3)
	v_and_b32_e32 v2, 0x80000000, v2
	v_and_b32_e32 v9, 7, v12
	s_delay_alu instid0(VALU_DEP_1) | instskip(NEXT) | instid1(VALU_DEP_1)
	v_dual_cndmask_b32 v12, v13, v48, s13 :: v_dual_cndmask_b32 v0, v0, v9, s13
	v_lshl_add_u32 v9, v12, 23, 0x3c000000
	s_delay_alu instid0(VALU_DEP_2) | instskip(NEXT) | instid1(VALU_DEP_1)
	v_lshlrev_b32_e32 v0, 20, v0
	v_or3_b32 v0, v0, v2, v9
.LBB6_10389:                            ;   in Loop: Header=BB6_9936 Depth=3
	s_or_b32 exec_lo, exec_lo, s15
.LBB6_10390:                            ;   in Loop: Header=BB6_9936 Depth=3
	s_delay_alu instid0(SALU_CYCLE_1) | instskip(NEXT) | instid1(VALU_DEP_1)
	s_or_b32 exec_lo, exec_lo, s14
	v_add_f32_e32 v0, v8, v0
                                        ; implicit-def: $vgpr12
	s_mov_b32 s14, exec_lo
	s_delay_alu instid0(VALU_DEP_1) | instskip(SKIP_1) | instid1(VALU_DEP_2)
	v_and_b32_e32 v2, 0x7f800000, v0
	v_lshrrev_b32_e32 v8, 24, v0
	v_cmpx_ne_u64_e32 0x7f800000, v[2:3]
	s_xor_b32 s15, exec_lo, s14
	s_cbranch_execz .LBB6_10404
; %bb.10391:                            ;   in Loop: Header=BB6_9936 Depth=3
	v_and_b32_e32 v2, 0x7fffffff, v0
	v_and_b32_e32 v48, 0x80, v8
                                        ; implicit-def: $vgpr12
	s_mov_b32 s14, exec_lo
	s_delay_alu instid0(VALU_DEP_2)
	v_cmpx_gt_u64_e32 0x43e00001, v[2:3]
	s_xor_b32 s75, exec_lo, s14
	s_cbranch_execz .LBB6_10401
; %bb.10392:                            ;   in Loop: Header=BB6_9936 Depth=3
	v_mov_b32_e32 v12, 0
	s_mov_b32 s76, exec_lo
	v_cmpx_ne_u32_e32 0, v0
	s_cbranch_execz .LBB6_10400
; %bb.10393:                            ;   in Loop: Header=BB6_9936 Depth=3
	v_bfe_u32 v49, v0, 23, 8
	v_and_b32_e32 v0, 0x7fffff, v0
	s_delay_alu instid0(VALU_DEP_2) | instskip(SKIP_1) | instid1(VALU_DEP_3)
	v_sub_nc_u32_e32 v2, 0x79, v49
	v_cmp_gt_u32_e64 s13, 0x7a, v49
	v_or_b32_e32 v12, 0x800000, v0
	s_delay_alu instid0(VALU_DEP_2) | instskip(SKIP_1) | instid1(VALU_DEP_1)
	v_cndmask_b32_e64 v2, 0, v2, s13
	v_cmp_eq_u32_e64 s13, 0, v49
	v_cndmask_b32_e64 v50, v2, 0x78, s13
	s_delay_alu instid0(VALU_DEP_1) | instskip(NEXT) | instid1(VALU_DEP_1)
	v_dual_add_nc_u32 v2, 20, v50 :: v_dual_add_nc_u32 v13, 19, v50
	v_lshlrev_b64_e64 v[8:9], v2, -1
	v_cndmask_b32_e64 v2, v12, v0, s13
	s_delay_alu instid0(VALU_DEP_3) | instskip(NEXT) | instid1(VALU_DEP_3)
	v_lshlrev_b64_e64 v[12:13], v13, 1
	v_bfi_b32 v53, v9, 0, 0
	s_delay_alu instid0(VALU_DEP_3) | instskip(SKIP_1) | instid1(VALU_DEP_2)
	v_bfi_b32 v52, v8, 0, v2
	v_lshrrev_b64 v[8:9], v50, v[2:3]
	v_cmp_eq_u64_e64 s14, v[52:53], v[12:13]
	s_delay_alu instid0(VALU_DEP_2)
	v_mov_b64_e32 v[12:13], v[8:9]
	s_and_saveexec_b32 s77, s14
; %bb.10394:                            ;   in Loop: Header=BB6_9936 Depth=3
	v_bfe_u32 v2, v8, 20, 1
	s_delay_alu instid0(VALU_DEP_1) | instskip(NEXT) | instid1(VALU_DEP_1)
	v_add_nc_u64_e32 v[12:13], v[8:9], v[2:3]
	v_add_nc_u64_e32 v[12:13], -1, v[12:13]
; %bb.10395:                            ;   in Loop: Header=BB6_9936 Depth=3
	s_or_b32 exec_lo, exec_lo, s77
	v_add_nc_u32_e32 v0, 0xffffff81, v49
	v_lshrrev_b32_e32 v2, 23, v8
	s_mov_b32 s14, exec_lo
	s_delay_alu instid0(VALU_DEP_2) | instskip(NEXT) | instid1(VALU_DEP_1)
	v_cndmask_b32_e64 v0, v0, 0xffffff82, s13
	v_add3_u32 v13, v50, v0, v2
	v_and_b32_e32 v0, 0xfffff, v12
	s_delay_alu instid0(VALU_DEP_1) | instskip(NEXT) | instid1(VALU_DEP_1)
	v_dual_add_nc_u32 v12, 6, v13 :: v_dual_add_nc_u32 v2, v0, v8
                                        ; implicit-def: $vgpr8_vgpr9
                                        ; implicit-def: $vgpr0
	v_cmpx_ne_u32_e32 0, v12
	s_xor_b32 s14, exec_lo, s14
; %bb.10396:                            ;   in Loop: Header=BB6_9936 Depth=3
	s_delay_alu instid0(VALU_DEP_2) | instskip(SKIP_1) | instid1(VALU_DEP_2)
	v_cmp_lt_u64_e64 s13, 0xffffff, v[2:3]
	v_add_nc_u32_e32 v0, 7, v13
	v_cndmask_b32_e64 v8, 0, 1, s13
	s_delay_alu instid0(VALU_DEP_2) | instskip(NEXT) | instid1(VALU_DEP_2)
	v_cndmask_b32_e64 v0, v12, v0, s13
	v_lshrrev_b64 v[8:9], v8, v[2:3]
; %bb.10397:                            ;   in Loop: Header=BB6_9936 Depth=3
	s_and_not1_saveexec_b32 s13, s14
; %bb.10398:                            ;   in Loop: Header=BB6_9936 Depth=3
	v_mov_b64_e32 v[8:9], v[2:3]
	v_bfe_u32 v0, v2, 23, 1
; %bb.10399:                            ;   in Loop: Header=BB6_9936 Depth=3
	s_or_b32 exec_lo, exec_lo, s13
	s_delay_alu instid0(VALU_DEP_2) | instskip(NEXT) | instid1(VALU_DEP_2)
	v_lshrrev_b64 v[8:9], 20, v[8:9]
	v_cmp_gt_i32_e64 s13, 16, v0
	v_min_i32_e32 v2, 15, v0
	v_cmp_eq_u32_e64 s14, 0, v0
	s_delay_alu instid0(VALU_DEP_2) | instskip(SKIP_1) | instid1(VALU_DEP_2)
	v_dual_cndmask_b32 v9, 0, v9, s13 :: v_dual_lshlrev_b32 v2, 3, v2
	v_cndmask_b32_e64 v8, 7, v8, s13
	v_and_b32_e32 v2, 0xf8, v2
	s_delay_alu instid0(VALU_DEP_2) | instskip(NEXT) | instid1(VALU_DEP_2)
	v_cmp_eq_u64_e64 s13, 0, v[8:9]
	v_and_or_b32 v0, v8, 7, v2
	s_and_b32 s13, s14, s13
	s_delay_alu instid0(VALU_DEP_1) | instid1(SALU_CYCLE_1)
	v_cndmask_b32_e64 v0, v0, 0, s13
	s_delay_alu instid0(VALU_DEP_1)
	v_or_b32_e32 v12, v0, v48
.LBB6_10400:                            ;   in Loop: Header=BB6_9936 Depth=3
	s_or_b32 exec_lo, exec_lo, s76
                                        ; implicit-def: $vgpr48
.LBB6_10401:                            ;   in Loop: Header=BB6_9936 Depth=3
	s_and_not1_saveexec_b32 s13, s75
; %bb.10402:                            ;   in Loop: Header=BB6_9936 Depth=3
	v_or_b32_e32 v12, 0x7e, v48
; %bb.10403:                            ;   in Loop: Header=BB6_9936 Depth=3
	s_or_b32 exec_lo, exec_lo, s13
                                        ; implicit-def: $vgpr8
.LBB6_10404:                            ;   in Loop: Header=BB6_9936 Depth=3
	s_and_not1_saveexec_b32 s13, s15
; %bb.10405:                            ;   in Loop: Header=BB6_9936 Depth=3
	v_or_b32_e32 v12, 0x7f, v8
; %bb.10406:                            ;   in Loop: Header=BB6_9936 Depth=3
	s_or_b32 exec_lo, exec_lo, s13
	v_mov_b32_e32 v8, 0
	s_mov_b32 s14, exec_lo
	v_cmpx_lt_u64_e64 s[22:23], v[14:15]
	s_cbranch_execz .LBB6_10414
; %bb.10407:                            ;   in Loop: Header=BB6_9936 Depth=3
	v_lshrrev_b32_e32 v0, 24, v15
	v_bfrev_b32_e32 v8, 1
	s_mov_b32 s15, exec_lo
	s_delay_alu instid0(VALU_DEP_2)
	v_cmpx_ne_u32_e32 0x80, v0
	s_cbranch_execz .LBB6_10413
; %bb.10408:                            ;   in Loop: Header=BB6_9936 Depth=3
	v_bfe_u32 v9, v15, 24, 7
	v_mov_b32_e32 v8, 0x7f800001
	s_mov_b32 s75, exec_lo
	s_delay_alu instid0(VALU_DEP_2)
	v_cmpx_ne_u32_e32 0x7f, v9
	s_cbranch_execz .LBB6_10412
; %bb.10409:                            ;   in Loop: Header=BB6_9936 Depth=3
	v_dual_lshrrev_b32 v13, 3, v9 :: v_dual_bitop2_b32 v2, 7, v0 bitop3:0x40
	v_cmp_gt_u32_e64 s13, 8, v9
	s_delay_alu instid0(VALU_DEP_2)
	v_mov_b64_e32 v[8:9], v[2:3]
	s_and_saveexec_b32 s76, s13
; %bb.10410:                            ;   in Loop: Header=BB6_9936 Depth=3
	v_clz_i32_u32_e32 v8, v2
	s_delay_alu instid0(VALU_DEP_1) | instskip(NEXT) | instid1(VALU_DEP_1)
	v_min_u32_e32 v13, 32, v8
	v_subrev_nc_u32_e32 v8, 28, v13
	s_delay_alu instid0(VALU_DEP_1) | instskip(NEXT) | instid1(VALU_DEP_1)
	v_lshlrev_b64_e32 v[8:9], v8, v[2:3]
	v_dual_sub_nc_u32 v13, 29, v13 :: v_dual_bitop2_b32 v8, 7, v8 bitop3:0x40
; %bb.10411:                            ;   in Loop: Header=BB6_9936 Depth=3
	s_or_b32 exec_lo, exec_lo, s76
	v_lshlrev_b32_e32 v0, 24, v0
	s_delay_alu instid0(VALU_DEP_2) | instskip(NEXT) | instid1(VALU_DEP_3)
	v_lshlrev_b32_e32 v2, 20, v8
	v_lshl_add_u32 v8, v13, 23, 0x3c000000
	s_delay_alu instid0(VALU_DEP_3) | instskip(NEXT) | instid1(VALU_DEP_1)
	v_and_b32_e32 v0, 0x80000000, v0
	v_or3_b32 v8, v2, v0, v8
.LBB6_10412:                            ;   in Loop: Header=BB6_9936 Depth=3
	s_or_b32 exec_lo, exec_lo, s75
.LBB6_10413:                            ;   in Loop: Header=BB6_9936 Depth=3
	s_delay_alu instid0(SALU_CYCLE_1)
	s_or_b32 exec_lo, exec_lo, s15
.LBB6_10414:                            ;   in Loop: Header=BB6_9936 Depth=3
	s_delay_alu instid0(SALU_CYCLE_1) | instskip(SKIP_3) | instid1(VALU_DEP_3)
	s_or_b32 exec_lo, exec_lo, s14
	v_lshrrev_b32_e32 v2, 24, v11
	v_bfe_u32 v0, v11, 24, 7
	v_cmp_gt_u64_e64 s15, s[24:25], v[10:11]
	v_cmp_eq_u32_e64 s14, 0x80, v2
	s_delay_alu instid0(VALU_DEP_3) | instskip(NEXT) | instid1(VALU_DEP_2)
	v_cmp_eq_u32_e64 s13, 0x7f, v0
	v_cndmask_b32_e64 v9, 0x7f800001, v125, s14
	s_or_b32 s13, s14, s13
	s_delay_alu instid0(SALU_CYCLE_1) | instskip(NEXT) | instid1(VALU_DEP_1)
	s_nor_b32 s13, s15, s13
	v_cndmask_b32_e64 v9, v9, 0, s15
	s_and_saveexec_b32 s14, s13
	s_cbranch_execz .LBB6_10416
; %bb.10415:                            ;   in Loop: Header=BB6_9936 Depth=3
	v_and_b32_e32 v9, 7, v2
	v_cmp_gt_u32_e64 s13, 8, v0
	s_delay_alu instid0(VALU_DEP_2) | instskip(NEXT) | instid1(VALU_DEP_1)
	v_clz_i32_u32_e32 v10, v9
	v_min_u32_e32 v13, 32, v10
	s_delay_alu instid0(VALU_DEP_1) | instskip(NEXT) | instid1(VALU_DEP_1)
	v_subrev_nc_u32_e32 v10, 28, v13
	v_lshlrev_b64_e32 v[10:11], v10, v[2:3]
	v_dual_lshrrev_b32 v11, 3, v0 :: v_dual_sub_nc_u32 v13, 29, v13
	v_lshlrev_b32_e32 v2, 24, v2
	s_delay_alu instid0(VALU_DEP_2) | instskip(NEXT) | instid1(VALU_DEP_2)
	v_dual_cndmask_b32 v10, v11, v13, s13 :: v_dual_bitop2_b32 v0, 7, v10 bitop3:0x40
	v_and_b32_e32 v2, 0x80000000, v2
	s_delay_alu instid0(VALU_DEP_2) | instskip(NEXT) | instid1(VALU_DEP_3)
	v_cndmask_b32_e64 v0, v9, v0, s13
	v_lshl_add_u32 v9, v10, 23, 0x3c000000
	s_delay_alu instid0(VALU_DEP_2) | instskip(NEXT) | instid1(VALU_DEP_1)
	v_lshlrev_b32_e32 v0, 20, v0
	v_or3_b32 v9, v0, v2, v9
.LBB6_10416:                            ;   in Loop: Header=BB6_9936 Depth=3
	s_or_b32 exec_lo, exec_lo, s14
	s_delay_alu instid0(VALU_DEP_1) | instskip(SKIP_1) | instid1(VALU_DEP_1)
	v_add_f32_e32 v8, v8, v9
                                        ; implicit-def: $vgpr0
	s_mov_b32 s14, exec_lo
	v_and_b32_e32 v2, 0x7f800000, v8
	v_lshrrev_b32_e32 v9, 24, v8
	s_delay_alu instid0(VALU_DEP_2)
	v_cmpx_ne_u64_e32 0x7f800000, v[2:3]
	s_xor_b32 s15, exec_lo, s14
	s_cbranch_execz .LBB6_10430
; %bb.10417:                            ;   in Loop: Header=BB6_9936 Depth=3
	v_and_b32_e32 v2, 0x7fffffff, v8
	v_and_b32_e32 v13, 0x80, v9
                                        ; implicit-def: $vgpr0
	s_mov_b32 s14, exec_lo
	s_delay_alu instid0(VALU_DEP_2)
	v_cmpx_gt_u64_e32 0x43e00001, v[2:3]
	s_xor_b32 s75, exec_lo, s14
	s_cbranch_execz .LBB6_10427
; %bb.10418:                            ;   in Loop: Header=BB6_9936 Depth=3
	v_mov_b32_e32 v0, 0
	s_mov_b32 s76, exec_lo
	v_cmpx_ne_u32_e32 0, v8
	s_cbranch_execz .LBB6_10426
; %bb.10419:                            ;   in Loop: Header=BB6_9936 Depth=3
	v_bfe_u32 v0, v8, 23, 8
	s_delay_alu instid0(VALU_DEP_1) | instskip(SKIP_1) | instid1(VALU_DEP_1)
	v_sub_nc_u32_e32 v2, 0x79, v0
	v_cmp_gt_u32_e64 s13, 0x7a, v0
	v_cndmask_b32_e64 v2, 0, v2, s13
	v_cmp_eq_u32_e64 s13, 0, v0
	s_delay_alu instid0(VALU_DEP_1) | instskip(SKIP_1) | instid1(VALU_DEP_2)
	v_cndmask_b32_e64 v14, v2, 0x78, s13
	v_and_b32_e32 v2, 0x7fffff, v8
	v_dual_add_nc_u32 v8, 20, v14 :: v_dual_add_nc_u32 v11, 19, v14
	s_delay_alu instid0(VALU_DEP_2) | instskip(NEXT) | instid1(VALU_DEP_2)
	v_or_b32_e32 v10, 0x800000, v2
	v_lshlrev_b64_e64 v[8:9], v8, -1
	s_delay_alu instid0(VALU_DEP_2) | instskip(NEXT) | instid1(VALU_DEP_4)
	v_cndmask_b32_e64 v2, v10, v2, s13
	v_lshlrev_b64_e64 v[10:11], v11, 1
	s_delay_alu instid0(VALU_DEP_3) | instskip(NEXT) | instid1(VALU_DEP_3)
	v_bfi_b32 v49, v9, 0, 0
	v_bfi_b32 v48, v8, 0, v2
	v_lshrrev_b64 v[8:9], v14, v[2:3]
	s_delay_alu instid0(VALU_DEP_2) | instskip(NEXT) | instid1(VALU_DEP_2)
	v_cmp_eq_u64_e64 s14, v[48:49], v[10:11]
	v_mov_b64_e32 v[10:11], v[8:9]
	s_and_saveexec_b32 s77, s14
; %bb.10420:                            ;   in Loop: Header=BB6_9936 Depth=3
	v_bfe_u32 v2, v8, 20, 1
	s_delay_alu instid0(VALU_DEP_1) | instskip(NEXT) | instid1(VALU_DEP_1)
	v_add_nc_u64_e32 v[10:11], v[8:9], v[2:3]
	v_add_nc_u64_e32 v[10:11], -1, v[10:11]
; %bb.10421:                            ;   in Loop: Header=BB6_9936 Depth=3
	s_or_b32 exec_lo, exec_lo, s77
	v_add_nc_u32_e32 v0, 0xffffff81, v0
	v_lshrrev_b32_e32 v2, 23, v8
	s_mov_b32 s14, exec_lo
	s_delay_alu instid0(VALU_DEP_2) | instskip(NEXT) | instid1(VALU_DEP_1)
	v_cndmask_b32_e64 v0, v0, 0xffffff82, s13
	v_add3_u32 v11, v14, v0, v2
	v_and_b32_e32 v0, 0xfffff, v10
	s_delay_alu instid0(VALU_DEP_1) | instskip(NEXT) | instid1(VALU_DEP_1)
	v_dual_add_nc_u32 v10, 6, v11 :: v_dual_add_nc_u32 v2, v0, v8
                                        ; implicit-def: $vgpr8_vgpr9
                                        ; implicit-def: $vgpr0
	v_cmpx_ne_u32_e32 0, v10
	s_xor_b32 s14, exec_lo, s14
; %bb.10422:                            ;   in Loop: Header=BB6_9936 Depth=3
	s_delay_alu instid0(VALU_DEP_2) | instskip(SKIP_1) | instid1(VALU_DEP_2)
	v_cmp_lt_u64_e64 s13, 0xffffff, v[2:3]
	v_add_nc_u32_e32 v0, 7, v11
	v_cndmask_b32_e64 v8, 0, 1, s13
	s_delay_alu instid0(VALU_DEP_2) | instskip(NEXT) | instid1(VALU_DEP_2)
	v_cndmask_b32_e64 v0, v10, v0, s13
	v_lshrrev_b64 v[8:9], v8, v[2:3]
; %bb.10423:                            ;   in Loop: Header=BB6_9936 Depth=3
	s_and_not1_saveexec_b32 s13, s14
; %bb.10424:                            ;   in Loop: Header=BB6_9936 Depth=3
	v_mov_b64_e32 v[8:9], v[2:3]
	v_bfe_u32 v0, v2, 23, 1
; %bb.10425:                            ;   in Loop: Header=BB6_9936 Depth=3
	s_or_b32 exec_lo, exec_lo, s13
	s_delay_alu instid0(VALU_DEP_2) | instskip(NEXT) | instid1(VALU_DEP_2)
	v_lshrrev_b64 v[8:9], 20, v[8:9]
	v_cmp_gt_i32_e64 s13, 16, v0
	v_min_i32_e32 v2, 15, v0
	v_cmp_eq_u32_e64 s14, 0, v0
	s_delay_alu instid0(VALU_DEP_2) | instskip(SKIP_1) | instid1(VALU_DEP_2)
	v_dual_cndmask_b32 v9, 0, v9, s13 :: v_dual_lshlrev_b32 v2, 3, v2
	v_cndmask_b32_e64 v8, 7, v8, s13
	v_and_b32_e32 v2, 0xf8, v2
	s_delay_alu instid0(VALU_DEP_2) | instskip(NEXT) | instid1(VALU_DEP_2)
	v_cmp_eq_u64_e64 s13, 0, v[8:9]
	v_and_or_b32 v0, v8, 7, v2
	s_and_b32 s13, s14, s13
	s_delay_alu instid0(VALU_DEP_1) | instid1(SALU_CYCLE_1)
	v_cndmask_b32_e64 v0, v0, 0, s13
	s_delay_alu instid0(VALU_DEP_1)
	v_or_b32_e32 v0, v0, v13
.LBB6_10426:                            ;   in Loop: Header=BB6_9936 Depth=3
	s_or_b32 exec_lo, exec_lo, s76
                                        ; implicit-def: $vgpr13
.LBB6_10427:                            ;   in Loop: Header=BB6_9936 Depth=3
	s_and_not1_saveexec_b32 s13, s75
; %bb.10428:                            ;   in Loop: Header=BB6_9936 Depth=3
	v_or_b32_e32 v0, 0x7e, v13
; %bb.10429:                            ;   in Loop: Header=BB6_9936 Depth=3
	s_or_b32 exec_lo, exec_lo, s13
                                        ; implicit-def: $vgpr9
.LBB6_10430:                            ;   in Loop: Header=BB6_9936 Depth=3
	s_and_not1_saveexec_b32 s13, s15
	s_cbranch_execz .LBB6_9935
; %bb.10431:                            ;   in Loop: Header=BB6_9936 Depth=3
	v_or_b32_e32 v0, 0x7f, v9
	s_branch .LBB6_9935
.LBB6_10432:                            ;   in Loop: Header=BB6_4163 Depth=2
	s_or_b32 exec_lo, exec_lo, s74
.LBB6_10433:                            ;   in Loop: Header=BB6_4163 Depth=2
	s_delay_alu instid0(SALU_CYCLE_1) | instskip(SKIP_3) | instid1(VALU_DEP_1)
	s_or_b32 exec_lo, exec_lo, s45
	v_dual_mov_b32 v1, 0 :: v_dual_bitop2_b32 v0, 15, v75 bitop3:0x40
	s_mov_b32 s14, 0
	s_mov_b32 s15, exec_lo
                                        ; implicit-def: $vgpr5
                                        ; implicit-def: $vgpr2
	v_cndmask_b32_e32 v4, v32, v0, vcc_lo
	s_delay_alu instid0(VALU_DEP_1)
	v_cmpx_ne_u32_e32 0, v4
	s_cbranch_execz .LBB6_10435
; %bb.10434:                            ;   in Loop: Header=BB6_4163 Depth=2
	v_cmp_lt_i32_e64 s13, 0, v33
	s_mov_b32 s14, exec_lo
	v_sub_nc_u32_e32 v0, v32, v0
	v_cndmask_b32_e64 v1, 0, v84, s13
	s_delay_alu instid0(VALU_DEP_1) | instskip(NEXT) | instid1(VALU_DEP_1)
	v_dual_cndmask_b32 v0, 0, v0 :: v_dual_sub_nc_u32 v1, v1, v33
	v_lshl_add_u32 v5, v1, 5, v31
	s_delay_alu instid0(VALU_DEP_1) | instskip(NEXT) | instid1(VALU_DEP_1)
	v_ashrrev_i32_e32 v1, 31, v5
	v_lshrrev_b32_e32 v1, 27, v1
	s_delay_alu instid0(VALU_DEP_1) | instskip(SKIP_1) | instid1(VALU_DEP_2)
	v_add_nc_u32_e32 v2, v5, v1
	v_add3_u32 v1, v29, v28, v0
	v_ashrrev_i32_e32 v2, 5, v2
.LBB6_10435:                            ;   in Loop: Header=BB6_4163 Depth=2
	s_or_b32 exec_lo, exec_lo, s15
	s_delay_alu instid0(SALU_CYCLE_1)
	s_and_b32 s13, s14, exec_lo
.LBB6_10436:                            ;   in Loop: Header=BB6_4163 Depth=2
	s_or_b32 exec_lo, exec_lo, s44
	s_and_saveexec_b32 s14, s13
	s_cbranch_execz .LBB6_11633
.LBB6_10437:                            ;   in Loop: Header=BB6_4163 Depth=2
	v_ashrrev_i32_e32 v0, 31, v4
	s_mov_b32 s15, exec_lo
	s_delay_alu instid0(VALU_DEP_1) | instskip(NEXT) | instid1(VALU_DEP_1)
	v_lshrrev_b32_e32 v0, 22, v0
	v_add_nc_u32_e32 v0, v4, v0
	s_delay_alu instid0(VALU_DEP_1) | instskip(NEXT) | instid1(VALU_DEP_1)
	v_ashrrev_i32_e32 v19, 10, v0
	v_sub_nc_u32_e32 v18, v19, v2
	s_delay_alu instid0(VALU_DEP_1)
	v_cmpx_lt_i32_e32 0, v18
	s_cbranch_execz .LBB6_11593
; %bb.10438:                            ;   in Loop: Header=BB6_4163 Depth=2
	s_trap 2
	scratch_load_b64 v[8:9], off, s33 offset:256 th:TH_LOAD_LU ; 8-byte Folded Reload
	v_dual_ashrrev_i32 v0, 31, v5 :: v_dual_lshlrev_b32 v2, 10, v2
	s_mov_b32 s44, 0
	s_delay_alu instid0(VALU_DEP_1) | instskip(NEXT) | instid1(VALU_DEP_1)
	v_lshrrev_b32_e32 v0, 27, v0
	v_add_nc_u32_e32 v0, v5, v0
	s_delay_alu instid0(VALU_DEP_1) | instskip(SKIP_2) | instid1(VALU_DEP_1)
	v_and_b32_e32 v0, 0xffffffe0, v0
	ds_load_b64 v[10:11], v0
	v_sub_nc_u32_e32 v0, v5, v0
	v_add3_u32 v12, v1, v0, v2
	s_delay_alu instid0(VALU_DEP_1) | instskip(SKIP_1) | instid1(VALU_DEP_1)
	v_ashrrev_i32_e32 v13, 31, v12
	s_wait_dscnt 0x0
	v_add_nc_u64_e32 v[10:11], v[10:11], v[12:13]
	s_wait_loadcnt 0x0
	v_add_nc_u64_e32 v[14:15], 0x3e0, v[8:9]
	scratch_load_b64 v[8:9], off, s33 offset:248 th:TH_LOAD_LU ; 8-byte Folded Reload
	s_wait_loadcnt 0x0
	v_add_nc_u64_e32 v[8:9], v[12:13], v[8:9]
	v_add_nc_u64_e32 v[12:13], v[14:15], v[12:13]
	s_branch .LBB6_10440
.LBB6_10439:                            ;   in Loop: Header=BB6_10440 Depth=3
	s_or_b32 exec_lo, exec_lo, s13
	v_sub_nc_u32_e32 v18, v18, v84
	s_clause 0x1f
	flat_store_b8 v[12:13], v22 offset:-992 th:TH_STORE_NT
	flat_store_b8 v[12:13], v25 offset:-960 th:TH_STORE_NT
	;; [unrolled: 1-line block ×31, first 2 shown]
	flat_store_b8 v[12:13], v2 th:TH_STORE_NT
	v_add_nc_u64_e32 v[8:9], v[8:9], v[114:115]
	v_add_nc_u64_e32 v[10:11], v[10:11], v[114:115]
	v_cmp_gt_i32_e32 vcc_lo, 1, v18
	s_wait_xcnt 0x0
	v_add_nc_u64_e32 v[12:13], v[12:13], v[114:115]
	s_or_b32 s44, vcc_lo, s44
	s_delay_alu instid0(SALU_CYCLE_1)
	s_and_not1_b32 exec_lo, exec_lo, s44
	s_cbranch_execz .LBB6_11592
.LBB6_10440:                            ;   Parent Loop BB6_47 Depth=1
                                        ;     Parent Loop BB6_4163 Depth=2
                                        ; =>    This Inner Loop Header: Depth=3
	s_clause 0x1f
	flat_load_u8 v17, v[8:9] th:TH_LOAD_NT
	flat_load_u8 v67, v[8:9] offset:32 th:TH_LOAD_NT
	flat_load_u8 v66, v[8:9] offset:64 th:TH_LOAD_NT
	;; [unrolled: 1-line block ×31, first 2 shown]
	s_clause 0x1f
	flat_load_u8 v16, v[10:11] th:TH_LOAD_NT
	flat_load_u8 v25, v[10:11] offset:32 th:TH_LOAD_NT
	flat_load_u8 v28, v[10:11] offset:64 th:TH_LOAD_NT
	;; [unrolled: 1-line block ×31, first 2 shown]
	v_dual_mov_b32 v22, 0 :: v_dual_mov_b32 v110, 0
	s_mov_b32 s13, exec_lo
	s_wait_loadcnt_dscnt 0x3e3e
	s_wait_xcnt 0x0
	v_cmpx_ne_u16_e32 0, v17
	s_cbranch_execz .LBB6_10448
; %bb.10441:                            ;   in Loop: Header=BB6_10440 Depth=3
	v_bfrev_b32_e32 v110, 1
	s_mov_b32 s45, exec_lo
	v_cmpx_ne_u16_e32 0x80, v17
	s_cbranch_execz .LBB6_10447
; %bb.10442:                            ;   in Loop: Header=BB6_10440 Depth=3
	v_and_b32_e32 v0, 0xffff, v17
	v_mov_b32_e32 v110, 0x7f800001
	s_mov_b32 s74, exec_lo
	s_delay_alu instid0(VALU_DEP_2) | instskip(NEXT) | instid1(VALU_DEP_1)
	v_and_b32_e32 v14, 0x7f, v0
	v_cmpx_ne_u32_e32 0x7f, v14
	s_cbranch_execz .LBB6_10446
; %bb.10443:                            ;   in Loop: Header=BB6_10440 Depth=3
	v_dual_lshrrev_b32 v0, 3, v14 :: v_dual_bitop2_b32 v2, 7, v0 bitop3:0x40
	v_cmp_gt_u32_e32 vcc_lo, 8, v14
	s_delay_alu instid0(VALU_DEP_2)
	v_mov_b64_e32 v[14:15], v[2:3]
	s_and_saveexec_b32 s75, vcc_lo
; %bb.10444:                            ;   in Loop: Header=BB6_10440 Depth=3
	v_clz_i32_u32_e32 v0, v2
	s_delay_alu instid0(VALU_DEP_1) | instskip(NEXT) | instid1(VALU_DEP_1)
	v_min_u32_e32 v0, 32, v0
	v_subrev_nc_u32_e32 v14, 28, v0
	s_delay_alu instid0(VALU_DEP_1) | instskip(NEXT) | instid1(VALU_DEP_1)
	v_lshlrev_b64_e32 v[14:15], v14, v[2:3]
	v_dual_sub_nc_u32 v0, 29, v0 :: v_dual_bitop2_b32 v14, 7, v14 bitop3:0x40
; %bb.10445:                            ;   in Loop: Header=BB6_10440 Depth=3
	s_or_b32 exec_lo, exec_lo, s75
	s_delay_alu instid0(VALU_DEP_1) | instskip(NEXT) | instid1(VALU_DEP_2)
	v_dual_lshlrev_b32 v2, 24, v17 :: v_dual_lshlrev_b32 v14, 20, v14
	v_lshl_add_u32 v0, v0, 23, 0x3c000000
	s_delay_alu instid0(VALU_DEP_2) | instskip(NEXT) | instid1(VALU_DEP_1)
	v_and_b32_e32 v2, 0x80000000, v2
	v_or3_b32 v110, v14, v2, v0
.LBB6_10446:                            ;   in Loop: Header=BB6_10440 Depth=3
	s_or_b32 exec_lo, exec_lo, s74
.LBB6_10447:                            ;   in Loop: Header=BB6_10440 Depth=3
	s_delay_alu instid0(SALU_CYCLE_1)
	s_or_b32 exec_lo, exec_lo, s45
.LBB6_10448:                            ;   in Loop: Header=BB6_10440 Depth=3
	s_delay_alu instid0(SALU_CYCLE_1) | instskip(SKIP_3) | instid1(VALU_DEP_1)
	s_or_b32 exec_lo, exec_lo, s13
	s_wait_loadcnt_dscnt 0x1f1f
	v_and_b32_e32 v0, 0xff, v16
	s_mov_b32 s13, exec_lo
	v_cmpx_ne_u16_e32 0, v0
	s_cbranch_execz .LBB6_10456
; %bb.10449:                            ;   in Loop: Header=BB6_10440 Depth=3
	v_bfrev_b32_e32 v22, 1
	s_mov_b32 s45, exec_lo
	v_cmpx_ne_u16_e32 0x80, v0
	s_cbranch_execz .LBB6_10455
; %bb.10450:                            ;   in Loop: Header=BB6_10440 Depth=3
	v_and_b32_e32 v14, 0x7f, v16
	v_mov_b32_e32 v22, 0x7f800001
	s_mov_b32 s74, exec_lo
	s_delay_alu instid0(VALU_DEP_2)
	v_cmpx_ne_u32_e32 0x7f, v14
	s_cbranch_execz .LBB6_10454
; %bb.10451:                            ;   in Loop: Header=BB6_10440 Depth=3
	v_dual_lshrrev_b32 v0, 3, v14 :: v_dual_bitop2_b32 v2, 7, v0 bitop3:0x40
	v_cmp_gt_u32_e32 vcc_lo, 8, v14
	s_delay_alu instid0(VALU_DEP_2)
	v_mov_b64_e32 v[14:15], v[2:3]
	s_and_saveexec_b32 s75, vcc_lo
; %bb.10452:                            ;   in Loop: Header=BB6_10440 Depth=3
	v_clz_i32_u32_e32 v0, v2
	s_delay_alu instid0(VALU_DEP_1) | instskip(NEXT) | instid1(VALU_DEP_1)
	v_min_u32_e32 v0, 32, v0
	v_subrev_nc_u32_e32 v14, 28, v0
	s_delay_alu instid0(VALU_DEP_1) | instskip(NEXT) | instid1(VALU_DEP_1)
	v_lshlrev_b64_e32 v[14:15], v14, v[2:3]
	v_dual_sub_nc_u32 v0, 29, v0 :: v_dual_bitop2_b32 v14, 7, v14 bitop3:0x40
; %bb.10453:                            ;   in Loop: Header=BB6_10440 Depth=3
	s_or_b32 exec_lo, exec_lo, s75
	s_delay_alu instid0(VALU_DEP_1) | instskip(NEXT) | instid1(VALU_DEP_2)
	v_dual_lshlrev_b32 v2, 24, v16 :: v_dual_lshlrev_b32 v14, 20, v14
	v_lshl_add_u32 v0, v0, 23, 0x3c000000
	s_delay_alu instid0(VALU_DEP_2) | instskip(NEXT) | instid1(VALU_DEP_1)
	v_and_b32_e32 v2, 0x80000000, v2
	v_or3_b32 v22, v14, v2, v0
.LBB6_10454:                            ;   in Loop: Header=BB6_10440 Depth=3
	s_or_b32 exec_lo, exec_lo, s74
.LBB6_10455:                            ;   in Loop: Header=BB6_10440 Depth=3
	s_delay_alu instid0(SALU_CYCLE_1)
	s_or_b32 exec_lo, exec_lo, s45
.LBB6_10456:                            ;   in Loop: Header=BB6_10440 Depth=3
	s_delay_alu instid0(SALU_CYCLE_1) | instskip(NEXT) | instid1(VALU_DEP_1)
	s_or_b32 exec_lo, exec_lo, s13
	v_add_f32_e32 v0, v110, v22
                                        ; implicit-def: $vgpr22
	s_mov_b32 s13, exec_lo
	s_delay_alu instid0(VALU_DEP_1) | instskip(NEXT) | instid1(VALU_DEP_1)
	v_and_b32_e32 v2, 0x7f800000, v0
	v_cmpx_ne_u64_e32 0x7f800000, v[2:3]
	s_xor_b32 s45, exec_lo, s13
	s_cbranch_execz .LBB6_10474
; %bb.10457:                            ;   in Loop: Header=BB6_10440 Depth=3
	v_lshrrev_b32_e32 v14, 24, v0
	v_and_b32_e32 v2, 0x7fffffff, v0
                                        ; implicit-def: $vgpr22
	s_mov_b32 s13, exec_lo
	s_delay_alu instid0(VALU_DEP_2) | instskip(NEXT) | instid1(VALU_DEP_2)
	v_and_b32_e32 v110, 0x80, v14
	v_cmpx_gt_u64_e32 0x43e00001, v[2:3]
	s_xor_b32 s74, exec_lo, s13
	s_cbranch_execz .LBB6_10471
; %bb.10458:                            ;   in Loop: Header=BB6_10440 Depth=3
	v_mov_b32_e32 v22, 0
	s_mov_b32 s75, exec_lo
	v_cmpx_ne_u32_e32 0, v0
	s_cbranch_execz .LBB6_10470
; %bb.10459:                            ;   in Loop: Header=BB6_10440 Depth=3
	v_bfe_u32 v22, v0, 23, 8
	v_and_b32_e32 v2, 0x7fffff, v0
	s_delay_alu instid0(VALU_DEP_2) | instskip(SKIP_2) | instid1(VALU_DEP_4)
	v_cmp_gt_u32_e64 s13, 0x7a, v22
	v_sub_nc_u32_e32 v0, 0x79, v22
	v_cmp_eq_u32_e32 vcc_lo, 0, v22
	v_or_b32_e32 v14, 0x800000, v2
	s_delay_alu instid0(VALU_DEP_1) | instskip(NEXT) | instid1(VALU_DEP_1)
	v_dual_cndmask_b32 v0, 0, v0, s13 :: v_dual_cndmask_b32 v2, v14, v2, vcc_lo
	v_cndmask_b32_e64 v0, v0, 0x78, vcc_lo
	s_delay_alu instid0(VALU_DEP_1) | instskip(NEXT) | instid1(VALU_DEP_1)
	v_dual_add_nc_u32 v14, 20, v0 :: v_dual_add_nc_u32 v16, 19, v0
	v_lshlrev_b64_e64 v[14:15], v14, -1
	s_delay_alu instid0(VALU_DEP_2) | instskip(NEXT) | instid1(VALU_DEP_2)
	v_lshlrev_b64_e64 v[16:17], v16, 1
	v_bfi_b32 v15, v15, 0, 0
	s_delay_alu instid0(VALU_DEP_3) | instskip(NEXT) | instid1(VALU_DEP_1)
	v_bfi_b32 v14, v14, 0, v2
	v_cmp_eq_u64_e64 s13, v[14:15], v[16:17]
	v_lshrrev_b64 v[14:15], v0, v[2:3]
	s_delay_alu instid0(VALU_DEP_1)
	v_mov_b64_e32 v[16:17], v[14:15]
	s_and_saveexec_b32 s76, s13
; %bb.10460:                            ;   in Loop: Header=BB6_10440 Depth=3
	v_bfe_u32 v2, v14, 20, 1
	s_delay_alu instid0(VALU_DEP_1) | instskip(NEXT) | instid1(VALU_DEP_1)
	v_add_nc_u64_e32 v[16:17], v[14:15], v[2:3]
	v_add_nc_u64_e32 v[16:17], -1, v[16:17]
; %bb.10461:                            ;   in Loop: Header=BB6_10440 Depth=3
	s_or_b32 exec_lo, exec_lo, s76
	v_add_nc_u32_e32 v2, 0xffffff81, v22
	v_lshrrev_b32_e32 v15, 23, v14
	s_mov_b32 s13, exec_lo
	s_delay_alu instid0(VALU_DEP_2) | instskip(NEXT) | instid1(VALU_DEP_1)
	v_cndmask_b32_e64 v2, v2, 0xffffff82, vcc_lo
	v_add3_u32 v17, v0, v2, v15
	v_and_b32_e32 v0, 0xfffff, v16
	s_delay_alu instid0(VALU_DEP_1) | instskip(NEXT) | instid1(VALU_DEP_1)
	v_dual_add_nc_u32 v16, 6, v17 :: v_dual_add_nc_u32 v2, v0, v14
                                        ; implicit-def: $vgpr14_vgpr15
                                        ; implicit-def: $vgpr0
	v_cmpx_ne_u32_e32 0, v16
	s_xor_b32 s13, exec_lo, s13
; %bb.10462:                            ;   in Loop: Header=BB6_10440 Depth=3
	s_delay_alu instid0(VALU_DEP_2) | instskip(SKIP_2) | instid1(VALU_DEP_2)
	v_cmp_lt_u64_e32 vcc_lo, 0xffffff, v[2:3]
	v_add_nc_u32_e32 v0, 7, v17
	v_cndmask_b32_e64 v14, 0, 1, vcc_lo
	v_cndmask_b32_e32 v0, v16, v0, vcc_lo
	s_delay_alu instid0(VALU_DEP_2)
	v_lshrrev_b64 v[14:15], v14, v[2:3]
; %bb.10463:                            ;   in Loop: Header=BB6_10440 Depth=3
	s_and_not1_saveexec_b32 s13, s13
; %bb.10464:                            ;   in Loop: Header=BB6_10440 Depth=3
	v_mov_b64_e32 v[14:15], v[2:3]
	v_bfe_u32 v0, v2, 23, 1
; %bb.10465:                            ;   in Loop: Header=BB6_10440 Depth=3
	s_or_b32 exec_lo, exec_lo, s13
	s_delay_alu instid0(VALU_DEP_2) | instskip(NEXT) | instid1(VALU_DEP_2)
	v_lshrrev_b64 v[14:15], 20, v[14:15]
	v_cmp_gt_i32_e32 vcc_lo, 16, v0
	v_cmp_ne_u32_e64 s13, 0, v0
                                        ; implicit-def: $vgpr22
	s_delay_alu instid0(VALU_DEP_3) | instskip(NEXT) | instid1(VALU_DEP_1)
	v_dual_cndmask_b32 v15, 0, v15 :: v_dual_cndmask_b32 v14, 7, v14
	v_cmp_ne_u64_e32 vcc_lo, 0, v[14:15]
	s_or_b32 s13, s13, vcc_lo
	s_delay_alu instid0(SALU_CYCLE_1) | instskip(NEXT) | instid1(SALU_CYCLE_1)
	s_and_saveexec_b32 s76, s13
	s_xor_b32 s13, exec_lo, s76
; %bb.10466:                            ;   in Loop: Header=BB6_10440 Depth=3
	v_min_i32_e32 v0, 15, v0
	s_delay_alu instid0(VALU_DEP_1) | instskip(NEXT) | instid1(VALU_DEP_1)
	v_lshl_or_b32 v0, v0, 3, v110
                                        ; implicit-def: $vgpr110
	v_and_or_b32 v22, v14, 7, v0
; %bb.10467:                            ;   in Loop: Header=BB6_10440 Depth=3
	s_and_not1_saveexec_b32 s13, s13
; %bb.10468:                            ;   in Loop: Header=BB6_10440 Depth=3
	v_mov_b32_e32 v22, v110
; %bb.10469:                            ;   in Loop: Header=BB6_10440 Depth=3
	s_or_b32 exec_lo, exec_lo, s13
.LBB6_10470:                            ;   in Loop: Header=BB6_10440 Depth=3
	s_delay_alu instid0(SALU_CYCLE_1)
	s_or_b32 exec_lo, exec_lo, s75
                                        ; implicit-def: $vgpr110
.LBB6_10471:                            ;   in Loop: Header=BB6_10440 Depth=3
	s_and_not1_saveexec_b32 s13, s74
; %bb.10472:                            ;   in Loop: Header=BB6_10440 Depth=3
	v_or_b32_e32 v22, 0x7e, v110
; %bb.10473:                            ;   in Loop: Header=BB6_10440 Depth=3
	s_or_b32 exec_lo, exec_lo, s13
                                        ; implicit-def: $vgpr0
.LBB6_10474:                            ;   in Loop: Header=BB6_10440 Depth=3
	s_and_not1_saveexec_b32 s13, s45
; %bb.10475:                            ;   in Loop: Header=BB6_10440 Depth=3
	v_lshrrev_b32_e32 v0, 24, v0
	s_delay_alu instid0(VALU_DEP_1)
	v_or_b32_e32 v22, 0x7f, v0
; %bb.10476:                            ;   in Loop: Header=BB6_10440 Depth=3
	s_or_b32 exec_lo, exec_lo, s13
	v_and_b32_e32 v0, 0xff, v67
	v_dual_mov_b32 v16, 0 :: v_dual_mov_b32 v17, 0
	s_mov_b32 s13, exec_lo
	s_delay_alu instid0(VALU_DEP_2)
	v_cmpx_ne_u16_e32 0, v0
	s_cbranch_execz .LBB6_10484
; %bb.10477:                            ;   in Loop: Header=BB6_10440 Depth=3
	v_bfrev_b32_e32 v17, 1
	s_mov_b32 s45, exec_lo
	v_cmpx_ne_u16_e32 0x80, v0
	s_cbranch_execz .LBB6_10483
; %bb.10478:                            ;   in Loop: Header=BB6_10440 Depth=3
	v_and_b32_e32 v14, 0x7f, v67
	v_mov_b32_e32 v17, 0x7f800001
	s_mov_b32 s74, exec_lo
	s_delay_alu instid0(VALU_DEP_2)
	v_cmpx_ne_u32_e32 0x7f, v14
	s_cbranch_execz .LBB6_10482
; %bb.10479:                            ;   in Loop: Header=BB6_10440 Depth=3
	v_dual_lshrrev_b32 v0, 3, v14 :: v_dual_bitop2_b32 v2, 7, v0 bitop3:0x40
	v_cmp_gt_u32_e32 vcc_lo, 8, v14
	s_delay_alu instid0(VALU_DEP_2)
	v_mov_b64_e32 v[14:15], v[2:3]
	s_and_saveexec_b32 s75, vcc_lo
; %bb.10480:                            ;   in Loop: Header=BB6_10440 Depth=3
	v_clz_i32_u32_e32 v0, v2
	s_delay_alu instid0(VALU_DEP_1) | instskip(NEXT) | instid1(VALU_DEP_1)
	v_min_u32_e32 v0, 32, v0
	v_subrev_nc_u32_e32 v14, 28, v0
	s_delay_alu instid0(VALU_DEP_1) | instskip(NEXT) | instid1(VALU_DEP_1)
	v_lshlrev_b64_e32 v[14:15], v14, v[2:3]
	v_dual_sub_nc_u32 v0, 29, v0 :: v_dual_bitop2_b32 v14, 7, v14 bitop3:0x40
; %bb.10481:                            ;   in Loop: Header=BB6_10440 Depth=3
	s_or_b32 exec_lo, exec_lo, s75
	s_delay_alu instid0(VALU_DEP_1) | instskip(NEXT) | instid1(VALU_DEP_2)
	v_dual_lshlrev_b32 v2, 24, v67 :: v_dual_lshlrev_b32 v14, 20, v14
	v_lshl_add_u32 v0, v0, 23, 0x3c000000
	s_delay_alu instid0(VALU_DEP_2) | instskip(NEXT) | instid1(VALU_DEP_1)
	v_and_b32_e32 v2, 0x80000000, v2
	v_or3_b32 v17, v14, v2, v0
.LBB6_10482:                            ;   in Loop: Header=BB6_10440 Depth=3
	s_or_b32 exec_lo, exec_lo, s74
.LBB6_10483:                            ;   in Loop: Header=BB6_10440 Depth=3
	s_delay_alu instid0(SALU_CYCLE_1)
	s_or_b32 exec_lo, exec_lo, s45
.LBB6_10484:                            ;   in Loop: Header=BB6_10440 Depth=3
	s_delay_alu instid0(SALU_CYCLE_1) | instskip(SKIP_3) | instid1(VALU_DEP_1)
	s_or_b32 exec_lo, exec_lo, s13
	s_wait_loadcnt_dscnt 0x1e1e
	v_and_b32_e32 v0, 0xff, v25
	s_mov_b32 s13, exec_lo
	v_cmpx_ne_u16_e32 0, v0
	s_cbranch_execz .LBB6_10492
; %bb.10485:                            ;   in Loop: Header=BB6_10440 Depth=3
	v_bfrev_b32_e32 v16, 1
	s_mov_b32 s45, exec_lo
	v_cmpx_ne_u16_e32 0x80, v0
	s_cbranch_execz .LBB6_10491
; %bb.10486:                            ;   in Loop: Header=BB6_10440 Depth=3
	v_and_b32_e32 v14, 0x7f, v25
	v_mov_b32_e32 v16, 0x7f800001
	s_mov_b32 s74, exec_lo
	s_delay_alu instid0(VALU_DEP_2)
	v_cmpx_ne_u32_e32 0x7f, v14
	s_cbranch_execz .LBB6_10490
; %bb.10487:                            ;   in Loop: Header=BB6_10440 Depth=3
	v_dual_lshrrev_b32 v0, 3, v14 :: v_dual_bitop2_b32 v2, 7, v0 bitop3:0x40
	v_cmp_gt_u32_e32 vcc_lo, 8, v14
	s_delay_alu instid0(VALU_DEP_2)
	v_mov_b64_e32 v[14:15], v[2:3]
	s_and_saveexec_b32 s75, vcc_lo
; %bb.10488:                            ;   in Loop: Header=BB6_10440 Depth=3
	v_clz_i32_u32_e32 v0, v2
	s_delay_alu instid0(VALU_DEP_1) | instskip(NEXT) | instid1(VALU_DEP_1)
	v_min_u32_e32 v0, 32, v0
	v_subrev_nc_u32_e32 v14, 28, v0
	s_delay_alu instid0(VALU_DEP_1) | instskip(NEXT) | instid1(VALU_DEP_1)
	v_lshlrev_b64_e32 v[14:15], v14, v[2:3]
	v_dual_sub_nc_u32 v0, 29, v0 :: v_dual_bitop2_b32 v14, 7, v14 bitop3:0x40
; %bb.10489:                            ;   in Loop: Header=BB6_10440 Depth=3
	s_or_b32 exec_lo, exec_lo, s75
	s_delay_alu instid0(VALU_DEP_1) | instskip(NEXT) | instid1(VALU_DEP_2)
	v_dual_lshlrev_b32 v2, 24, v25 :: v_dual_lshlrev_b32 v14, 20, v14
	v_lshl_add_u32 v0, v0, 23, 0x3c000000
	s_delay_alu instid0(VALU_DEP_2) | instskip(NEXT) | instid1(VALU_DEP_1)
	v_and_b32_e32 v2, 0x80000000, v2
	v_or3_b32 v16, v14, v2, v0
.LBB6_10490:                            ;   in Loop: Header=BB6_10440 Depth=3
	s_or_b32 exec_lo, exec_lo, s74
.LBB6_10491:                            ;   in Loop: Header=BB6_10440 Depth=3
	s_delay_alu instid0(SALU_CYCLE_1)
	s_or_b32 exec_lo, exec_lo, s45
.LBB6_10492:                            ;   in Loop: Header=BB6_10440 Depth=3
	s_delay_alu instid0(SALU_CYCLE_1) | instskip(NEXT) | instid1(VALU_DEP_1)
	s_or_b32 exec_lo, exec_lo, s13
	v_add_f32_e32 v0, v17, v16
                                        ; implicit-def: $vgpr25
	s_mov_b32 s13, exec_lo
	s_delay_alu instid0(VALU_DEP_1) | instskip(NEXT) | instid1(VALU_DEP_1)
	v_and_b32_e32 v2, 0x7f800000, v0
	v_cmpx_ne_u64_e32 0x7f800000, v[2:3]
	s_xor_b32 s45, exec_lo, s13
	s_cbranch_execz .LBB6_10510
; %bb.10493:                            ;   in Loop: Header=BB6_10440 Depth=3
	v_lshrrev_b32_e32 v14, 24, v0
	v_and_b32_e32 v2, 0x7fffffff, v0
                                        ; implicit-def: $vgpr25
	s_mov_b32 s13, exec_lo
	s_delay_alu instid0(VALU_DEP_2) | instskip(NEXT) | instid1(VALU_DEP_2)
	v_and_b32_e32 v67, 0x80, v14
	v_cmpx_gt_u64_e32 0x43e00001, v[2:3]
	s_xor_b32 s74, exec_lo, s13
	s_cbranch_execz .LBB6_10507
; %bb.10494:                            ;   in Loop: Header=BB6_10440 Depth=3
	v_mov_b32_e32 v25, 0
	s_mov_b32 s75, exec_lo
	v_cmpx_ne_u32_e32 0, v0
	s_cbranch_execz .LBB6_10506
; %bb.10495:                            ;   in Loop: Header=BB6_10440 Depth=3
	v_bfe_u32 v25, v0, 23, 8
	v_and_b32_e32 v2, 0x7fffff, v0
	s_delay_alu instid0(VALU_DEP_2) | instskip(SKIP_2) | instid1(VALU_DEP_4)
	v_cmp_gt_u32_e64 s13, 0x7a, v25
	v_sub_nc_u32_e32 v0, 0x79, v25
	v_cmp_eq_u32_e32 vcc_lo, 0, v25
	v_or_b32_e32 v14, 0x800000, v2
	s_delay_alu instid0(VALU_DEP_1) | instskip(NEXT) | instid1(VALU_DEP_1)
	v_dual_cndmask_b32 v0, 0, v0, s13 :: v_dual_cndmask_b32 v2, v14, v2, vcc_lo
	v_cndmask_b32_e64 v0, v0, 0x78, vcc_lo
	s_delay_alu instid0(VALU_DEP_1) | instskip(NEXT) | instid1(VALU_DEP_1)
	v_dual_add_nc_u32 v14, 20, v0 :: v_dual_add_nc_u32 v16, 19, v0
	v_lshlrev_b64_e64 v[14:15], v14, -1
	s_delay_alu instid0(VALU_DEP_2) | instskip(NEXT) | instid1(VALU_DEP_2)
	v_lshlrev_b64_e64 v[16:17], v16, 1
	v_bfi_b32 v15, v15, 0, 0
	s_delay_alu instid0(VALU_DEP_3) | instskip(NEXT) | instid1(VALU_DEP_1)
	v_bfi_b32 v14, v14, 0, v2
	v_cmp_eq_u64_e64 s13, v[14:15], v[16:17]
	v_lshrrev_b64 v[14:15], v0, v[2:3]
	s_delay_alu instid0(VALU_DEP_1)
	v_mov_b64_e32 v[16:17], v[14:15]
	s_and_saveexec_b32 s76, s13
; %bb.10496:                            ;   in Loop: Header=BB6_10440 Depth=3
	v_bfe_u32 v2, v14, 20, 1
	s_delay_alu instid0(VALU_DEP_1) | instskip(NEXT) | instid1(VALU_DEP_1)
	v_add_nc_u64_e32 v[16:17], v[14:15], v[2:3]
	v_add_nc_u64_e32 v[16:17], -1, v[16:17]
; %bb.10497:                            ;   in Loop: Header=BB6_10440 Depth=3
	s_or_b32 exec_lo, exec_lo, s76
	v_add_nc_u32_e32 v2, 0xffffff81, v25
	v_lshrrev_b32_e32 v15, 23, v14
	s_mov_b32 s13, exec_lo
	s_delay_alu instid0(VALU_DEP_2) | instskip(NEXT) | instid1(VALU_DEP_1)
	v_cndmask_b32_e64 v2, v2, 0xffffff82, vcc_lo
	v_add3_u32 v17, v0, v2, v15
	v_and_b32_e32 v0, 0xfffff, v16
	s_delay_alu instid0(VALU_DEP_1) | instskip(NEXT) | instid1(VALU_DEP_1)
	v_dual_add_nc_u32 v16, 6, v17 :: v_dual_add_nc_u32 v2, v0, v14
                                        ; implicit-def: $vgpr14_vgpr15
                                        ; implicit-def: $vgpr0
	v_cmpx_ne_u32_e32 0, v16
	s_xor_b32 s13, exec_lo, s13
; %bb.10498:                            ;   in Loop: Header=BB6_10440 Depth=3
	s_delay_alu instid0(VALU_DEP_2) | instskip(SKIP_2) | instid1(VALU_DEP_2)
	v_cmp_lt_u64_e32 vcc_lo, 0xffffff, v[2:3]
	v_add_nc_u32_e32 v0, 7, v17
	v_cndmask_b32_e64 v14, 0, 1, vcc_lo
	v_cndmask_b32_e32 v0, v16, v0, vcc_lo
	s_delay_alu instid0(VALU_DEP_2)
	v_lshrrev_b64 v[14:15], v14, v[2:3]
; %bb.10499:                            ;   in Loop: Header=BB6_10440 Depth=3
	s_and_not1_saveexec_b32 s13, s13
; %bb.10500:                            ;   in Loop: Header=BB6_10440 Depth=3
	v_mov_b64_e32 v[14:15], v[2:3]
	v_bfe_u32 v0, v2, 23, 1
; %bb.10501:                            ;   in Loop: Header=BB6_10440 Depth=3
	s_or_b32 exec_lo, exec_lo, s13
	s_delay_alu instid0(VALU_DEP_2) | instskip(NEXT) | instid1(VALU_DEP_2)
	v_lshrrev_b64 v[14:15], 20, v[14:15]
	v_cmp_gt_i32_e32 vcc_lo, 16, v0
	v_cmp_ne_u32_e64 s13, 0, v0
                                        ; implicit-def: $vgpr25
	s_delay_alu instid0(VALU_DEP_3) | instskip(NEXT) | instid1(VALU_DEP_1)
	v_dual_cndmask_b32 v15, 0, v15 :: v_dual_cndmask_b32 v14, 7, v14
	v_cmp_ne_u64_e32 vcc_lo, 0, v[14:15]
	s_or_b32 s13, s13, vcc_lo
	s_delay_alu instid0(SALU_CYCLE_1) | instskip(NEXT) | instid1(SALU_CYCLE_1)
	s_and_saveexec_b32 s76, s13
	s_xor_b32 s13, exec_lo, s76
; %bb.10502:                            ;   in Loop: Header=BB6_10440 Depth=3
	v_min_i32_e32 v0, 15, v0
	s_delay_alu instid0(VALU_DEP_1) | instskip(NEXT) | instid1(VALU_DEP_1)
	v_lshl_or_b32 v0, v0, 3, v67
                                        ; implicit-def: $vgpr67
	v_and_or_b32 v25, v14, 7, v0
; %bb.10503:                            ;   in Loop: Header=BB6_10440 Depth=3
	s_and_not1_saveexec_b32 s13, s13
; %bb.10504:                            ;   in Loop: Header=BB6_10440 Depth=3
	v_mov_b32_e32 v25, v67
; %bb.10505:                            ;   in Loop: Header=BB6_10440 Depth=3
	s_or_b32 exec_lo, exec_lo, s13
.LBB6_10506:                            ;   in Loop: Header=BB6_10440 Depth=3
	s_delay_alu instid0(SALU_CYCLE_1)
	s_or_b32 exec_lo, exec_lo, s75
                                        ; implicit-def: $vgpr67
.LBB6_10507:                            ;   in Loop: Header=BB6_10440 Depth=3
	s_and_not1_saveexec_b32 s13, s74
; %bb.10508:                            ;   in Loop: Header=BB6_10440 Depth=3
	v_or_b32_e32 v25, 0x7e, v67
; %bb.10509:                            ;   in Loop: Header=BB6_10440 Depth=3
	s_or_b32 exec_lo, exec_lo, s13
                                        ; implicit-def: $vgpr0
.LBB6_10510:                            ;   in Loop: Header=BB6_10440 Depth=3
	s_and_not1_saveexec_b32 s13, s45
; %bb.10511:                            ;   in Loop: Header=BB6_10440 Depth=3
	v_lshrrev_b32_e32 v0, 24, v0
	s_delay_alu instid0(VALU_DEP_1)
	v_or_b32_e32 v25, 0x7f, v0
; %bb.10512:                            ;   in Loop: Header=BB6_10440 Depth=3
	s_or_b32 exec_lo, exec_lo, s13
	v_and_b32_e32 v0, 0xff, v66
	v_dual_mov_b32 v16, 0 :: v_dual_mov_b32 v17, 0
	s_mov_b32 s13, exec_lo
	s_delay_alu instid0(VALU_DEP_2)
	v_cmpx_ne_u16_e32 0, v0
	s_cbranch_execz .LBB6_10520
; %bb.10513:                            ;   in Loop: Header=BB6_10440 Depth=3
	v_bfrev_b32_e32 v17, 1
	s_mov_b32 s45, exec_lo
	v_cmpx_ne_u16_e32 0x80, v0
	s_cbranch_execz .LBB6_10519
; %bb.10514:                            ;   in Loop: Header=BB6_10440 Depth=3
	v_and_b32_e32 v14, 0x7f, v66
	v_mov_b32_e32 v17, 0x7f800001
	s_mov_b32 s74, exec_lo
	s_delay_alu instid0(VALU_DEP_2)
	v_cmpx_ne_u32_e32 0x7f, v14
	s_cbranch_execz .LBB6_10518
; %bb.10515:                            ;   in Loop: Header=BB6_10440 Depth=3
	v_dual_lshrrev_b32 v0, 3, v14 :: v_dual_bitop2_b32 v2, 7, v0 bitop3:0x40
	v_cmp_gt_u32_e32 vcc_lo, 8, v14
	s_delay_alu instid0(VALU_DEP_2)
	v_mov_b64_e32 v[14:15], v[2:3]
	s_and_saveexec_b32 s75, vcc_lo
; %bb.10516:                            ;   in Loop: Header=BB6_10440 Depth=3
	v_clz_i32_u32_e32 v0, v2
	s_delay_alu instid0(VALU_DEP_1) | instskip(NEXT) | instid1(VALU_DEP_1)
	v_min_u32_e32 v0, 32, v0
	v_subrev_nc_u32_e32 v14, 28, v0
	s_delay_alu instid0(VALU_DEP_1) | instskip(NEXT) | instid1(VALU_DEP_1)
	v_lshlrev_b64_e32 v[14:15], v14, v[2:3]
	v_dual_sub_nc_u32 v0, 29, v0 :: v_dual_bitop2_b32 v14, 7, v14 bitop3:0x40
; %bb.10517:                            ;   in Loop: Header=BB6_10440 Depth=3
	s_or_b32 exec_lo, exec_lo, s75
	v_lshlrev_b32_e32 v2, 24, v66
	s_delay_alu instid0(VALU_DEP_2) | instskip(NEXT) | instid1(VALU_DEP_3)
	v_lshlrev_b32_e32 v14, 20, v14
	v_lshl_add_u32 v0, v0, 23, 0x3c000000
	s_delay_alu instid0(VALU_DEP_3) | instskip(NEXT) | instid1(VALU_DEP_1)
	v_and_b32_e32 v2, 0x80000000, v2
	v_or3_b32 v17, v14, v2, v0
.LBB6_10518:                            ;   in Loop: Header=BB6_10440 Depth=3
	s_or_b32 exec_lo, exec_lo, s74
.LBB6_10519:                            ;   in Loop: Header=BB6_10440 Depth=3
	s_delay_alu instid0(SALU_CYCLE_1)
	s_or_b32 exec_lo, exec_lo, s45
.LBB6_10520:                            ;   in Loop: Header=BB6_10440 Depth=3
	s_delay_alu instid0(SALU_CYCLE_1) | instskip(SKIP_3) | instid1(VALU_DEP_1)
	s_or_b32 exec_lo, exec_lo, s13
	s_wait_loadcnt_dscnt 0x1d1d
	v_and_b32_e32 v0, 0xff, v28
	s_mov_b32 s13, exec_lo
	v_cmpx_ne_u16_e32 0, v0
	s_cbranch_execz .LBB6_10528
; %bb.10521:                            ;   in Loop: Header=BB6_10440 Depth=3
	v_bfrev_b32_e32 v16, 1
	s_mov_b32 s45, exec_lo
	v_cmpx_ne_u16_e32 0x80, v0
	s_cbranch_execz .LBB6_10527
; %bb.10522:                            ;   in Loop: Header=BB6_10440 Depth=3
	v_and_b32_e32 v14, 0x7f, v28
	v_mov_b32_e32 v16, 0x7f800001
	s_mov_b32 s74, exec_lo
	s_delay_alu instid0(VALU_DEP_2)
	v_cmpx_ne_u32_e32 0x7f, v14
	s_cbranch_execz .LBB6_10526
; %bb.10523:                            ;   in Loop: Header=BB6_10440 Depth=3
	v_dual_lshrrev_b32 v0, 3, v14 :: v_dual_bitop2_b32 v2, 7, v0 bitop3:0x40
	v_cmp_gt_u32_e32 vcc_lo, 8, v14
	s_delay_alu instid0(VALU_DEP_2)
	v_mov_b64_e32 v[14:15], v[2:3]
	s_and_saveexec_b32 s75, vcc_lo
; %bb.10524:                            ;   in Loop: Header=BB6_10440 Depth=3
	v_clz_i32_u32_e32 v0, v2
	s_delay_alu instid0(VALU_DEP_1) | instskip(NEXT) | instid1(VALU_DEP_1)
	v_min_u32_e32 v0, 32, v0
	v_subrev_nc_u32_e32 v14, 28, v0
	s_delay_alu instid0(VALU_DEP_1) | instskip(NEXT) | instid1(VALU_DEP_1)
	v_lshlrev_b64_e32 v[14:15], v14, v[2:3]
	v_dual_sub_nc_u32 v0, 29, v0 :: v_dual_bitop2_b32 v14, 7, v14 bitop3:0x40
; %bb.10525:                            ;   in Loop: Header=BB6_10440 Depth=3
	s_or_b32 exec_lo, exec_lo, s75
	s_delay_alu instid0(VALU_DEP_1) | instskip(NEXT) | instid1(VALU_DEP_2)
	v_dual_lshlrev_b32 v2, 24, v28 :: v_dual_lshlrev_b32 v14, 20, v14
	v_lshl_add_u32 v0, v0, 23, 0x3c000000
	s_delay_alu instid0(VALU_DEP_2) | instskip(NEXT) | instid1(VALU_DEP_1)
	v_and_b32_e32 v2, 0x80000000, v2
	v_or3_b32 v16, v14, v2, v0
.LBB6_10526:                            ;   in Loop: Header=BB6_10440 Depth=3
	s_or_b32 exec_lo, exec_lo, s74
.LBB6_10527:                            ;   in Loop: Header=BB6_10440 Depth=3
	s_delay_alu instid0(SALU_CYCLE_1)
	s_or_b32 exec_lo, exec_lo, s45
.LBB6_10528:                            ;   in Loop: Header=BB6_10440 Depth=3
	s_delay_alu instid0(SALU_CYCLE_1) | instskip(NEXT) | instid1(VALU_DEP_1)
	s_or_b32 exec_lo, exec_lo, s13
	v_add_f32_e32 v0, v17, v16
                                        ; implicit-def: $vgpr28
	s_mov_b32 s13, exec_lo
	s_delay_alu instid0(VALU_DEP_1) | instskip(NEXT) | instid1(VALU_DEP_1)
	v_and_b32_e32 v2, 0x7f800000, v0
	v_cmpx_ne_u64_e32 0x7f800000, v[2:3]
	s_xor_b32 s45, exec_lo, s13
	s_cbranch_execz .LBB6_10546
; %bb.10529:                            ;   in Loop: Header=BB6_10440 Depth=3
	v_lshrrev_b32_e32 v14, 24, v0
	v_and_b32_e32 v2, 0x7fffffff, v0
                                        ; implicit-def: $vgpr28
	s_mov_b32 s13, exec_lo
	s_delay_alu instid0(VALU_DEP_2) | instskip(NEXT) | instid1(VALU_DEP_2)
	v_and_b32_e32 v66, 0x80, v14
	v_cmpx_gt_u64_e32 0x43e00001, v[2:3]
	s_xor_b32 s74, exec_lo, s13
	s_cbranch_execz .LBB6_10543
; %bb.10530:                            ;   in Loop: Header=BB6_10440 Depth=3
	v_mov_b32_e32 v28, 0
	s_mov_b32 s75, exec_lo
	v_cmpx_ne_u32_e32 0, v0
	s_cbranch_execz .LBB6_10542
; %bb.10531:                            ;   in Loop: Header=BB6_10440 Depth=3
	v_bfe_u32 v28, v0, 23, 8
	v_and_b32_e32 v2, 0x7fffff, v0
	s_delay_alu instid0(VALU_DEP_2) | instskip(SKIP_2) | instid1(VALU_DEP_4)
	v_cmp_gt_u32_e64 s13, 0x7a, v28
	v_sub_nc_u32_e32 v0, 0x79, v28
	v_cmp_eq_u32_e32 vcc_lo, 0, v28
	v_or_b32_e32 v14, 0x800000, v2
	s_delay_alu instid0(VALU_DEP_1) | instskip(NEXT) | instid1(VALU_DEP_1)
	v_dual_cndmask_b32 v0, 0, v0, s13 :: v_dual_cndmask_b32 v2, v14, v2, vcc_lo
	v_cndmask_b32_e64 v0, v0, 0x78, vcc_lo
	s_delay_alu instid0(VALU_DEP_1) | instskip(NEXT) | instid1(VALU_DEP_1)
	v_dual_add_nc_u32 v14, 20, v0 :: v_dual_add_nc_u32 v16, 19, v0
	v_lshlrev_b64_e64 v[14:15], v14, -1
	s_delay_alu instid0(VALU_DEP_2) | instskip(NEXT) | instid1(VALU_DEP_2)
	v_lshlrev_b64_e64 v[16:17], v16, 1
	v_bfi_b32 v15, v15, 0, 0
	s_delay_alu instid0(VALU_DEP_3) | instskip(NEXT) | instid1(VALU_DEP_1)
	v_bfi_b32 v14, v14, 0, v2
	v_cmp_eq_u64_e64 s13, v[14:15], v[16:17]
	v_lshrrev_b64 v[14:15], v0, v[2:3]
	s_delay_alu instid0(VALU_DEP_1)
	v_mov_b64_e32 v[16:17], v[14:15]
	s_and_saveexec_b32 s76, s13
; %bb.10532:                            ;   in Loop: Header=BB6_10440 Depth=3
	v_bfe_u32 v2, v14, 20, 1
	s_delay_alu instid0(VALU_DEP_1) | instskip(NEXT) | instid1(VALU_DEP_1)
	v_add_nc_u64_e32 v[16:17], v[14:15], v[2:3]
	v_add_nc_u64_e32 v[16:17], -1, v[16:17]
; %bb.10533:                            ;   in Loop: Header=BB6_10440 Depth=3
	s_or_b32 exec_lo, exec_lo, s76
	v_add_nc_u32_e32 v2, 0xffffff81, v28
	v_lshrrev_b32_e32 v15, 23, v14
	s_mov_b32 s13, exec_lo
	s_delay_alu instid0(VALU_DEP_2) | instskip(NEXT) | instid1(VALU_DEP_1)
	v_cndmask_b32_e64 v2, v2, 0xffffff82, vcc_lo
	v_add3_u32 v17, v0, v2, v15
	v_and_b32_e32 v0, 0xfffff, v16
	s_delay_alu instid0(VALU_DEP_1) | instskip(NEXT) | instid1(VALU_DEP_1)
	v_dual_add_nc_u32 v16, 6, v17 :: v_dual_add_nc_u32 v2, v0, v14
                                        ; implicit-def: $vgpr14_vgpr15
                                        ; implicit-def: $vgpr0
	v_cmpx_ne_u32_e32 0, v16
	s_xor_b32 s13, exec_lo, s13
; %bb.10534:                            ;   in Loop: Header=BB6_10440 Depth=3
	s_delay_alu instid0(VALU_DEP_2) | instskip(SKIP_2) | instid1(VALU_DEP_2)
	v_cmp_lt_u64_e32 vcc_lo, 0xffffff, v[2:3]
	v_add_nc_u32_e32 v0, 7, v17
	v_cndmask_b32_e64 v14, 0, 1, vcc_lo
	v_cndmask_b32_e32 v0, v16, v0, vcc_lo
	s_delay_alu instid0(VALU_DEP_2)
	v_lshrrev_b64 v[14:15], v14, v[2:3]
; %bb.10535:                            ;   in Loop: Header=BB6_10440 Depth=3
	s_and_not1_saveexec_b32 s13, s13
; %bb.10536:                            ;   in Loop: Header=BB6_10440 Depth=3
	v_mov_b64_e32 v[14:15], v[2:3]
	v_bfe_u32 v0, v2, 23, 1
; %bb.10537:                            ;   in Loop: Header=BB6_10440 Depth=3
	s_or_b32 exec_lo, exec_lo, s13
	s_delay_alu instid0(VALU_DEP_2) | instskip(NEXT) | instid1(VALU_DEP_2)
	v_lshrrev_b64 v[14:15], 20, v[14:15]
	v_cmp_gt_i32_e32 vcc_lo, 16, v0
	v_cmp_ne_u32_e64 s13, 0, v0
                                        ; implicit-def: $vgpr28
	s_delay_alu instid0(VALU_DEP_3) | instskip(NEXT) | instid1(VALU_DEP_1)
	v_dual_cndmask_b32 v15, 0, v15 :: v_dual_cndmask_b32 v14, 7, v14
	v_cmp_ne_u64_e32 vcc_lo, 0, v[14:15]
	s_or_b32 s13, s13, vcc_lo
	s_delay_alu instid0(SALU_CYCLE_1) | instskip(NEXT) | instid1(SALU_CYCLE_1)
	s_and_saveexec_b32 s76, s13
	s_xor_b32 s13, exec_lo, s76
; %bb.10538:                            ;   in Loop: Header=BB6_10440 Depth=3
	v_min_i32_e32 v0, 15, v0
	s_delay_alu instid0(VALU_DEP_1) | instskip(NEXT) | instid1(VALU_DEP_1)
	v_lshl_or_b32 v0, v0, 3, v66
                                        ; implicit-def: $vgpr66
	v_and_or_b32 v28, v14, 7, v0
; %bb.10539:                            ;   in Loop: Header=BB6_10440 Depth=3
	s_and_not1_saveexec_b32 s13, s13
; %bb.10540:                            ;   in Loop: Header=BB6_10440 Depth=3
	v_mov_b32_e32 v28, v66
; %bb.10541:                            ;   in Loop: Header=BB6_10440 Depth=3
	s_or_b32 exec_lo, exec_lo, s13
.LBB6_10542:                            ;   in Loop: Header=BB6_10440 Depth=3
	s_delay_alu instid0(SALU_CYCLE_1)
	s_or_b32 exec_lo, exec_lo, s75
                                        ; implicit-def: $vgpr66
.LBB6_10543:                            ;   in Loop: Header=BB6_10440 Depth=3
	s_and_not1_saveexec_b32 s13, s74
; %bb.10544:                            ;   in Loop: Header=BB6_10440 Depth=3
	v_or_b32_e32 v28, 0x7e, v66
; %bb.10545:                            ;   in Loop: Header=BB6_10440 Depth=3
	s_or_b32 exec_lo, exec_lo, s13
                                        ; implicit-def: $vgpr0
.LBB6_10546:                            ;   in Loop: Header=BB6_10440 Depth=3
	s_and_not1_saveexec_b32 s13, s45
; %bb.10547:                            ;   in Loop: Header=BB6_10440 Depth=3
	v_lshrrev_b32_e32 v0, 24, v0
	s_delay_alu instid0(VALU_DEP_1)
	v_or_b32_e32 v28, 0x7f, v0
; %bb.10548:                            ;   in Loop: Header=BB6_10440 Depth=3
	s_or_b32 exec_lo, exec_lo, s13
	v_and_b32_e32 v0, 0xff, v43
	v_dual_mov_b32 v16, 0 :: v_dual_mov_b32 v17, 0
	s_mov_b32 s13, exec_lo
	s_delay_alu instid0(VALU_DEP_2)
	v_cmpx_ne_u16_e32 0, v0
	s_cbranch_execz .LBB6_10556
; %bb.10549:                            ;   in Loop: Header=BB6_10440 Depth=3
	v_bfrev_b32_e32 v17, 1
	s_mov_b32 s45, exec_lo
	v_cmpx_ne_u16_e32 0x80, v0
	s_cbranch_execz .LBB6_10555
; %bb.10550:                            ;   in Loop: Header=BB6_10440 Depth=3
	v_and_b32_e32 v14, 0x7f, v43
	v_mov_b32_e32 v17, 0x7f800001
	s_mov_b32 s74, exec_lo
	s_delay_alu instid0(VALU_DEP_2)
	v_cmpx_ne_u32_e32 0x7f, v14
	s_cbranch_execz .LBB6_10554
; %bb.10551:                            ;   in Loop: Header=BB6_10440 Depth=3
	v_dual_lshrrev_b32 v0, 3, v14 :: v_dual_bitop2_b32 v2, 7, v0 bitop3:0x40
	v_cmp_gt_u32_e32 vcc_lo, 8, v14
	s_delay_alu instid0(VALU_DEP_2)
	v_mov_b64_e32 v[14:15], v[2:3]
	s_and_saveexec_b32 s75, vcc_lo
; %bb.10552:                            ;   in Loop: Header=BB6_10440 Depth=3
	v_clz_i32_u32_e32 v0, v2
	s_delay_alu instid0(VALU_DEP_1) | instskip(NEXT) | instid1(VALU_DEP_1)
	v_min_u32_e32 v0, 32, v0
	v_subrev_nc_u32_e32 v14, 28, v0
	s_delay_alu instid0(VALU_DEP_1) | instskip(NEXT) | instid1(VALU_DEP_1)
	v_lshlrev_b64_e32 v[14:15], v14, v[2:3]
	v_dual_sub_nc_u32 v0, 29, v0 :: v_dual_bitop2_b32 v14, 7, v14 bitop3:0x40
; %bb.10553:                            ;   in Loop: Header=BB6_10440 Depth=3
	s_or_b32 exec_lo, exec_lo, s75
	s_delay_alu instid0(VALU_DEP_1) | instskip(NEXT) | instid1(VALU_DEP_2)
	v_dual_lshlrev_b32 v2, 24, v43 :: v_dual_lshlrev_b32 v14, 20, v14
	v_lshl_add_u32 v0, v0, 23, 0x3c000000
	s_delay_alu instid0(VALU_DEP_2) | instskip(NEXT) | instid1(VALU_DEP_1)
	v_and_b32_e32 v2, 0x80000000, v2
	v_or3_b32 v17, v14, v2, v0
.LBB6_10554:                            ;   in Loop: Header=BB6_10440 Depth=3
	s_or_b32 exec_lo, exec_lo, s74
.LBB6_10555:                            ;   in Loop: Header=BB6_10440 Depth=3
	s_delay_alu instid0(SALU_CYCLE_1)
	s_or_b32 exec_lo, exec_lo, s45
.LBB6_10556:                            ;   in Loop: Header=BB6_10440 Depth=3
	s_delay_alu instid0(SALU_CYCLE_1) | instskip(SKIP_3) | instid1(VALU_DEP_1)
	s_or_b32 exec_lo, exec_lo, s13
	s_wait_loadcnt_dscnt 0x1c1c
	v_and_b32_e32 v0, 0xff, v32
	s_mov_b32 s13, exec_lo
	v_cmpx_ne_u16_e32 0, v0
	s_cbranch_execz .LBB6_10564
; %bb.10557:                            ;   in Loop: Header=BB6_10440 Depth=3
	v_bfrev_b32_e32 v16, 1
	s_mov_b32 s45, exec_lo
	v_cmpx_ne_u16_e32 0x80, v0
	s_cbranch_execz .LBB6_10563
; %bb.10558:                            ;   in Loop: Header=BB6_10440 Depth=3
	v_and_b32_e32 v14, 0x7f, v32
	v_mov_b32_e32 v16, 0x7f800001
	s_mov_b32 s74, exec_lo
	s_delay_alu instid0(VALU_DEP_2)
	v_cmpx_ne_u32_e32 0x7f, v14
	s_cbranch_execz .LBB6_10562
; %bb.10559:                            ;   in Loop: Header=BB6_10440 Depth=3
	v_dual_lshrrev_b32 v0, 3, v14 :: v_dual_bitop2_b32 v2, 7, v0 bitop3:0x40
	v_cmp_gt_u32_e32 vcc_lo, 8, v14
	s_delay_alu instid0(VALU_DEP_2)
	v_mov_b64_e32 v[14:15], v[2:3]
	s_and_saveexec_b32 s75, vcc_lo
; %bb.10560:                            ;   in Loop: Header=BB6_10440 Depth=3
	v_clz_i32_u32_e32 v0, v2
	s_delay_alu instid0(VALU_DEP_1) | instskip(NEXT) | instid1(VALU_DEP_1)
	v_min_u32_e32 v0, 32, v0
	v_subrev_nc_u32_e32 v14, 28, v0
	s_delay_alu instid0(VALU_DEP_1) | instskip(NEXT) | instid1(VALU_DEP_1)
	v_lshlrev_b64_e32 v[14:15], v14, v[2:3]
	v_dual_sub_nc_u32 v0, 29, v0 :: v_dual_bitop2_b32 v14, 7, v14 bitop3:0x40
; %bb.10561:                            ;   in Loop: Header=BB6_10440 Depth=3
	s_or_b32 exec_lo, exec_lo, s75
	s_delay_alu instid0(VALU_DEP_1) | instskip(NEXT) | instid1(VALU_DEP_2)
	v_dual_lshlrev_b32 v2, 24, v32 :: v_dual_lshlrev_b32 v14, 20, v14
	v_lshl_add_u32 v0, v0, 23, 0x3c000000
	s_delay_alu instid0(VALU_DEP_2) | instskip(NEXT) | instid1(VALU_DEP_1)
	v_and_b32_e32 v2, 0x80000000, v2
	v_or3_b32 v16, v14, v2, v0
.LBB6_10562:                            ;   in Loop: Header=BB6_10440 Depth=3
	s_or_b32 exec_lo, exec_lo, s74
.LBB6_10563:                            ;   in Loop: Header=BB6_10440 Depth=3
	s_delay_alu instid0(SALU_CYCLE_1)
	s_or_b32 exec_lo, exec_lo, s45
.LBB6_10564:                            ;   in Loop: Header=BB6_10440 Depth=3
	s_delay_alu instid0(SALU_CYCLE_1) | instskip(NEXT) | instid1(VALU_DEP_1)
	s_or_b32 exec_lo, exec_lo, s13
	v_add_f32_e32 v0, v17, v16
                                        ; implicit-def: $vgpr32
	s_mov_b32 s13, exec_lo
	s_delay_alu instid0(VALU_DEP_1) | instskip(NEXT) | instid1(VALU_DEP_1)
	v_and_b32_e32 v2, 0x7f800000, v0
	v_cmpx_ne_u64_e32 0x7f800000, v[2:3]
	s_xor_b32 s45, exec_lo, s13
	s_cbranch_execz .LBB6_10582
; %bb.10565:                            ;   in Loop: Header=BB6_10440 Depth=3
	v_lshrrev_b32_e32 v14, 24, v0
	v_and_b32_e32 v2, 0x7fffffff, v0
                                        ; implicit-def: $vgpr32
	s_mov_b32 s13, exec_lo
	s_delay_alu instid0(VALU_DEP_2) | instskip(NEXT) | instid1(VALU_DEP_2)
	v_and_b32_e32 v66, 0x80, v14
	v_cmpx_gt_u64_e32 0x43e00001, v[2:3]
	s_xor_b32 s74, exec_lo, s13
	s_cbranch_execz .LBB6_10579
; %bb.10566:                            ;   in Loop: Header=BB6_10440 Depth=3
	v_mov_b32_e32 v32, 0
	s_mov_b32 s75, exec_lo
	v_cmpx_ne_u32_e32 0, v0
	s_cbranch_execz .LBB6_10578
; %bb.10567:                            ;   in Loop: Header=BB6_10440 Depth=3
	v_bfe_u32 v32, v0, 23, 8
	v_and_b32_e32 v2, 0x7fffff, v0
	s_delay_alu instid0(VALU_DEP_2) | instskip(SKIP_2) | instid1(VALU_DEP_4)
	v_cmp_gt_u32_e64 s13, 0x7a, v32
	v_sub_nc_u32_e32 v0, 0x79, v32
	v_cmp_eq_u32_e32 vcc_lo, 0, v32
	v_or_b32_e32 v14, 0x800000, v2
	s_delay_alu instid0(VALU_DEP_1) | instskip(NEXT) | instid1(VALU_DEP_1)
	v_dual_cndmask_b32 v0, 0, v0, s13 :: v_dual_cndmask_b32 v2, v14, v2, vcc_lo
	v_cndmask_b32_e64 v0, v0, 0x78, vcc_lo
	s_delay_alu instid0(VALU_DEP_1) | instskip(NEXT) | instid1(VALU_DEP_1)
	v_dual_add_nc_u32 v14, 20, v0 :: v_dual_add_nc_u32 v16, 19, v0
	v_lshlrev_b64_e64 v[14:15], v14, -1
	s_delay_alu instid0(VALU_DEP_2) | instskip(NEXT) | instid1(VALU_DEP_2)
	v_lshlrev_b64_e64 v[16:17], v16, 1
	v_bfi_b32 v15, v15, 0, 0
	s_delay_alu instid0(VALU_DEP_3) | instskip(NEXT) | instid1(VALU_DEP_1)
	v_bfi_b32 v14, v14, 0, v2
	v_cmp_eq_u64_e64 s13, v[14:15], v[16:17]
	v_lshrrev_b64 v[14:15], v0, v[2:3]
	s_delay_alu instid0(VALU_DEP_1)
	v_mov_b64_e32 v[16:17], v[14:15]
	s_and_saveexec_b32 s76, s13
; %bb.10568:                            ;   in Loop: Header=BB6_10440 Depth=3
	v_bfe_u32 v2, v14, 20, 1
	s_delay_alu instid0(VALU_DEP_1) | instskip(NEXT) | instid1(VALU_DEP_1)
	v_add_nc_u64_e32 v[16:17], v[14:15], v[2:3]
	v_add_nc_u64_e32 v[16:17], -1, v[16:17]
; %bb.10569:                            ;   in Loop: Header=BB6_10440 Depth=3
	s_or_b32 exec_lo, exec_lo, s76
	v_add_nc_u32_e32 v2, 0xffffff81, v32
	v_lshrrev_b32_e32 v15, 23, v14
	s_mov_b32 s13, exec_lo
	s_delay_alu instid0(VALU_DEP_2) | instskip(NEXT) | instid1(VALU_DEP_1)
	v_cndmask_b32_e64 v2, v2, 0xffffff82, vcc_lo
	v_add3_u32 v17, v0, v2, v15
	v_and_b32_e32 v0, 0xfffff, v16
	s_delay_alu instid0(VALU_DEP_1) | instskip(NEXT) | instid1(VALU_DEP_1)
	v_dual_add_nc_u32 v16, 6, v17 :: v_dual_add_nc_u32 v2, v0, v14
                                        ; implicit-def: $vgpr14_vgpr15
                                        ; implicit-def: $vgpr0
	v_cmpx_ne_u32_e32 0, v16
	s_xor_b32 s13, exec_lo, s13
; %bb.10570:                            ;   in Loop: Header=BB6_10440 Depth=3
	s_delay_alu instid0(VALU_DEP_2) | instskip(SKIP_2) | instid1(VALU_DEP_2)
	v_cmp_lt_u64_e32 vcc_lo, 0xffffff, v[2:3]
	v_add_nc_u32_e32 v0, 7, v17
	v_cndmask_b32_e64 v14, 0, 1, vcc_lo
	v_cndmask_b32_e32 v0, v16, v0, vcc_lo
	s_delay_alu instid0(VALU_DEP_2)
	v_lshrrev_b64 v[14:15], v14, v[2:3]
; %bb.10571:                            ;   in Loop: Header=BB6_10440 Depth=3
	s_and_not1_saveexec_b32 s13, s13
; %bb.10572:                            ;   in Loop: Header=BB6_10440 Depth=3
	v_mov_b64_e32 v[14:15], v[2:3]
	v_bfe_u32 v0, v2, 23, 1
; %bb.10573:                            ;   in Loop: Header=BB6_10440 Depth=3
	s_or_b32 exec_lo, exec_lo, s13
	s_delay_alu instid0(VALU_DEP_2) | instskip(NEXT) | instid1(VALU_DEP_2)
	v_lshrrev_b64 v[14:15], 20, v[14:15]
	v_cmp_gt_i32_e32 vcc_lo, 16, v0
	v_cmp_ne_u32_e64 s13, 0, v0
                                        ; implicit-def: $vgpr32
	s_delay_alu instid0(VALU_DEP_3) | instskip(NEXT) | instid1(VALU_DEP_1)
	v_dual_cndmask_b32 v15, 0, v15 :: v_dual_cndmask_b32 v14, 7, v14
	v_cmp_ne_u64_e32 vcc_lo, 0, v[14:15]
	s_or_b32 s13, s13, vcc_lo
	s_delay_alu instid0(SALU_CYCLE_1) | instskip(NEXT) | instid1(SALU_CYCLE_1)
	s_and_saveexec_b32 s76, s13
	s_xor_b32 s13, exec_lo, s76
; %bb.10574:                            ;   in Loop: Header=BB6_10440 Depth=3
	v_min_i32_e32 v0, 15, v0
	s_delay_alu instid0(VALU_DEP_1) | instskip(NEXT) | instid1(VALU_DEP_1)
	v_lshl_or_b32 v0, v0, 3, v66
                                        ; implicit-def: $vgpr66
	v_and_or_b32 v32, v14, 7, v0
; %bb.10575:                            ;   in Loop: Header=BB6_10440 Depth=3
	s_and_not1_saveexec_b32 s13, s13
; %bb.10576:                            ;   in Loop: Header=BB6_10440 Depth=3
	v_mov_b32_e32 v32, v66
; %bb.10577:                            ;   in Loop: Header=BB6_10440 Depth=3
	s_or_b32 exec_lo, exec_lo, s13
.LBB6_10578:                            ;   in Loop: Header=BB6_10440 Depth=3
	s_delay_alu instid0(SALU_CYCLE_1)
	s_or_b32 exec_lo, exec_lo, s75
                                        ; implicit-def: $vgpr66
.LBB6_10579:                            ;   in Loop: Header=BB6_10440 Depth=3
	s_and_not1_saveexec_b32 s13, s74
; %bb.10580:                            ;   in Loop: Header=BB6_10440 Depth=3
	v_or_b32_e32 v32, 0x7e, v66
; %bb.10581:                            ;   in Loop: Header=BB6_10440 Depth=3
	s_or_b32 exec_lo, exec_lo, s13
                                        ; implicit-def: $vgpr0
.LBB6_10582:                            ;   in Loop: Header=BB6_10440 Depth=3
	s_and_not1_saveexec_b32 s13, s45
; %bb.10583:                            ;   in Loop: Header=BB6_10440 Depth=3
	v_lshrrev_b32_e32 v0, 24, v0
	s_delay_alu instid0(VALU_DEP_1)
	v_or_b32_e32 v32, 0x7f, v0
; %bb.10584:                            ;   in Loop: Header=BB6_10440 Depth=3
	s_or_b32 exec_lo, exec_lo, s13
	v_and_b32_e32 v0, 0xff, v42
	v_dual_mov_b32 v16, 0 :: v_dual_mov_b32 v17, 0
	s_mov_b32 s13, exec_lo
	s_delay_alu instid0(VALU_DEP_2)
	v_cmpx_ne_u16_e32 0, v0
	s_cbranch_execz .LBB6_10592
; %bb.10585:                            ;   in Loop: Header=BB6_10440 Depth=3
	v_bfrev_b32_e32 v17, 1
	s_mov_b32 s45, exec_lo
	v_cmpx_ne_u16_e32 0x80, v0
	s_cbranch_execz .LBB6_10591
; %bb.10586:                            ;   in Loop: Header=BB6_10440 Depth=3
	v_and_b32_e32 v14, 0x7f, v42
	v_mov_b32_e32 v17, 0x7f800001
	s_mov_b32 s74, exec_lo
	s_delay_alu instid0(VALU_DEP_2)
	v_cmpx_ne_u32_e32 0x7f, v14
	s_cbranch_execz .LBB6_10590
; %bb.10587:                            ;   in Loop: Header=BB6_10440 Depth=3
	v_dual_lshrrev_b32 v0, 3, v14 :: v_dual_bitop2_b32 v2, 7, v0 bitop3:0x40
	v_cmp_gt_u32_e32 vcc_lo, 8, v14
	s_delay_alu instid0(VALU_DEP_2)
	v_mov_b64_e32 v[14:15], v[2:3]
	s_and_saveexec_b32 s75, vcc_lo
; %bb.10588:                            ;   in Loop: Header=BB6_10440 Depth=3
	v_clz_i32_u32_e32 v0, v2
	s_delay_alu instid0(VALU_DEP_1) | instskip(NEXT) | instid1(VALU_DEP_1)
	v_min_u32_e32 v0, 32, v0
	v_subrev_nc_u32_e32 v14, 28, v0
	s_delay_alu instid0(VALU_DEP_1) | instskip(NEXT) | instid1(VALU_DEP_1)
	v_lshlrev_b64_e32 v[14:15], v14, v[2:3]
	v_dual_sub_nc_u32 v0, 29, v0 :: v_dual_bitop2_b32 v14, 7, v14 bitop3:0x40
; %bb.10589:                            ;   in Loop: Header=BB6_10440 Depth=3
	s_or_b32 exec_lo, exec_lo, s75
	v_lshlrev_b32_e32 v2, 24, v42
	s_delay_alu instid0(VALU_DEP_2) | instskip(NEXT) | instid1(VALU_DEP_3)
	v_lshlrev_b32_e32 v14, 20, v14
	v_lshl_add_u32 v0, v0, 23, 0x3c000000
	s_delay_alu instid0(VALU_DEP_3) | instskip(NEXT) | instid1(VALU_DEP_1)
	v_and_b32_e32 v2, 0x80000000, v2
	v_or3_b32 v17, v14, v2, v0
.LBB6_10590:                            ;   in Loop: Header=BB6_10440 Depth=3
	s_or_b32 exec_lo, exec_lo, s74
.LBB6_10591:                            ;   in Loop: Header=BB6_10440 Depth=3
	s_delay_alu instid0(SALU_CYCLE_1)
	s_or_b32 exec_lo, exec_lo, s45
.LBB6_10592:                            ;   in Loop: Header=BB6_10440 Depth=3
	s_delay_alu instid0(SALU_CYCLE_1) | instskip(SKIP_3) | instid1(VALU_DEP_1)
	s_or_b32 exec_lo, exec_lo, s13
	s_wait_loadcnt_dscnt 0x1b1b
	v_and_b32_e32 v0, 0xff, v35
	s_mov_b32 s13, exec_lo
	v_cmpx_ne_u16_e32 0, v0
	s_cbranch_execz .LBB6_10600
; %bb.10593:                            ;   in Loop: Header=BB6_10440 Depth=3
	v_bfrev_b32_e32 v16, 1
	s_mov_b32 s45, exec_lo
	v_cmpx_ne_u16_e32 0x80, v0
	s_cbranch_execz .LBB6_10599
; %bb.10594:                            ;   in Loop: Header=BB6_10440 Depth=3
	v_and_b32_e32 v14, 0x7f, v35
	v_mov_b32_e32 v16, 0x7f800001
	s_mov_b32 s74, exec_lo
	s_delay_alu instid0(VALU_DEP_2)
	v_cmpx_ne_u32_e32 0x7f, v14
	s_cbranch_execz .LBB6_10598
; %bb.10595:                            ;   in Loop: Header=BB6_10440 Depth=3
	v_dual_lshrrev_b32 v0, 3, v14 :: v_dual_bitop2_b32 v2, 7, v0 bitop3:0x40
	v_cmp_gt_u32_e32 vcc_lo, 8, v14
	s_delay_alu instid0(VALU_DEP_2)
	v_mov_b64_e32 v[14:15], v[2:3]
	s_and_saveexec_b32 s75, vcc_lo
; %bb.10596:                            ;   in Loop: Header=BB6_10440 Depth=3
	v_clz_i32_u32_e32 v0, v2
	s_delay_alu instid0(VALU_DEP_1) | instskip(NEXT) | instid1(VALU_DEP_1)
	v_min_u32_e32 v0, 32, v0
	v_subrev_nc_u32_e32 v14, 28, v0
	s_delay_alu instid0(VALU_DEP_1) | instskip(NEXT) | instid1(VALU_DEP_1)
	v_lshlrev_b64_e32 v[14:15], v14, v[2:3]
	v_dual_sub_nc_u32 v0, 29, v0 :: v_dual_bitop2_b32 v14, 7, v14 bitop3:0x40
; %bb.10597:                            ;   in Loop: Header=BB6_10440 Depth=3
	s_or_b32 exec_lo, exec_lo, s75
	s_delay_alu instid0(VALU_DEP_1) | instskip(NEXT) | instid1(VALU_DEP_2)
	v_dual_lshlrev_b32 v2, 24, v35 :: v_dual_lshlrev_b32 v14, 20, v14
	v_lshl_add_u32 v0, v0, 23, 0x3c000000
	s_delay_alu instid0(VALU_DEP_2) | instskip(NEXT) | instid1(VALU_DEP_1)
	v_and_b32_e32 v2, 0x80000000, v2
	v_or3_b32 v16, v14, v2, v0
.LBB6_10598:                            ;   in Loop: Header=BB6_10440 Depth=3
	s_or_b32 exec_lo, exec_lo, s74
.LBB6_10599:                            ;   in Loop: Header=BB6_10440 Depth=3
	s_delay_alu instid0(SALU_CYCLE_1)
	s_or_b32 exec_lo, exec_lo, s45
.LBB6_10600:                            ;   in Loop: Header=BB6_10440 Depth=3
	s_delay_alu instid0(SALU_CYCLE_1) | instskip(NEXT) | instid1(VALU_DEP_1)
	s_or_b32 exec_lo, exec_lo, s13
	v_add_f32_e32 v0, v17, v16
                                        ; implicit-def: $vgpr35
	s_mov_b32 s13, exec_lo
	s_delay_alu instid0(VALU_DEP_1) | instskip(NEXT) | instid1(VALU_DEP_1)
	v_and_b32_e32 v2, 0x7f800000, v0
	v_cmpx_ne_u64_e32 0x7f800000, v[2:3]
	s_xor_b32 s45, exec_lo, s13
	s_cbranch_execz .LBB6_10618
; %bb.10601:                            ;   in Loop: Header=BB6_10440 Depth=3
	v_lshrrev_b32_e32 v14, 24, v0
	v_and_b32_e32 v2, 0x7fffffff, v0
                                        ; implicit-def: $vgpr35
	s_mov_b32 s13, exec_lo
	s_delay_alu instid0(VALU_DEP_2) | instskip(NEXT) | instid1(VALU_DEP_2)
	v_and_b32_e32 v66, 0x80, v14
	v_cmpx_gt_u64_e32 0x43e00001, v[2:3]
	s_xor_b32 s74, exec_lo, s13
	s_cbranch_execz .LBB6_10615
; %bb.10602:                            ;   in Loop: Header=BB6_10440 Depth=3
	v_mov_b32_e32 v35, 0
	s_mov_b32 s75, exec_lo
	v_cmpx_ne_u32_e32 0, v0
	s_cbranch_execz .LBB6_10614
; %bb.10603:                            ;   in Loop: Header=BB6_10440 Depth=3
	v_bfe_u32 v35, v0, 23, 8
	v_and_b32_e32 v2, 0x7fffff, v0
	s_delay_alu instid0(VALU_DEP_2) | instskip(SKIP_2) | instid1(VALU_DEP_4)
	v_cmp_gt_u32_e64 s13, 0x7a, v35
	v_sub_nc_u32_e32 v0, 0x79, v35
	v_cmp_eq_u32_e32 vcc_lo, 0, v35
	v_or_b32_e32 v14, 0x800000, v2
	s_delay_alu instid0(VALU_DEP_1) | instskip(NEXT) | instid1(VALU_DEP_1)
	v_dual_cndmask_b32 v0, 0, v0, s13 :: v_dual_cndmask_b32 v2, v14, v2, vcc_lo
	v_cndmask_b32_e64 v0, v0, 0x78, vcc_lo
	s_delay_alu instid0(VALU_DEP_1) | instskip(NEXT) | instid1(VALU_DEP_1)
	v_dual_add_nc_u32 v14, 20, v0 :: v_dual_add_nc_u32 v16, 19, v0
	v_lshlrev_b64_e64 v[14:15], v14, -1
	s_delay_alu instid0(VALU_DEP_2) | instskip(NEXT) | instid1(VALU_DEP_2)
	v_lshlrev_b64_e64 v[16:17], v16, 1
	v_bfi_b32 v15, v15, 0, 0
	s_delay_alu instid0(VALU_DEP_3) | instskip(NEXT) | instid1(VALU_DEP_1)
	v_bfi_b32 v14, v14, 0, v2
	v_cmp_eq_u64_e64 s13, v[14:15], v[16:17]
	v_lshrrev_b64 v[14:15], v0, v[2:3]
	s_delay_alu instid0(VALU_DEP_1)
	v_mov_b64_e32 v[16:17], v[14:15]
	s_and_saveexec_b32 s76, s13
; %bb.10604:                            ;   in Loop: Header=BB6_10440 Depth=3
	v_bfe_u32 v2, v14, 20, 1
	s_delay_alu instid0(VALU_DEP_1) | instskip(NEXT) | instid1(VALU_DEP_1)
	v_add_nc_u64_e32 v[16:17], v[14:15], v[2:3]
	v_add_nc_u64_e32 v[16:17], -1, v[16:17]
; %bb.10605:                            ;   in Loop: Header=BB6_10440 Depth=3
	s_or_b32 exec_lo, exec_lo, s76
	v_add_nc_u32_e32 v2, 0xffffff81, v35
	v_lshrrev_b32_e32 v15, 23, v14
	s_mov_b32 s13, exec_lo
	s_delay_alu instid0(VALU_DEP_2) | instskip(NEXT) | instid1(VALU_DEP_1)
	v_cndmask_b32_e64 v2, v2, 0xffffff82, vcc_lo
	v_add3_u32 v17, v0, v2, v15
	v_and_b32_e32 v0, 0xfffff, v16
	s_delay_alu instid0(VALU_DEP_1) | instskip(NEXT) | instid1(VALU_DEP_1)
	v_dual_add_nc_u32 v16, 6, v17 :: v_dual_add_nc_u32 v2, v0, v14
                                        ; implicit-def: $vgpr14_vgpr15
                                        ; implicit-def: $vgpr0
	v_cmpx_ne_u32_e32 0, v16
	s_xor_b32 s13, exec_lo, s13
; %bb.10606:                            ;   in Loop: Header=BB6_10440 Depth=3
	s_delay_alu instid0(VALU_DEP_2) | instskip(SKIP_2) | instid1(VALU_DEP_2)
	v_cmp_lt_u64_e32 vcc_lo, 0xffffff, v[2:3]
	v_add_nc_u32_e32 v0, 7, v17
	v_cndmask_b32_e64 v14, 0, 1, vcc_lo
	v_cndmask_b32_e32 v0, v16, v0, vcc_lo
	s_delay_alu instid0(VALU_DEP_2)
	v_lshrrev_b64 v[14:15], v14, v[2:3]
; %bb.10607:                            ;   in Loop: Header=BB6_10440 Depth=3
	s_and_not1_saveexec_b32 s13, s13
; %bb.10608:                            ;   in Loop: Header=BB6_10440 Depth=3
	v_mov_b64_e32 v[14:15], v[2:3]
	v_bfe_u32 v0, v2, 23, 1
; %bb.10609:                            ;   in Loop: Header=BB6_10440 Depth=3
	s_or_b32 exec_lo, exec_lo, s13
	s_delay_alu instid0(VALU_DEP_2) | instskip(NEXT) | instid1(VALU_DEP_2)
	v_lshrrev_b64 v[14:15], 20, v[14:15]
	v_cmp_gt_i32_e32 vcc_lo, 16, v0
	v_cmp_ne_u32_e64 s13, 0, v0
                                        ; implicit-def: $vgpr35
	s_delay_alu instid0(VALU_DEP_3) | instskip(NEXT) | instid1(VALU_DEP_1)
	v_dual_cndmask_b32 v15, 0, v15 :: v_dual_cndmask_b32 v14, 7, v14
	v_cmp_ne_u64_e32 vcc_lo, 0, v[14:15]
	s_or_b32 s13, s13, vcc_lo
	s_delay_alu instid0(SALU_CYCLE_1) | instskip(NEXT) | instid1(SALU_CYCLE_1)
	s_and_saveexec_b32 s76, s13
	s_xor_b32 s13, exec_lo, s76
; %bb.10610:                            ;   in Loop: Header=BB6_10440 Depth=3
	v_min_i32_e32 v0, 15, v0
	s_delay_alu instid0(VALU_DEP_1) | instskip(NEXT) | instid1(VALU_DEP_1)
	v_lshl_or_b32 v0, v0, 3, v66
                                        ; implicit-def: $vgpr66
	v_and_or_b32 v35, v14, 7, v0
; %bb.10611:                            ;   in Loop: Header=BB6_10440 Depth=3
	s_and_not1_saveexec_b32 s13, s13
; %bb.10612:                            ;   in Loop: Header=BB6_10440 Depth=3
	v_mov_b32_e32 v35, v66
; %bb.10613:                            ;   in Loop: Header=BB6_10440 Depth=3
	s_or_b32 exec_lo, exec_lo, s13
.LBB6_10614:                            ;   in Loop: Header=BB6_10440 Depth=3
	s_delay_alu instid0(SALU_CYCLE_1)
	s_or_b32 exec_lo, exec_lo, s75
                                        ; implicit-def: $vgpr66
.LBB6_10615:                            ;   in Loop: Header=BB6_10440 Depth=3
	s_and_not1_saveexec_b32 s13, s74
; %bb.10616:                            ;   in Loop: Header=BB6_10440 Depth=3
	v_or_b32_e32 v35, 0x7e, v66
; %bb.10617:                            ;   in Loop: Header=BB6_10440 Depth=3
	s_or_b32 exec_lo, exec_lo, s13
                                        ; implicit-def: $vgpr0
.LBB6_10618:                            ;   in Loop: Header=BB6_10440 Depth=3
	s_and_not1_saveexec_b32 s13, s45
; %bb.10619:                            ;   in Loop: Header=BB6_10440 Depth=3
	v_lshrrev_b32_e32 v0, 24, v0
	s_delay_alu instid0(VALU_DEP_1)
	v_or_b32_e32 v35, 0x7f, v0
; %bb.10620:                            ;   in Loop: Header=BB6_10440 Depth=3
	s_or_b32 exec_lo, exec_lo, s13
	v_and_b32_e32 v0, 0xff, v109
	v_dual_mov_b32 v16, 0 :: v_dual_mov_b32 v17, 0
	s_mov_b32 s13, exec_lo
	s_delay_alu instid0(VALU_DEP_2)
	v_cmpx_ne_u16_e32 0, v0
	s_cbranch_execz .LBB6_10628
; %bb.10621:                            ;   in Loop: Header=BB6_10440 Depth=3
	v_bfrev_b32_e32 v17, 1
	s_mov_b32 s45, exec_lo
	v_cmpx_ne_u16_e32 0x80, v0
	s_cbranch_execz .LBB6_10627
; %bb.10622:                            ;   in Loop: Header=BB6_10440 Depth=3
	v_and_b32_e32 v14, 0x7f, v109
	v_mov_b32_e32 v17, 0x7f800001
	s_mov_b32 s74, exec_lo
	s_delay_alu instid0(VALU_DEP_2)
	v_cmpx_ne_u32_e32 0x7f, v14
	s_cbranch_execz .LBB6_10626
; %bb.10623:                            ;   in Loop: Header=BB6_10440 Depth=3
	v_dual_lshrrev_b32 v0, 3, v14 :: v_dual_bitop2_b32 v2, 7, v0 bitop3:0x40
	v_cmp_gt_u32_e32 vcc_lo, 8, v14
	s_delay_alu instid0(VALU_DEP_2)
	v_mov_b64_e32 v[14:15], v[2:3]
	s_and_saveexec_b32 s75, vcc_lo
; %bb.10624:                            ;   in Loop: Header=BB6_10440 Depth=3
	v_clz_i32_u32_e32 v0, v2
	s_delay_alu instid0(VALU_DEP_1) | instskip(NEXT) | instid1(VALU_DEP_1)
	v_min_u32_e32 v0, 32, v0
	v_subrev_nc_u32_e32 v14, 28, v0
	s_delay_alu instid0(VALU_DEP_1) | instskip(NEXT) | instid1(VALU_DEP_1)
	v_lshlrev_b64_e32 v[14:15], v14, v[2:3]
	v_dual_sub_nc_u32 v0, 29, v0 :: v_dual_bitop2_b32 v14, 7, v14 bitop3:0x40
; %bb.10625:                            ;   in Loop: Header=BB6_10440 Depth=3
	s_or_b32 exec_lo, exec_lo, s75
	s_delay_alu instid0(VALU_DEP_1) | instskip(NEXT) | instid1(VALU_DEP_2)
	v_dual_lshlrev_b32 v2, 24, v109 :: v_dual_lshlrev_b32 v14, 20, v14
	v_lshl_add_u32 v0, v0, 23, 0x3c000000
	s_delay_alu instid0(VALU_DEP_2) | instskip(NEXT) | instid1(VALU_DEP_1)
	v_and_b32_e32 v2, 0x80000000, v2
	v_or3_b32 v17, v14, v2, v0
.LBB6_10626:                            ;   in Loop: Header=BB6_10440 Depth=3
	s_or_b32 exec_lo, exec_lo, s74
.LBB6_10627:                            ;   in Loop: Header=BB6_10440 Depth=3
	s_delay_alu instid0(SALU_CYCLE_1)
	s_or_b32 exec_lo, exec_lo, s45
.LBB6_10628:                            ;   in Loop: Header=BB6_10440 Depth=3
	s_delay_alu instid0(SALU_CYCLE_1) | instskip(SKIP_3) | instid1(VALU_DEP_1)
	s_or_b32 exec_lo, exec_lo, s13
	s_wait_loadcnt_dscnt 0x1a1a
	v_and_b32_e32 v0, 0xff, v38
	s_mov_b32 s13, exec_lo
	v_cmpx_ne_u16_e32 0, v0
	s_cbranch_execz .LBB6_10636
; %bb.10629:                            ;   in Loop: Header=BB6_10440 Depth=3
	v_bfrev_b32_e32 v16, 1
	s_mov_b32 s45, exec_lo
	v_cmpx_ne_u16_e32 0x80, v0
	s_cbranch_execz .LBB6_10635
; %bb.10630:                            ;   in Loop: Header=BB6_10440 Depth=3
	v_and_b32_e32 v14, 0x7f, v38
	v_mov_b32_e32 v16, 0x7f800001
	s_mov_b32 s74, exec_lo
	s_delay_alu instid0(VALU_DEP_2)
	v_cmpx_ne_u32_e32 0x7f, v14
	s_cbranch_execz .LBB6_10634
; %bb.10631:                            ;   in Loop: Header=BB6_10440 Depth=3
	v_dual_lshrrev_b32 v0, 3, v14 :: v_dual_bitop2_b32 v2, 7, v0 bitop3:0x40
	v_cmp_gt_u32_e32 vcc_lo, 8, v14
	s_delay_alu instid0(VALU_DEP_2)
	v_mov_b64_e32 v[14:15], v[2:3]
	s_and_saveexec_b32 s75, vcc_lo
; %bb.10632:                            ;   in Loop: Header=BB6_10440 Depth=3
	v_clz_i32_u32_e32 v0, v2
	s_delay_alu instid0(VALU_DEP_1) | instskip(NEXT) | instid1(VALU_DEP_1)
	v_min_u32_e32 v0, 32, v0
	v_subrev_nc_u32_e32 v14, 28, v0
	s_delay_alu instid0(VALU_DEP_1) | instskip(NEXT) | instid1(VALU_DEP_1)
	v_lshlrev_b64_e32 v[14:15], v14, v[2:3]
	v_dual_sub_nc_u32 v0, 29, v0 :: v_dual_bitop2_b32 v14, 7, v14 bitop3:0x40
; %bb.10633:                            ;   in Loop: Header=BB6_10440 Depth=3
	s_or_b32 exec_lo, exec_lo, s75
	v_lshlrev_b32_e32 v2, 24, v38
	s_delay_alu instid0(VALU_DEP_2) | instskip(NEXT) | instid1(VALU_DEP_3)
	v_lshlrev_b32_e32 v14, 20, v14
	v_lshl_add_u32 v0, v0, 23, 0x3c000000
	s_delay_alu instid0(VALU_DEP_3) | instskip(NEXT) | instid1(VALU_DEP_1)
	v_and_b32_e32 v2, 0x80000000, v2
	v_or3_b32 v16, v14, v2, v0
.LBB6_10634:                            ;   in Loop: Header=BB6_10440 Depth=3
	s_or_b32 exec_lo, exec_lo, s74
.LBB6_10635:                            ;   in Loop: Header=BB6_10440 Depth=3
	s_delay_alu instid0(SALU_CYCLE_1)
	s_or_b32 exec_lo, exec_lo, s45
.LBB6_10636:                            ;   in Loop: Header=BB6_10440 Depth=3
	s_delay_alu instid0(SALU_CYCLE_1) | instskip(NEXT) | instid1(VALU_DEP_1)
	s_or_b32 exec_lo, exec_lo, s13
	v_add_f32_e32 v0, v17, v16
                                        ; implicit-def: $vgpr38
	s_mov_b32 s13, exec_lo
	s_delay_alu instid0(VALU_DEP_1) | instskip(NEXT) | instid1(VALU_DEP_1)
	v_and_b32_e32 v2, 0x7f800000, v0
	v_cmpx_ne_u64_e32 0x7f800000, v[2:3]
	s_xor_b32 s45, exec_lo, s13
	s_cbranch_execz .LBB6_10654
; %bb.10637:                            ;   in Loop: Header=BB6_10440 Depth=3
	v_lshrrev_b32_e32 v14, 24, v0
	v_and_b32_e32 v2, 0x7fffffff, v0
                                        ; implicit-def: $vgpr38
	s_mov_b32 s13, exec_lo
	s_delay_alu instid0(VALU_DEP_2) | instskip(NEXT) | instid1(VALU_DEP_2)
	v_and_b32_e32 v66, 0x80, v14
	v_cmpx_gt_u64_e32 0x43e00001, v[2:3]
	s_xor_b32 s74, exec_lo, s13
	s_cbranch_execz .LBB6_10651
; %bb.10638:                            ;   in Loop: Header=BB6_10440 Depth=3
	v_mov_b32_e32 v38, 0
	s_mov_b32 s75, exec_lo
	v_cmpx_ne_u32_e32 0, v0
	s_cbranch_execz .LBB6_10650
; %bb.10639:                            ;   in Loop: Header=BB6_10440 Depth=3
	v_bfe_u32 v38, v0, 23, 8
	v_and_b32_e32 v2, 0x7fffff, v0
	s_delay_alu instid0(VALU_DEP_2) | instskip(SKIP_2) | instid1(VALU_DEP_4)
	v_cmp_gt_u32_e64 s13, 0x7a, v38
	v_sub_nc_u32_e32 v0, 0x79, v38
	v_cmp_eq_u32_e32 vcc_lo, 0, v38
	v_or_b32_e32 v14, 0x800000, v2
	s_delay_alu instid0(VALU_DEP_1) | instskip(NEXT) | instid1(VALU_DEP_1)
	v_dual_cndmask_b32 v0, 0, v0, s13 :: v_dual_cndmask_b32 v2, v14, v2, vcc_lo
	v_cndmask_b32_e64 v0, v0, 0x78, vcc_lo
	s_delay_alu instid0(VALU_DEP_1) | instskip(NEXT) | instid1(VALU_DEP_1)
	v_dual_add_nc_u32 v14, 20, v0 :: v_dual_add_nc_u32 v16, 19, v0
	v_lshlrev_b64_e64 v[14:15], v14, -1
	s_delay_alu instid0(VALU_DEP_2) | instskip(NEXT) | instid1(VALU_DEP_2)
	v_lshlrev_b64_e64 v[16:17], v16, 1
	v_bfi_b32 v15, v15, 0, 0
	s_delay_alu instid0(VALU_DEP_3) | instskip(NEXT) | instid1(VALU_DEP_1)
	v_bfi_b32 v14, v14, 0, v2
	v_cmp_eq_u64_e64 s13, v[14:15], v[16:17]
	v_lshrrev_b64 v[14:15], v0, v[2:3]
	s_delay_alu instid0(VALU_DEP_1)
	v_mov_b64_e32 v[16:17], v[14:15]
	s_and_saveexec_b32 s76, s13
; %bb.10640:                            ;   in Loop: Header=BB6_10440 Depth=3
	v_bfe_u32 v2, v14, 20, 1
	s_delay_alu instid0(VALU_DEP_1) | instskip(NEXT) | instid1(VALU_DEP_1)
	v_add_nc_u64_e32 v[16:17], v[14:15], v[2:3]
	v_add_nc_u64_e32 v[16:17], -1, v[16:17]
; %bb.10641:                            ;   in Loop: Header=BB6_10440 Depth=3
	s_or_b32 exec_lo, exec_lo, s76
	v_add_nc_u32_e32 v2, 0xffffff81, v38
	v_lshrrev_b32_e32 v15, 23, v14
	s_mov_b32 s13, exec_lo
	s_delay_alu instid0(VALU_DEP_2) | instskip(NEXT) | instid1(VALU_DEP_1)
	v_cndmask_b32_e64 v2, v2, 0xffffff82, vcc_lo
	v_add3_u32 v17, v0, v2, v15
	v_and_b32_e32 v0, 0xfffff, v16
	s_delay_alu instid0(VALU_DEP_1) | instskip(NEXT) | instid1(VALU_DEP_1)
	v_dual_add_nc_u32 v16, 6, v17 :: v_dual_add_nc_u32 v2, v0, v14
                                        ; implicit-def: $vgpr14_vgpr15
                                        ; implicit-def: $vgpr0
	v_cmpx_ne_u32_e32 0, v16
	s_xor_b32 s13, exec_lo, s13
; %bb.10642:                            ;   in Loop: Header=BB6_10440 Depth=3
	s_delay_alu instid0(VALU_DEP_2) | instskip(SKIP_2) | instid1(VALU_DEP_2)
	v_cmp_lt_u64_e32 vcc_lo, 0xffffff, v[2:3]
	v_add_nc_u32_e32 v0, 7, v17
	v_cndmask_b32_e64 v14, 0, 1, vcc_lo
	v_cndmask_b32_e32 v0, v16, v0, vcc_lo
	s_delay_alu instid0(VALU_DEP_2)
	v_lshrrev_b64 v[14:15], v14, v[2:3]
; %bb.10643:                            ;   in Loop: Header=BB6_10440 Depth=3
	s_and_not1_saveexec_b32 s13, s13
; %bb.10644:                            ;   in Loop: Header=BB6_10440 Depth=3
	v_mov_b64_e32 v[14:15], v[2:3]
	v_bfe_u32 v0, v2, 23, 1
; %bb.10645:                            ;   in Loop: Header=BB6_10440 Depth=3
	s_or_b32 exec_lo, exec_lo, s13
	s_delay_alu instid0(VALU_DEP_2) | instskip(NEXT) | instid1(VALU_DEP_2)
	v_lshrrev_b64 v[14:15], 20, v[14:15]
	v_cmp_gt_i32_e32 vcc_lo, 16, v0
	v_cmp_ne_u32_e64 s13, 0, v0
                                        ; implicit-def: $vgpr38
	s_delay_alu instid0(VALU_DEP_3) | instskip(NEXT) | instid1(VALU_DEP_1)
	v_dual_cndmask_b32 v15, 0, v15 :: v_dual_cndmask_b32 v14, 7, v14
	v_cmp_ne_u64_e32 vcc_lo, 0, v[14:15]
	s_or_b32 s13, s13, vcc_lo
	s_delay_alu instid0(SALU_CYCLE_1) | instskip(NEXT) | instid1(SALU_CYCLE_1)
	s_and_saveexec_b32 s76, s13
	s_xor_b32 s13, exec_lo, s76
; %bb.10646:                            ;   in Loop: Header=BB6_10440 Depth=3
	v_min_i32_e32 v0, 15, v0
	s_delay_alu instid0(VALU_DEP_1) | instskip(NEXT) | instid1(VALU_DEP_1)
	v_lshl_or_b32 v0, v0, 3, v66
                                        ; implicit-def: $vgpr66
	v_and_or_b32 v38, v14, 7, v0
; %bb.10647:                            ;   in Loop: Header=BB6_10440 Depth=3
	s_and_not1_saveexec_b32 s13, s13
; %bb.10648:                            ;   in Loop: Header=BB6_10440 Depth=3
	v_mov_b32_e32 v38, v66
; %bb.10649:                            ;   in Loop: Header=BB6_10440 Depth=3
	s_or_b32 exec_lo, exec_lo, s13
.LBB6_10650:                            ;   in Loop: Header=BB6_10440 Depth=3
	s_delay_alu instid0(SALU_CYCLE_1)
	s_or_b32 exec_lo, exec_lo, s75
                                        ; implicit-def: $vgpr66
.LBB6_10651:                            ;   in Loop: Header=BB6_10440 Depth=3
	s_and_not1_saveexec_b32 s13, s74
; %bb.10652:                            ;   in Loop: Header=BB6_10440 Depth=3
	v_or_b32_e32 v38, 0x7e, v66
; %bb.10653:                            ;   in Loop: Header=BB6_10440 Depth=3
	s_or_b32 exec_lo, exec_lo, s13
                                        ; implicit-def: $vgpr0
.LBB6_10654:                            ;   in Loop: Header=BB6_10440 Depth=3
	s_and_not1_saveexec_b32 s13, s45
; %bb.10655:                            ;   in Loop: Header=BB6_10440 Depth=3
	v_lshrrev_b32_e32 v0, 24, v0
	s_delay_alu instid0(VALU_DEP_1)
	v_or_b32_e32 v38, 0x7f, v0
; %bb.10656:                            ;   in Loop: Header=BB6_10440 Depth=3
	s_or_b32 exec_lo, exec_lo, s13
	v_and_b32_e32 v0, 0xff, v108
	v_dual_mov_b32 v16, 0 :: v_dual_mov_b32 v17, 0
	s_mov_b32 s13, exec_lo
	s_delay_alu instid0(VALU_DEP_2)
	v_cmpx_ne_u16_e32 0, v0
	s_cbranch_execz .LBB6_10664
; %bb.10657:                            ;   in Loop: Header=BB6_10440 Depth=3
	v_bfrev_b32_e32 v17, 1
	s_mov_b32 s45, exec_lo
	v_cmpx_ne_u16_e32 0x80, v0
	s_cbranch_execz .LBB6_10663
; %bb.10658:                            ;   in Loop: Header=BB6_10440 Depth=3
	v_and_b32_e32 v14, 0x7f, v108
	v_mov_b32_e32 v17, 0x7f800001
	s_mov_b32 s74, exec_lo
	s_delay_alu instid0(VALU_DEP_2)
	v_cmpx_ne_u32_e32 0x7f, v14
	s_cbranch_execz .LBB6_10662
; %bb.10659:                            ;   in Loop: Header=BB6_10440 Depth=3
	v_dual_lshrrev_b32 v0, 3, v14 :: v_dual_bitop2_b32 v2, 7, v0 bitop3:0x40
	v_cmp_gt_u32_e32 vcc_lo, 8, v14
	s_delay_alu instid0(VALU_DEP_2)
	v_mov_b64_e32 v[14:15], v[2:3]
	s_and_saveexec_b32 s75, vcc_lo
; %bb.10660:                            ;   in Loop: Header=BB6_10440 Depth=3
	v_clz_i32_u32_e32 v0, v2
	s_delay_alu instid0(VALU_DEP_1) | instskip(NEXT) | instid1(VALU_DEP_1)
	v_min_u32_e32 v0, 32, v0
	v_subrev_nc_u32_e32 v14, 28, v0
	s_delay_alu instid0(VALU_DEP_1) | instskip(NEXT) | instid1(VALU_DEP_1)
	v_lshlrev_b64_e32 v[14:15], v14, v[2:3]
	v_dual_sub_nc_u32 v0, 29, v0 :: v_dual_bitop2_b32 v14, 7, v14 bitop3:0x40
; %bb.10661:                            ;   in Loop: Header=BB6_10440 Depth=3
	s_or_b32 exec_lo, exec_lo, s75
	s_delay_alu instid0(VALU_DEP_1) | instskip(NEXT) | instid1(VALU_DEP_2)
	v_dual_lshlrev_b32 v2, 24, v108 :: v_dual_lshlrev_b32 v14, 20, v14
	v_lshl_add_u32 v0, v0, 23, 0x3c000000
	s_delay_alu instid0(VALU_DEP_2) | instskip(NEXT) | instid1(VALU_DEP_1)
	v_and_b32_e32 v2, 0x80000000, v2
	v_or3_b32 v17, v14, v2, v0
.LBB6_10662:                            ;   in Loop: Header=BB6_10440 Depth=3
	s_or_b32 exec_lo, exec_lo, s74
.LBB6_10663:                            ;   in Loop: Header=BB6_10440 Depth=3
	s_delay_alu instid0(SALU_CYCLE_1)
	s_or_b32 exec_lo, exec_lo, s45
.LBB6_10664:                            ;   in Loop: Header=BB6_10440 Depth=3
	s_delay_alu instid0(SALU_CYCLE_1) | instskip(SKIP_3) | instid1(VALU_DEP_1)
	s_or_b32 exec_lo, exec_lo, s13
	s_wait_loadcnt_dscnt 0x1919
	v_and_b32_e32 v0, 0xff, v49
	s_mov_b32 s13, exec_lo
	v_cmpx_ne_u16_e32 0, v0
	s_cbranch_execz .LBB6_10672
; %bb.10665:                            ;   in Loop: Header=BB6_10440 Depth=3
	v_bfrev_b32_e32 v16, 1
	s_mov_b32 s45, exec_lo
	v_cmpx_ne_u16_e32 0x80, v0
	s_cbranch_execz .LBB6_10671
; %bb.10666:                            ;   in Loop: Header=BB6_10440 Depth=3
	v_and_b32_e32 v14, 0x7f, v49
	v_mov_b32_e32 v16, 0x7f800001
	s_mov_b32 s74, exec_lo
	s_delay_alu instid0(VALU_DEP_2)
	v_cmpx_ne_u32_e32 0x7f, v14
	s_cbranch_execz .LBB6_10670
; %bb.10667:                            ;   in Loop: Header=BB6_10440 Depth=3
	v_dual_lshrrev_b32 v0, 3, v14 :: v_dual_bitop2_b32 v2, 7, v0 bitop3:0x40
	v_cmp_gt_u32_e32 vcc_lo, 8, v14
	s_delay_alu instid0(VALU_DEP_2)
	v_mov_b64_e32 v[14:15], v[2:3]
	s_and_saveexec_b32 s75, vcc_lo
; %bb.10668:                            ;   in Loop: Header=BB6_10440 Depth=3
	v_clz_i32_u32_e32 v0, v2
	s_delay_alu instid0(VALU_DEP_1) | instskip(NEXT) | instid1(VALU_DEP_1)
	v_min_u32_e32 v0, 32, v0
	v_subrev_nc_u32_e32 v14, 28, v0
	s_delay_alu instid0(VALU_DEP_1) | instskip(NEXT) | instid1(VALU_DEP_1)
	v_lshlrev_b64_e32 v[14:15], v14, v[2:3]
	v_dual_sub_nc_u32 v0, 29, v0 :: v_dual_bitop2_b32 v14, 7, v14 bitop3:0x40
; %bb.10669:                            ;   in Loop: Header=BB6_10440 Depth=3
	s_or_b32 exec_lo, exec_lo, s75
	s_delay_alu instid0(VALU_DEP_1) | instskip(NEXT) | instid1(VALU_DEP_2)
	v_dual_lshlrev_b32 v2, 24, v49 :: v_dual_lshlrev_b32 v14, 20, v14
	v_lshl_add_u32 v0, v0, 23, 0x3c000000
	s_delay_alu instid0(VALU_DEP_2) | instskip(NEXT) | instid1(VALU_DEP_1)
	v_and_b32_e32 v2, 0x80000000, v2
	v_or3_b32 v16, v14, v2, v0
.LBB6_10670:                            ;   in Loop: Header=BB6_10440 Depth=3
	s_or_b32 exec_lo, exec_lo, s74
.LBB6_10671:                            ;   in Loop: Header=BB6_10440 Depth=3
	s_delay_alu instid0(SALU_CYCLE_1)
	s_or_b32 exec_lo, exec_lo, s45
.LBB6_10672:                            ;   in Loop: Header=BB6_10440 Depth=3
	s_delay_alu instid0(SALU_CYCLE_1) | instskip(NEXT) | instid1(VALU_DEP_1)
	s_or_b32 exec_lo, exec_lo, s13
	v_add_f32_e32 v0, v17, v16
                                        ; implicit-def: $vgpr49
	s_mov_b32 s13, exec_lo
	s_delay_alu instid0(VALU_DEP_1) | instskip(NEXT) | instid1(VALU_DEP_1)
	v_and_b32_e32 v2, 0x7f800000, v0
	v_cmpx_ne_u64_e32 0x7f800000, v[2:3]
	s_xor_b32 s45, exec_lo, s13
	s_cbranch_execz .LBB6_10690
; %bb.10673:                            ;   in Loop: Header=BB6_10440 Depth=3
	v_lshrrev_b32_e32 v14, 24, v0
	v_and_b32_e32 v2, 0x7fffffff, v0
                                        ; implicit-def: $vgpr49
	s_mov_b32 s13, exec_lo
	s_delay_alu instid0(VALU_DEP_2) | instskip(NEXT) | instid1(VALU_DEP_2)
	v_and_b32_e32 v66, 0x80, v14
	v_cmpx_gt_u64_e32 0x43e00001, v[2:3]
	s_xor_b32 s74, exec_lo, s13
	s_cbranch_execz .LBB6_10687
; %bb.10674:                            ;   in Loop: Header=BB6_10440 Depth=3
	v_mov_b32_e32 v49, 0
	s_mov_b32 s75, exec_lo
	v_cmpx_ne_u32_e32 0, v0
	s_cbranch_execz .LBB6_10686
; %bb.10675:                            ;   in Loop: Header=BB6_10440 Depth=3
	v_bfe_u32 v49, v0, 23, 8
	v_and_b32_e32 v2, 0x7fffff, v0
	s_delay_alu instid0(VALU_DEP_2) | instskip(SKIP_2) | instid1(VALU_DEP_4)
	v_cmp_gt_u32_e64 s13, 0x7a, v49
	v_sub_nc_u32_e32 v0, 0x79, v49
	v_cmp_eq_u32_e32 vcc_lo, 0, v49
	v_or_b32_e32 v14, 0x800000, v2
	s_delay_alu instid0(VALU_DEP_1) | instskip(NEXT) | instid1(VALU_DEP_1)
	v_dual_cndmask_b32 v0, 0, v0, s13 :: v_dual_cndmask_b32 v2, v14, v2, vcc_lo
	v_cndmask_b32_e64 v0, v0, 0x78, vcc_lo
	s_delay_alu instid0(VALU_DEP_1) | instskip(NEXT) | instid1(VALU_DEP_1)
	v_dual_add_nc_u32 v14, 20, v0 :: v_dual_add_nc_u32 v16, 19, v0
	v_lshlrev_b64_e64 v[14:15], v14, -1
	s_delay_alu instid0(VALU_DEP_2) | instskip(NEXT) | instid1(VALU_DEP_2)
	v_lshlrev_b64_e64 v[16:17], v16, 1
	v_bfi_b32 v15, v15, 0, 0
	s_delay_alu instid0(VALU_DEP_3) | instskip(NEXT) | instid1(VALU_DEP_1)
	v_bfi_b32 v14, v14, 0, v2
	v_cmp_eq_u64_e64 s13, v[14:15], v[16:17]
	v_lshrrev_b64 v[14:15], v0, v[2:3]
	s_delay_alu instid0(VALU_DEP_1)
	v_mov_b64_e32 v[16:17], v[14:15]
	s_and_saveexec_b32 s76, s13
; %bb.10676:                            ;   in Loop: Header=BB6_10440 Depth=3
	v_bfe_u32 v2, v14, 20, 1
	s_delay_alu instid0(VALU_DEP_1) | instskip(NEXT) | instid1(VALU_DEP_1)
	v_add_nc_u64_e32 v[16:17], v[14:15], v[2:3]
	v_add_nc_u64_e32 v[16:17], -1, v[16:17]
; %bb.10677:                            ;   in Loop: Header=BB6_10440 Depth=3
	s_or_b32 exec_lo, exec_lo, s76
	v_add_nc_u32_e32 v2, 0xffffff81, v49
	v_lshrrev_b32_e32 v15, 23, v14
	s_mov_b32 s13, exec_lo
	s_delay_alu instid0(VALU_DEP_2) | instskip(NEXT) | instid1(VALU_DEP_1)
	v_cndmask_b32_e64 v2, v2, 0xffffff82, vcc_lo
	v_add3_u32 v17, v0, v2, v15
	v_and_b32_e32 v0, 0xfffff, v16
	s_delay_alu instid0(VALU_DEP_1) | instskip(NEXT) | instid1(VALU_DEP_1)
	v_dual_add_nc_u32 v16, 6, v17 :: v_dual_add_nc_u32 v2, v0, v14
                                        ; implicit-def: $vgpr14_vgpr15
                                        ; implicit-def: $vgpr0
	v_cmpx_ne_u32_e32 0, v16
	s_xor_b32 s13, exec_lo, s13
; %bb.10678:                            ;   in Loop: Header=BB6_10440 Depth=3
	s_delay_alu instid0(VALU_DEP_2) | instskip(SKIP_2) | instid1(VALU_DEP_2)
	v_cmp_lt_u64_e32 vcc_lo, 0xffffff, v[2:3]
	v_add_nc_u32_e32 v0, 7, v17
	v_cndmask_b32_e64 v14, 0, 1, vcc_lo
	v_cndmask_b32_e32 v0, v16, v0, vcc_lo
	s_delay_alu instid0(VALU_DEP_2)
	v_lshrrev_b64 v[14:15], v14, v[2:3]
; %bb.10679:                            ;   in Loop: Header=BB6_10440 Depth=3
	s_and_not1_saveexec_b32 s13, s13
; %bb.10680:                            ;   in Loop: Header=BB6_10440 Depth=3
	v_mov_b64_e32 v[14:15], v[2:3]
	v_bfe_u32 v0, v2, 23, 1
; %bb.10681:                            ;   in Loop: Header=BB6_10440 Depth=3
	s_or_b32 exec_lo, exec_lo, s13
	s_delay_alu instid0(VALU_DEP_2) | instskip(NEXT) | instid1(VALU_DEP_2)
	v_lshrrev_b64 v[14:15], 20, v[14:15]
	v_cmp_gt_i32_e32 vcc_lo, 16, v0
	v_cmp_ne_u32_e64 s13, 0, v0
                                        ; implicit-def: $vgpr49
	s_delay_alu instid0(VALU_DEP_3) | instskip(NEXT) | instid1(VALU_DEP_1)
	v_dual_cndmask_b32 v15, 0, v15 :: v_dual_cndmask_b32 v14, 7, v14
	v_cmp_ne_u64_e32 vcc_lo, 0, v[14:15]
	s_or_b32 s13, s13, vcc_lo
	s_delay_alu instid0(SALU_CYCLE_1) | instskip(NEXT) | instid1(SALU_CYCLE_1)
	s_and_saveexec_b32 s76, s13
	s_xor_b32 s13, exec_lo, s76
; %bb.10682:                            ;   in Loop: Header=BB6_10440 Depth=3
	v_min_i32_e32 v0, 15, v0
	s_delay_alu instid0(VALU_DEP_1) | instskip(NEXT) | instid1(VALU_DEP_1)
	v_lshl_or_b32 v0, v0, 3, v66
                                        ; implicit-def: $vgpr66
	v_and_or_b32 v49, v14, 7, v0
; %bb.10683:                            ;   in Loop: Header=BB6_10440 Depth=3
	s_and_not1_saveexec_b32 s13, s13
; %bb.10684:                            ;   in Loop: Header=BB6_10440 Depth=3
	v_mov_b32_e32 v49, v66
; %bb.10685:                            ;   in Loop: Header=BB6_10440 Depth=3
	s_or_b32 exec_lo, exec_lo, s13
.LBB6_10686:                            ;   in Loop: Header=BB6_10440 Depth=3
	s_delay_alu instid0(SALU_CYCLE_1)
	s_or_b32 exec_lo, exec_lo, s75
                                        ; implicit-def: $vgpr66
.LBB6_10687:                            ;   in Loop: Header=BB6_10440 Depth=3
	s_and_not1_saveexec_b32 s13, s74
; %bb.10688:                            ;   in Loop: Header=BB6_10440 Depth=3
	v_or_b32_e32 v49, 0x7e, v66
; %bb.10689:                            ;   in Loop: Header=BB6_10440 Depth=3
	s_or_b32 exec_lo, exec_lo, s13
                                        ; implicit-def: $vgpr0
.LBB6_10690:                            ;   in Loop: Header=BB6_10440 Depth=3
	s_and_not1_saveexec_b32 s13, s45
; %bb.10691:                            ;   in Loop: Header=BB6_10440 Depth=3
	v_lshrrev_b32_e32 v0, 24, v0
	s_delay_alu instid0(VALU_DEP_1)
	v_or_b32_e32 v49, 0x7f, v0
; %bb.10692:                            ;   in Loop: Header=BB6_10440 Depth=3
	s_or_b32 exec_lo, exec_lo, s13
	v_and_b32_e32 v0, 0xff, v107
	v_dual_mov_b32 v16, 0 :: v_dual_mov_b32 v17, 0
	s_mov_b32 s13, exec_lo
	s_delay_alu instid0(VALU_DEP_2)
	v_cmpx_ne_u16_e32 0, v0
	s_cbranch_execz .LBB6_10700
; %bb.10693:                            ;   in Loop: Header=BB6_10440 Depth=3
	v_bfrev_b32_e32 v17, 1
	s_mov_b32 s45, exec_lo
	v_cmpx_ne_u16_e32 0x80, v0
	s_cbranch_execz .LBB6_10699
; %bb.10694:                            ;   in Loop: Header=BB6_10440 Depth=3
	v_and_b32_e32 v14, 0x7f, v107
	v_mov_b32_e32 v17, 0x7f800001
	s_mov_b32 s74, exec_lo
	s_delay_alu instid0(VALU_DEP_2)
	v_cmpx_ne_u32_e32 0x7f, v14
	s_cbranch_execz .LBB6_10698
; %bb.10695:                            ;   in Loop: Header=BB6_10440 Depth=3
	v_dual_lshrrev_b32 v0, 3, v14 :: v_dual_bitop2_b32 v2, 7, v0 bitop3:0x40
	v_cmp_gt_u32_e32 vcc_lo, 8, v14
	s_delay_alu instid0(VALU_DEP_2)
	v_mov_b64_e32 v[14:15], v[2:3]
	s_and_saveexec_b32 s75, vcc_lo
; %bb.10696:                            ;   in Loop: Header=BB6_10440 Depth=3
	v_clz_i32_u32_e32 v0, v2
	s_delay_alu instid0(VALU_DEP_1) | instskip(NEXT) | instid1(VALU_DEP_1)
	v_min_u32_e32 v0, 32, v0
	v_subrev_nc_u32_e32 v14, 28, v0
	s_delay_alu instid0(VALU_DEP_1) | instskip(NEXT) | instid1(VALU_DEP_1)
	v_lshlrev_b64_e32 v[14:15], v14, v[2:3]
	v_dual_sub_nc_u32 v0, 29, v0 :: v_dual_bitop2_b32 v14, 7, v14 bitop3:0x40
; %bb.10697:                            ;   in Loop: Header=BB6_10440 Depth=3
	s_or_b32 exec_lo, exec_lo, s75
	s_delay_alu instid0(VALU_DEP_1) | instskip(NEXT) | instid1(VALU_DEP_2)
	v_dual_lshlrev_b32 v2, 24, v107 :: v_dual_lshlrev_b32 v14, 20, v14
	v_lshl_add_u32 v0, v0, 23, 0x3c000000
	s_delay_alu instid0(VALU_DEP_2) | instskip(NEXT) | instid1(VALU_DEP_1)
	v_and_b32_e32 v2, 0x80000000, v2
	v_or3_b32 v17, v14, v2, v0
.LBB6_10698:                            ;   in Loop: Header=BB6_10440 Depth=3
	s_or_b32 exec_lo, exec_lo, s74
.LBB6_10699:                            ;   in Loop: Header=BB6_10440 Depth=3
	s_delay_alu instid0(SALU_CYCLE_1)
	s_or_b32 exec_lo, exec_lo, s45
.LBB6_10700:                            ;   in Loop: Header=BB6_10440 Depth=3
	s_delay_alu instid0(SALU_CYCLE_1) | instskip(SKIP_3) | instid1(VALU_DEP_1)
	s_or_b32 exec_lo, exec_lo, s13
	s_wait_loadcnt_dscnt 0x1818
	v_and_b32_e32 v0, 0xff, v53
	s_mov_b32 s13, exec_lo
	v_cmpx_ne_u16_e32 0, v0
	s_cbranch_execz .LBB6_10708
; %bb.10701:                            ;   in Loop: Header=BB6_10440 Depth=3
	v_bfrev_b32_e32 v16, 1
	s_mov_b32 s45, exec_lo
	v_cmpx_ne_u16_e32 0x80, v0
	s_cbranch_execz .LBB6_10707
; %bb.10702:                            ;   in Loop: Header=BB6_10440 Depth=3
	v_and_b32_e32 v14, 0x7f, v53
	v_mov_b32_e32 v16, 0x7f800001
	s_mov_b32 s74, exec_lo
	s_delay_alu instid0(VALU_DEP_2)
	v_cmpx_ne_u32_e32 0x7f, v14
	s_cbranch_execz .LBB6_10706
; %bb.10703:                            ;   in Loop: Header=BB6_10440 Depth=3
	v_dual_lshrrev_b32 v0, 3, v14 :: v_dual_bitop2_b32 v2, 7, v0 bitop3:0x40
	v_cmp_gt_u32_e32 vcc_lo, 8, v14
	s_delay_alu instid0(VALU_DEP_2)
	v_mov_b64_e32 v[14:15], v[2:3]
	s_and_saveexec_b32 s75, vcc_lo
; %bb.10704:                            ;   in Loop: Header=BB6_10440 Depth=3
	v_clz_i32_u32_e32 v0, v2
	s_delay_alu instid0(VALU_DEP_1) | instskip(NEXT) | instid1(VALU_DEP_1)
	v_min_u32_e32 v0, 32, v0
	v_subrev_nc_u32_e32 v14, 28, v0
	s_delay_alu instid0(VALU_DEP_1) | instskip(NEXT) | instid1(VALU_DEP_1)
	v_lshlrev_b64_e32 v[14:15], v14, v[2:3]
	v_dual_sub_nc_u32 v0, 29, v0 :: v_dual_bitop2_b32 v14, 7, v14 bitop3:0x40
; %bb.10705:                            ;   in Loop: Header=BB6_10440 Depth=3
	s_or_b32 exec_lo, exec_lo, s75
	s_delay_alu instid0(VALU_DEP_1) | instskip(NEXT) | instid1(VALU_DEP_2)
	v_dual_lshlrev_b32 v2, 24, v53 :: v_dual_lshlrev_b32 v14, 20, v14
	v_lshl_add_u32 v0, v0, 23, 0x3c000000
	s_delay_alu instid0(VALU_DEP_2) | instskip(NEXT) | instid1(VALU_DEP_1)
	v_and_b32_e32 v2, 0x80000000, v2
	v_or3_b32 v16, v14, v2, v0
.LBB6_10706:                            ;   in Loop: Header=BB6_10440 Depth=3
	s_or_b32 exec_lo, exec_lo, s74
.LBB6_10707:                            ;   in Loop: Header=BB6_10440 Depth=3
	s_delay_alu instid0(SALU_CYCLE_1)
	s_or_b32 exec_lo, exec_lo, s45
.LBB6_10708:                            ;   in Loop: Header=BB6_10440 Depth=3
	s_delay_alu instid0(SALU_CYCLE_1) | instskip(NEXT) | instid1(VALU_DEP_1)
	s_or_b32 exec_lo, exec_lo, s13
	v_add_f32_e32 v0, v17, v16
                                        ; implicit-def: $vgpr53
	s_mov_b32 s13, exec_lo
	s_delay_alu instid0(VALU_DEP_1) | instskip(NEXT) | instid1(VALU_DEP_1)
	v_and_b32_e32 v2, 0x7f800000, v0
	v_cmpx_ne_u64_e32 0x7f800000, v[2:3]
	s_xor_b32 s45, exec_lo, s13
	s_cbranch_execz .LBB6_10726
; %bb.10709:                            ;   in Loop: Header=BB6_10440 Depth=3
	v_lshrrev_b32_e32 v14, 24, v0
	v_and_b32_e32 v2, 0x7fffffff, v0
                                        ; implicit-def: $vgpr53
	s_mov_b32 s13, exec_lo
	s_delay_alu instid0(VALU_DEP_2) | instskip(NEXT) | instid1(VALU_DEP_2)
	v_and_b32_e32 v66, 0x80, v14
	v_cmpx_gt_u64_e32 0x43e00001, v[2:3]
	s_xor_b32 s74, exec_lo, s13
	s_cbranch_execz .LBB6_10723
; %bb.10710:                            ;   in Loop: Header=BB6_10440 Depth=3
	v_mov_b32_e32 v53, 0
	s_mov_b32 s75, exec_lo
	v_cmpx_ne_u32_e32 0, v0
	s_cbranch_execz .LBB6_10722
; %bb.10711:                            ;   in Loop: Header=BB6_10440 Depth=3
	v_bfe_u32 v53, v0, 23, 8
	v_and_b32_e32 v2, 0x7fffff, v0
	s_delay_alu instid0(VALU_DEP_2) | instskip(SKIP_2) | instid1(VALU_DEP_4)
	v_cmp_gt_u32_e64 s13, 0x7a, v53
	v_sub_nc_u32_e32 v0, 0x79, v53
	v_cmp_eq_u32_e32 vcc_lo, 0, v53
	v_or_b32_e32 v14, 0x800000, v2
	s_delay_alu instid0(VALU_DEP_1) | instskip(NEXT) | instid1(VALU_DEP_1)
	v_dual_cndmask_b32 v0, 0, v0, s13 :: v_dual_cndmask_b32 v2, v14, v2, vcc_lo
	v_cndmask_b32_e64 v0, v0, 0x78, vcc_lo
	s_delay_alu instid0(VALU_DEP_1) | instskip(NEXT) | instid1(VALU_DEP_1)
	v_dual_add_nc_u32 v14, 20, v0 :: v_dual_add_nc_u32 v16, 19, v0
	v_lshlrev_b64_e64 v[14:15], v14, -1
	s_delay_alu instid0(VALU_DEP_2) | instskip(NEXT) | instid1(VALU_DEP_2)
	v_lshlrev_b64_e64 v[16:17], v16, 1
	v_bfi_b32 v15, v15, 0, 0
	s_delay_alu instid0(VALU_DEP_3) | instskip(NEXT) | instid1(VALU_DEP_1)
	v_bfi_b32 v14, v14, 0, v2
	v_cmp_eq_u64_e64 s13, v[14:15], v[16:17]
	v_lshrrev_b64 v[14:15], v0, v[2:3]
	s_delay_alu instid0(VALU_DEP_1)
	v_mov_b64_e32 v[16:17], v[14:15]
	s_and_saveexec_b32 s76, s13
; %bb.10712:                            ;   in Loop: Header=BB6_10440 Depth=3
	v_bfe_u32 v2, v14, 20, 1
	s_delay_alu instid0(VALU_DEP_1) | instskip(NEXT) | instid1(VALU_DEP_1)
	v_add_nc_u64_e32 v[16:17], v[14:15], v[2:3]
	v_add_nc_u64_e32 v[16:17], -1, v[16:17]
; %bb.10713:                            ;   in Loop: Header=BB6_10440 Depth=3
	s_or_b32 exec_lo, exec_lo, s76
	v_add_nc_u32_e32 v2, 0xffffff81, v53
	v_lshrrev_b32_e32 v15, 23, v14
	s_mov_b32 s13, exec_lo
	s_delay_alu instid0(VALU_DEP_2) | instskip(NEXT) | instid1(VALU_DEP_1)
	v_cndmask_b32_e64 v2, v2, 0xffffff82, vcc_lo
	v_add3_u32 v17, v0, v2, v15
	v_and_b32_e32 v0, 0xfffff, v16
	s_delay_alu instid0(VALU_DEP_1) | instskip(NEXT) | instid1(VALU_DEP_1)
	v_dual_add_nc_u32 v16, 6, v17 :: v_dual_add_nc_u32 v2, v0, v14
                                        ; implicit-def: $vgpr14_vgpr15
                                        ; implicit-def: $vgpr0
	v_cmpx_ne_u32_e32 0, v16
	s_xor_b32 s13, exec_lo, s13
; %bb.10714:                            ;   in Loop: Header=BB6_10440 Depth=3
	s_delay_alu instid0(VALU_DEP_2) | instskip(SKIP_2) | instid1(VALU_DEP_2)
	v_cmp_lt_u64_e32 vcc_lo, 0xffffff, v[2:3]
	v_add_nc_u32_e32 v0, 7, v17
	v_cndmask_b32_e64 v14, 0, 1, vcc_lo
	v_cndmask_b32_e32 v0, v16, v0, vcc_lo
	s_delay_alu instid0(VALU_DEP_2)
	v_lshrrev_b64 v[14:15], v14, v[2:3]
; %bb.10715:                            ;   in Loop: Header=BB6_10440 Depth=3
	s_and_not1_saveexec_b32 s13, s13
; %bb.10716:                            ;   in Loop: Header=BB6_10440 Depth=3
	v_mov_b64_e32 v[14:15], v[2:3]
	v_bfe_u32 v0, v2, 23, 1
; %bb.10717:                            ;   in Loop: Header=BB6_10440 Depth=3
	s_or_b32 exec_lo, exec_lo, s13
	s_delay_alu instid0(VALU_DEP_2) | instskip(NEXT) | instid1(VALU_DEP_2)
	v_lshrrev_b64 v[14:15], 20, v[14:15]
	v_cmp_gt_i32_e32 vcc_lo, 16, v0
	v_cmp_ne_u32_e64 s13, 0, v0
                                        ; implicit-def: $vgpr53
	s_delay_alu instid0(VALU_DEP_3) | instskip(NEXT) | instid1(VALU_DEP_1)
	v_dual_cndmask_b32 v15, 0, v15 :: v_dual_cndmask_b32 v14, 7, v14
	v_cmp_ne_u64_e32 vcc_lo, 0, v[14:15]
	s_or_b32 s13, s13, vcc_lo
	s_delay_alu instid0(SALU_CYCLE_1) | instskip(NEXT) | instid1(SALU_CYCLE_1)
	s_and_saveexec_b32 s76, s13
	s_xor_b32 s13, exec_lo, s76
; %bb.10718:                            ;   in Loop: Header=BB6_10440 Depth=3
	v_min_i32_e32 v0, 15, v0
	s_delay_alu instid0(VALU_DEP_1) | instskip(NEXT) | instid1(VALU_DEP_1)
	v_lshl_or_b32 v0, v0, 3, v66
                                        ; implicit-def: $vgpr66
	v_and_or_b32 v53, v14, 7, v0
; %bb.10719:                            ;   in Loop: Header=BB6_10440 Depth=3
	s_and_not1_saveexec_b32 s13, s13
; %bb.10720:                            ;   in Loop: Header=BB6_10440 Depth=3
	v_mov_b32_e32 v53, v66
; %bb.10721:                            ;   in Loop: Header=BB6_10440 Depth=3
	s_or_b32 exec_lo, exec_lo, s13
.LBB6_10722:                            ;   in Loop: Header=BB6_10440 Depth=3
	s_delay_alu instid0(SALU_CYCLE_1)
	s_or_b32 exec_lo, exec_lo, s75
                                        ; implicit-def: $vgpr66
.LBB6_10723:                            ;   in Loop: Header=BB6_10440 Depth=3
	s_and_not1_saveexec_b32 s13, s74
; %bb.10724:                            ;   in Loop: Header=BB6_10440 Depth=3
	v_or_b32_e32 v53, 0x7e, v66
; %bb.10725:                            ;   in Loop: Header=BB6_10440 Depth=3
	s_or_b32 exec_lo, exec_lo, s13
                                        ; implicit-def: $vgpr0
.LBB6_10726:                            ;   in Loop: Header=BB6_10440 Depth=3
	s_and_not1_saveexec_b32 s13, s45
; %bb.10727:                            ;   in Loop: Header=BB6_10440 Depth=3
	v_lshrrev_b32_e32 v0, 24, v0
	s_delay_alu instid0(VALU_DEP_1)
	v_or_b32_e32 v53, 0x7f, v0
; %bb.10728:                            ;   in Loop: Header=BB6_10440 Depth=3
	s_or_b32 exec_lo, exec_lo, s13
	v_and_b32_e32 v0, 0xff, v106
	v_dual_mov_b32 v16, 0 :: v_dual_mov_b32 v17, 0
	s_mov_b32 s13, exec_lo
	s_delay_alu instid0(VALU_DEP_2)
	v_cmpx_ne_u16_e32 0, v0
	s_cbranch_execz .LBB6_10736
; %bb.10729:                            ;   in Loop: Header=BB6_10440 Depth=3
	v_bfrev_b32_e32 v17, 1
	s_mov_b32 s45, exec_lo
	v_cmpx_ne_u16_e32 0x80, v0
	s_cbranch_execz .LBB6_10735
; %bb.10730:                            ;   in Loop: Header=BB6_10440 Depth=3
	v_and_b32_e32 v14, 0x7f, v106
	v_mov_b32_e32 v17, 0x7f800001
	s_mov_b32 s74, exec_lo
	s_delay_alu instid0(VALU_DEP_2)
	v_cmpx_ne_u32_e32 0x7f, v14
	s_cbranch_execz .LBB6_10734
; %bb.10731:                            ;   in Loop: Header=BB6_10440 Depth=3
	v_dual_lshrrev_b32 v0, 3, v14 :: v_dual_bitop2_b32 v2, 7, v0 bitop3:0x40
	v_cmp_gt_u32_e32 vcc_lo, 8, v14
	s_delay_alu instid0(VALU_DEP_2)
	v_mov_b64_e32 v[14:15], v[2:3]
	s_and_saveexec_b32 s75, vcc_lo
; %bb.10732:                            ;   in Loop: Header=BB6_10440 Depth=3
	v_clz_i32_u32_e32 v0, v2
	s_delay_alu instid0(VALU_DEP_1) | instskip(NEXT) | instid1(VALU_DEP_1)
	v_min_u32_e32 v0, 32, v0
	v_subrev_nc_u32_e32 v14, 28, v0
	s_delay_alu instid0(VALU_DEP_1) | instskip(NEXT) | instid1(VALU_DEP_1)
	v_lshlrev_b64_e32 v[14:15], v14, v[2:3]
	v_dual_sub_nc_u32 v0, 29, v0 :: v_dual_bitop2_b32 v14, 7, v14 bitop3:0x40
; %bb.10733:                            ;   in Loop: Header=BB6_10440 Depth=3
	s_or_b32 exec_lo, exec_lo, s75
	v_lshlrev_b32_e32 v2, 24, v106
	s_delay_alu instid0(VALU_DEP_2) | instskip(NEXT) | instid1(VALU_DEP_3)
	v_lshlrev_b32_e32 v14, 20, v14
	v_lshl_add_u32 v0, v0, 23, 0x3c000000
	s_delay_alu instid0(VALU_DEP_3) | instskip(NEXT) | instid1(VALU_DEP_1)
	v_and_b32_e32 v2, 0x80000000, v2
	v_or3_b32 v17, v14, v2, v0
.LBB6_10734:                            ;   in Loop: Header=BB6_10440 Depth=3
	s_or_b32 exec_lo, exec_lo, s74
.LBB6_10735:                            ;   in Loop: Header=BB6_10440 Depth=3
	s_delay_alu instid0(SALU_CYCLE_1)
	s_or_b32 exec_lo, exec_lo, s45
.LBB6_10736:                            ;   in Loop: Header=BB6_10440 Depth=3
	s_delay_alu instid0(SALU_CYCLE_1) | instskip(SKIP_3) | instid1(VALU_DEP_1)
	s_or_b32 exec_lo, exec_lo, s13
	s_wait_loadcnt_dscnt 0x1717
	v_and_b32_e32 v0, 0xff, v96
	s_mov_b32 s13, exec_lo
	v_cmpx_ne_u16_e32 0, v0
	s_cbranch_execz .LBB6_10744
; %bb.10737:                            ;   in Loop: Header=BB6_10440 Depth=3
	v_bfrev_b32_e32 v16, 1
	s_mov_b32 s45, exec_lo
	v_cmpx_ne_u16_e32 0x80, v0
	s_cbranch_execz .LBB6_10743
; %bb.10738:                            ;   in Loop: Header=BB6_10440 Depth=3
	v_and_b32_e32 v14, 0x7f, v96
	v_mov_b32_e32 v16, 0x7f800001
	s_mov_b32 s74, exec_lo
	s_delay_alu instid0(VALU_DEP_2)
	v_cmpx_ne_u32_e32 0x7f, v14
	s_cbranch_execz .LBB6_10742
; %bb.10739:                            ;   in Loop: Header=BB6_10440 Depth=3
	v_dual_lshrrev_b32 v0, 3, v14 :: v_dual_bitop2_b32 v2, 7, v0 bitop3:0x40
	v_cmp_gt_u32_e32 vcc_lo, 8, v14
	s_delay_alu instid0(VALU_DEP_2)
	v_mov_b64_e32 v[14:15], v[2:3]
	s_and_saveexec_b32 s75, vcc_lo
; %bb.10740:                            ;   in Loop: Header=BB6_10440 Depth=3
	v_clz_i32_u32_e32 v0, v2
	s_delay_alu instid0(VALU_DEP_1) | instskip(NEXT) | instid1(VALU_DEP_1)
	v_min_u32_e32 v0, 32, v0
	v_subrev_nc_u32_e32 v14, 28, v0
	s_delay_alu instid0(VALU_DEP_1) | instskip(NEXT) | instid1(VALU_DEP_1)
	v_lshlrev_b64_e32 v[14:15], v14, v[2:3]
	v_dual_sub_nc_u32 v0, 29, v0 :: v_dual_bitop2_b32 v14, 7, v14 bitop3:0x40
; %bb.10741:                            ;   in Loop: Header=BB6_10440 Depth=3
	s_or_b32 exec_lo, exec_lo, s75
	s_delay_alu instid0(VALU_DEP_1) | instskip(NEXT) | instid1(VALU_DEP_2)
	v_dual_lshlrev_b32 v2, 24, v96 :: v_dual_lshlrev_b32 v14, 20, v14
	v_lshl_add_u32 v0, v0, 23, 0x3c000000
	s_delay_alu instid0(VALU_DEP_2) | instskip(NEXT) | instid1(VALU_DEP_1)
	v_and_b32_e32 v2, 0x80000000, v2
	v_or3_b32 v16, v14, v2, v0
.LBB6_10742:                            ;   in Loop: Header=BB6_10440 Depth=3
	s_or_b32 exec_lo, exec_lo, s74
.LBB6_10743:                            ;   in Loop: Header=BB6_10440 Depth=3
	s_delay_alu instid0(SALU_CYCLE_1)
	s_or_b32 exec_lo, exec_lo, s45
.LBB6_10744:                            ;   in Loop: Header=BB6_10440 Depth=3
	s_delay_alu instid0(SALU_CYCLE_1) | instskip(NEXT) | instid1(VALU_DEP_1)
	s_or_b32 exec_lo, exec_lo, s13
	v_add_f32_e32 v0, v17, v16
                                        ; implicit-def: $vgpr96
	s_mov_b32 s13, exec_lo
	s_delay_alu instid0(VALU_DEP_1) | instskip(NEXT) | instid1(VALU_DEP_1)
	v_and_b32_e32 v2, 0x7f800000, v0
	v_cmpx_ne_u64_e32 0x7f800000, v[2:3]
	s_xor_b32 s45, exec_lo, s13
	s_cbranch_execz .LBB6_10762
; %bb.10745:                            ;   in Loop: Header=BB6_10440 Depth=3
	v_lshrrev_b32_e32 v14, 24, v0
	v_and_b32_e32 v2, 0x7fffffff, v0
                                        ; implicit-def: $vgpr96
	s_mov_b32 s13, exec_lo
	s_delay_alu instid0(VALU_DEP_2) | instskip(NEXT) | instid1(VALU_DEP_2)
	v_and_b32_e32 v66, 0x80, v14
	v_cmpx_gt_u64_e32 0x43e00001, v[2:3]
	s_xor_b32 s74, exec_lo, s13
	s_cbranch_execz .LBB6_10759
; %bb.10746:                            ;   in Loop: Header=BB6_10440 Depth=3
	v_mov_b32_e32 v96, 0
	s_mov_b32 s75, exec_lo
	v_cmpx_ne_u32_e32 0, v0
	s_cbranch_execz .LBB6_10758
; %bb.10747:                            ;   in Loop: Header=BB6_10440 Depth=3
	v_bfe_u32 v67, v0, 23, 8
	v_and_b32_e32 v2, 0x7fffff, v0
	s_delay_alu instid0(VALU_DEP_2) | instskip(SKIP_2) | instid1(VALU_DEP_4)
	v_cmp_gt_u32_e64 s13, 0x7a, v67
	v_sub_nc_u32_e32 v0, 0x79, v67
	v_cmp_eq_u32_e32 vcc_lo, 0, v67
	v_or_b32_e32 v14, 0x800000, v2
	s_delay_alu instid0(VALU_DEP_1) | instskip(NEXT) | instid1(VALU_DEP_1)
	v_dual_cndmask_b32 v0, 0, v0, s13 :: v_dual_cndmask_b32 v2, v14, v2, vcc_lo
	v_cndmask_b32_e64 v0, v0, 0x78, vcc_lo
	s_delay_alu instid0(VALU_DEP_1) | instskip(NEXT) | instid1(VALU_DEP_1)
	v_dual_add_nc_u32 v14, 20, v0 :: v_dual_add_nc_u32 v16, 19, v0
	v_lshlrev_b64_e64 v[14:15], v14, -1
	s_delay_alu instid0(VALU_DEP_2) | instskip(NEXT) | instid1(VALU_DEP_2)
	v_lshlrev_b64_e64 v[16:17], v16, 1
	v_bfi_b32 v15, v15, 0, 0
	s_delay_alu instid0(VALU_DEP_3) | instskip(NEXT) | instid1(VALU_DEP_1)
	v_bfi_b32 v14, v14, 0, v2
	v_cmp_eq_u64_e64 s13, v[14:15], v[16:17]
	v_lshrrev_b64 v[14:15], v0, v[2:3]
	s_delay_alu instid0(VALU_DEP_1)
	v_mov_b64_e32 v[16:17], v[14:15]
	s_and_saveexec_b32 s76, s13
; %bb.10748:                            ;   in Loop: Header=BB6_10440 Depth=3
	v_bfe_u32 v2, v14, 20, 1
	s_delay_alu instid0(VALU_DEP_1) | instskip(NEXT) | instid1(VALU_DEP_1)
	v_add_nc_u64_e32 v[16:17], v[14:15], v[2:3]
	v_add_nc_u64_e32 v[16:17], -1, v[16:17]
; %bb.10749:                            ;   in Loop: Header=BB6_10440 Depth=3
	s_or_b32 exec_lo, exec_lo, s76
	v_add_nc_u32_e32 v2, 0xffffff81, v67
	v_lshrrev_b32_e32 v15, 23, v14
	s_mov_b32 s13, exec_lo
	s_delay_alu instid0(VALU_DEP_2) | instskip(NEXT) | instid1(VALU_DEP_1)
	v_cndmask_b32_e64 v2, v2, 0xffffff82, vcc_lo
	v_add3_u32 v17, v0, v2, v15
	v_and_b32_e32 v0, 0xfffff, v16
	s_delay_alu instid0(VALU_DEP_1) | instskip(NEXT) | instid1(VALU_DEP_1)
	v_dual_add_nc_u32 v16, 6, v17 :: v_dual_add_nc_u32 v2, v0, v14
                                        ; implicit-def: $vgpr14_vgpr15
                                        ; implicit-def: $vgpr0
	v_cmpx_ne_u32_e32 0, v16
	s_xor_b32 s13, exec_lo, s13
; %bb.10750:                            ;   in Loop: Header=BB6_10440 Depth=3
	s_delay_alu instid0(VALU_DEP_2) | instskip(SKIP_2) | instid1(VALU_DEP_2)
	v_cmp_lt_u64_e32 vcc_lo, 0xffffff, v[2:3]
	v_add_nc_u32_e32 v0, 7, v17
	v_cndmask_b32_e64 v14, 0, 1, vcc_lo
	v_cndmask_b32_e32 v0, v16, v0, vcc_lo
	s_delay_alu instid0(VALU_DEP_2)
	v_lshrrev_b64 v[14:15], v14, v[2:3]
; %bb.10751:                            ;   in Loop: Header=BB6_10440 Depth=3
	s_and_not1_saveexec_b32 s13, s13
; %bb.10752:                            ;   in Loop: Header=BB6_10440 Depth=3
	v_mov_b64_e32 v[14:15], v[2:3]
	v_bfe_u32 v0, v2, 23, 1
; %bb.10753:                            ;   in Loop: Header=BB6_10440 Depth=3
	s_or_b32 exec_lo, exec_lo, s13
	s_delay_alu instid0(VALU_DEP_2) | instskip(NEXT) | instid1(VALU_DEP_2)
	v_lshrrev_b64 v[14:15], 20, v[14:15]
	v_cmp_gt_i32_e32 vcc_lo, 16, v0
	v_cmp_ne_u32_e64 s13, 0, v0
                                        ; implicit-def: $vgpr96
	s_delay_alu instid0(VALU_DEP_3) | instskip(NEXT) | instid1(VALU_DEP_1)
	v_dual_cndmask_b32 v15, 0, v15 :: v_dual_cndmask_b32 v14, 7, v14
	v_cmp_ne_u64_e32 vcc_lo, 0, v[14:15]
	s_or_b32 s13, s13, vcc_lo
	s_delay_alu instid0(SALU_CYCLE_1) | instskip(NEXT) | instid1(SALU_CYCLE_1)
	s_and_saveexec_b32 s76, s13
	s_xor_b32 s13, exec_lo, s76
; %bb.10754:                            ;   in Loop: Header=BB6_10440 Depth=3
	v_min_i32_e32 v0, 15, v0
	s_delay_alu instid0(VALU_DEP_1) | instskip(NEXT) | instid1(VALU_DEP_1)
	v_lshl_or_b32 v0, v0, 3, v66
                                        ; implicit-def: $vgpr66
	v_and_or_b32 v96, v14, 7, v0
; %bb.10755:                            ;   in Loop: Header=BB6_10440 Depth=3
	s_and_not1_saveexec_b32 s13, s13
; %bb.10756:                            ;   in Loop: Header=BB6_10440 Depth=3
	v_mov_b32_e32 v96, v66
; %bb.10757:                            ;   in Loop: Header=BB6_10440 Depth=3
	s_or_b32 exec_lo, exec_lo, s13
.LBB6_10758:                            ;   in Loop: Header=BB6_10440 Depth=3
	s_delay_alu instid0(SALU_CYCLE_1)
	s_or_b32 exec_lo, exec_lo, s75
                                        ; implicit-def: $vgpr66
.LBB6_10759:                            ;   in Loop: Header=BB6_10440 Depth=3
	s_and_not1_saveexec_b32 s13, s74
; %bb.10760:                            ;   in Loop: Header=BB6_10440 Depth=3
	v_or_b32_e32 v96, 0x7e, v66
; %bb.10761:                            ;   in Loop: Header=BB6_10440 Depth=3
	s_or_b32 exec_lo, exec_lo, s13
                                        ; implicit-def: $vgpr0
.LBB6_10762:                            ;   in Loop: Header=BB6_10440 Depth=3
	s_and_not1_saveexec_b32 s13, s45
; %bb.10763:                            ;   in Loop: Header=BB6_10440 Depth=3
	v_lshrrev_b32_e32 v0, 24, v0
	s_delay_alu instid0(VALU_DEP_1)
	v_or_b32_e32 v96, 0x7f, v0
; %bb.10764:                            ;   in Loop: Header=BB6_10440 Depth=3
	s_or_b32 exec_lo, exec_lo, s13
	v_and_b32_e32 v0, 0xff, v105
	v_dual_mov_b32 v16, 0 :: v_dual_mov_b32 v17, 0
	s_mov_b32 s13, exec_lo
	s_delay_alu instid0(VALU_DEP_2)
	v_cmpx_ne_u16_e32 0, v0
	s_cbranch_execz .LBB6_10772
; %bb.10765:                            ;   in Loop: Header=BB6_10440 Depth=3
	v_bfrev_b32_e32 v17, 1
	s_mov_b32 s45, exec_lo
	v_cmpx_ne_u16_e32 0x80, v0
	s_cbranch_execz .LBB6_10771
; %bb.10766:                            ;   in Loop: Header=BB6_10440 Depth=3
	v_and_b32_e32 v14, 0x7f, v105
	v_mov_b32_e32 v17, 0x7f800001
	s_mov_b32 s74, exec_lo
	s_delay_alu instid0(VALU_DEP_2)
	v_cmpx_ne_u32_e32 0x7f, v14
	s_cbranch_execz .LBB6_10770
; %bb.10767:                            ;   in Loop: Header=BB6_10440 Depth=3
	v_dual_lshrrev_b32 v0, 3, v14 :: v_dual_bitop2_b32 v2, 7, v0 bitop3:0x40
	v_cmp_gt_u32_e32 vcc_lo, 8, v14
	s_delay_alu instid0(VALU_DEP_2)
	v_mov_b64_e32 v[14:15], v[2:3]
	s_and_saveexec_b32 s75, vcc_lo
; %bb.10768:                            ;   in Loop: Header=BB6_10440 Depth=3
	v_clz_i32_u32_e32 v0, v2
	s_delay_alu instid0(VALU_DEP_1) | instskip(NEXT) | instid1(VALU_DEP_1)
	v_min_u32_e32 v0, 32, v0
	v_subrev_nc_u32_e32 v14, 28, v0
	s_delay_alu instid0(VALU_DEP_1) | instskip(NEXT) | instid1(VALU_DEP_1)
	v_lshlrev_b64_e32 v[14:15], v14, v[2:3]
	v_dual_sub_nc_u32 v0, 29, v0 :: v_dual_bitop2_b32 v14, 7, v14 bitop3:0x40
; %bb.10769:                            ;   in Loop: Header=BB6_10440 Depth=3
	s_or_b32 exec_lo, exec_lo, s75
	s_delay_alu instid0(VALU_DEP_1) | instskip(NEXT) | instid1(VALU_DEP_2)
	v_dual_lshlrev_b32 v2, 24, v105 :: v_dual_lshlrev_b32 v14, 20, v14
	v_lshl_add_u32 v0, v0, 23, 0x3c000000
	s_delay_alu instid0(VALU_DEP_2) | instskip(NEXT) | instid1(VALU_DEP_1)
	v_and_b32_e32 v2, 0x80000000, v2
	v_or3_b32 v17, v14, v2, v0
.LBB6_10770:                            ;   in Loop: Header=BB6_10440 Depth=3
	s_or_b32 exec_lo, exec_lo, s74
.LBB6_10771:                            ;   in Loop: Header=BB6_10440 Depth=3
	s_delay_alu instid0(SALU_CYCLE_1)
	s_or_b32 exec_lo, exec_lo, s45
.LBB6_10772:                            ;   in Loop: Header=BB6_10440 Depth=3
	s_delay_alu instid0(SALU_CYCLE_1) | instskip(SKIP_3) | instid1(VALU_DEP_1)
	s_or_b32 exec_lo, exec_lo, s13
	s_wait_loadcnt_dscnt 0x1616
	v_and_b32_e32 v0, 0xff, v99
	s_mov_b32 s13, exec_lo
	v_cmpx_ne_u16_e32 0, v0
	s_cbranch_execz .LBB6_10780
; %bb.10773:                            ;   in Loop: Header=BB6_10440 Depth=3
	v_bfrev_b32_e32 v16, 1
	s_mov_b32 s45, exec_lo
	v_cmpx_ne_u16_e32 0x80, v0
	s_cbranch_execz .LBB6_10779
; %bb.10774:                            ;   in Loop: Header=BB6_10440 Depth=3
	v_and_b32_e32 v14, 0x7f, v99
	v_mov_b32_e32 v16, 0x7f800001
	s_mov_b32 s74, exec_lo
	s_delay_alu instid0(VALU_DEP_2)
	v_cmpx_ne_u32_e32 0x7f, v14
	s_cbranch_execz .LBB6_10778
; %bb.10775:                            ;   in Loop: Header=BB6_10440 Depth=3
	v_dual_lshrrev_b32 v0, 3, v14 :: v_dual_bitop2_b32 v2, 7, v0 bitop3:0x40
	v_cmp_gt_u32_e32 vcc_lo, 8, v14
	s_delay_alu instid0(VALU_DEP_2)
	v_mov_b64_e32 v[14:15], v[2:3]
	s_and_saveexec_b32 s75, vcc_lo
; %bb.10776:                            ;   in Loop: Header=BB6_10440 Depth=3
	v_clz_i32_u32_e32 v0, v2
	s_delay_alu instid0(VALU_DEP_1) | instskip(NEXT) | instid1(VALU_DEP_1)
	v_min_u32_e32 v0, 32, v0
	v_subrev_nc_u32_e32 v14, 28, v0
	s_delay_alu instid0(VALU_DEP_1) | instskip(NEXT) | instid1(VALU_DEP_1)
	v_lshlrev_b64_e32 v[14:15], v14, v[2:3]
	v_dual_sub_nc_u32 v0, 29, v0 :: v_dual_bitop2_b32 v14, 7, v14 bitop3:0x40
; %bb.10777:                            ;   in Loop: Header=BB6_10440 Depth=3
	s_or_b32 exec_lo, exec_lo, s75
	s_delay_alu instid0(VALU_DEP_1) | instskip(NEXT) | instid1(VALU_DEP_2)
	v_dual_lshlrev_b32 v2, 24, v99 :: v_dual_lshlrev_b32 v14, 20, v14
	v_lshl_add_u32 v0, v0, 23, 0x3c000000
	s_delay_alu instid0(VALU_DEP_2) | instskip(NEXT) | instid1(VALU_DEP_1)
	v_and_b32_e32 v2, 0x80000000, v2
	v_or3_b32 v16, v14, v2, v0
.LBB6_10778:                            ;   in Loop: Header=BB6_10440 Depth=3
	s_or_b32 exec_lo, exec_lo, s74
.LBB6_10779:                            ;   in Loop: Header=BB6_10440 Depth=3
	s_delay_alu instid0(SALU_CYCLE_1)
	s_or_b32 exec_lo, exec_lo, s45
.LBB6_10780:                            ;   in Loop: Header=BB6_10440 Depth=3
	s_delay_alu instid0(SALU_CYCLE_1) | instskip(NEXT) | instid1(VALU_DEP_1)
	s_or_b32 exec_lo, exec_lo, s13
	v_add_f32_e32 v0, v17, v16
                                        ; implicit-def: $vgpr99
	s_mov_b32 s13, exec_lo
	s_delay_alu instid0(VALU_DEP_1) | instskip(NEXT) | instid1(VALU_DEP_1)
	v_and_b32_e32 v2, 0x7f800000, v0
	v_cmpx_ne_u64_e32 0x7f800000, v[2:3]
	s_xor_b32 s45, exec_lo, s13
	s_cbranch_execz .LBB6_10798
; %bb.10781:                            ;   in Loop: Header=BB6_10440 Depth=3
	v_lshrrev_b32_e32 v14, 24, v0
	v_and_b32_e32 v2, 0x7fffffff, v0
                                        ; implicit-def: $vgpr99
	s_mov_b32 s13, exec_lo
	s_delay_alu instid0(VALU_DEP_2) | instskip(NEXT) | instid1(VALU_DEP_2)
	v_and_b32_e32 v66, 0x80, v14
	v_cmpx_gt_u64_e32 0x43e00001, v[2:3]
	s_xor_b32 s74, exec_lo, s13
	s_cbranch_execz .LBB6_10795
; %bb.10782:                            ;   in Loop: Header=BB6_10440 Depth=3
	v_mov_b32_e32 v99, 0
	s_mov_b32 s75, exec_lo
	v_cmpx_ne_u32_e32 0, v0
	s_cbranch_execz .LBB6_10794
; %bb.10783:                            ;   in Loop: Header=BB6_10440 Depth=3
	v_bfe_u32 v67, v0, 23, 8
	v_and_b32_e32 v2, 0x7fffff, v0
	s_delay_alu instid0(VALU_DEP_2) | instskip(SKIP_2) | instid1(VALU_DEP_4)
	v_cmp_gt_u32_e64 s13, 0x7a, v67
	v_sub_nc_u32_e32 v0, 0x79, v67
	v_cmp_eq_u32_e32 vcc_lo, 0, v67
	v_or_b32_e32 v14, 0x800000, v2
	s_delay_alu instid0(VALU_DEP_1) | instskip(NEXT) | instid1(VALU_DEP_1)
	v_dual_cndmask_b32 v0, 0, v0, s13 :: v_dual_cndmask_b32 v2, v14, v2, vcc_lo
	v_cndmask_b32_e64 v0, v0, 0x78, vcc_lo
	s_delay_alu instid0(VALU_DEP_1) | instskip(NEXT) | instid1(VALU_DEP_1)
	v_dual_add_nc_u32 v14, 20, v0 :: v_dual_add_nc_u32 v16, 19, v0
	v_lshlrev_b64_e64 v[14:15], v14, -1
	s_delay_alu instid0(VALU_DEP_2) | instskip(NEXT) | instid1(VALU_DEP_2)
	v_lshlrev_b64_e64 v[16:17], v16, 1
	v_bfi_b32 v15, v15, 0, 0
	s_delay_alu instid0(VALU_DEP_3) | instskip(NEXT) | instid1(VALU_DEP_1)
	v_bfi_b32 v14, v14, 0, v2
	v_cmp_eq_u64_e64 s13, v[14:15], v[16:17]
	v_lshrrev_b64 v[14:15], v0, v[2:3]
	s_delay_alu instid0(VALU_DEP_1)
	v_mov_b64_e32 v[16:17], v[14:15]
	s_and_saveexec_b32 s76, s13
; %bb.10784:                            ;   in Loop: Header=BB6_10440 Depth=3
	v_bfe_u32 v2, v14, 20, 1
	s_delay_alu instid0(VALU_DEP_1) | instskip(NEXT) | instid1(VALU_DEP_1)
	v_add_nc_u64_e32 v[16:17], v[14:15], v[2:3]
	v_add_nc_u64_e32 v[16:17], -1, v[16:17]
; %bb.10785:                            ;   in Loop: Header=BB6_10440 Depth=3
	s_or_b32 exec_lo, exec_lo, s76
	v_add_nc_u32_e32 v2, 0xffffff81, v67
	v_lshrrev_b32_e32 v15, 23, v14
	s_mov_b32 s13, exec_lo
	s_delay_alu instid0(VALU_DEP_2) | instskip(NEXT) | instid1(VALU_DEP_1)
	v_cndmask_b32_e64 v2, v2, 0xffffff82, vcc_lo
	v_add3_u32 v17, v0, v2, v15
	v_and_b32_e32 v0, 0xfffff, v16
	s_delay_alu instid0(VALU_DEP_1) | instskip(NEXT) | instid1(VALU_DEP_1)
	v_dual_add_nc_u32 v16, 6, v17 :: v_dual_add_nc_u32 v2, v0, v14
                                        ; implicit-def: $vgpr14_vgpr15
                                        ; implicit-def: $vgpr0
	v_cmpx_ne_u32_e32 0, v16
	s_xor_b32 s13, exec_lo, s13
; %bb.10786:                            ;   in Loop: Header=BB6_10440 Depth=3
	s_delay_alu instid0(VALU_DEP_2) | instskip(SKIP_2) | instid1(VALU_DEP_2)
	v_cmp_lt_u64_e32 vcc_lo, 0xffffff, v[2:3]
	v_add_nc_u32_e32 v0, 7, v17
	v_cndmask_b32_e64 v14, 0, 1, vcc_lo
	v_cndmask_b32_e32 v0, v16, v0, vcc_lo
	s_delay_alu instid0(VALU_DEP_2)
	v_lshrrev_b64 v[14:15], v14, v[2:3]
; %bb.10787:                            ;   in Loop: Header=BB6_10440 Depth=3
	s_and_not1_saveexec_b32 s13, s13
; %bb.10788:                            ;   in Loop: Header=BB6_10440 Depth=3
	v_mov_b64_e32 v[14:15], v[2:3]
	v_bfe_u32 v0, v2, 23, 1
; %bb.10789:                            ;   in Loop: Header=BB6_10440 Depth=3
	s_or_b32 exec_lo, exec_lo, s13
	s_delay_alu instid0(VALU_DEP_2) | instskip(NEXT) | instid1(VALU_DEP_2)
	v_lshrrev_b64 v[14:15], 20, v[14:15]
	v_cmp_gt_i32_e32 vcc_lo, 16, v0
	v_cmp_ne_u32_e64 s13, 0, v0
                                        ; implicit-def: $vgpr99
	s_delay_alu instid0(VALU_DEP_3) | instskip(NEXT) | instid1(VALU_DEP_1)
	v_dual_cndmask_b32 v15, 0, v15 :: v_dual_cndmask_b32 v14, 7, v14
	v_cmp_ne_u64_e32 vcc_lo, 0, v[14:15]
	s_or_b32 s13, s13, vcc_lo
	s_delay_alu instid0(SALU_CYCLE_1) | instskip(NEXT) | instid1(SALU_CYCLE_1)
	s_and_saveexec_b32 s76, s13
	s_xor_b32 s13, exec_lo, s76
; %bb.10790:                            ;   in Loop: Header=BB6_10440 Depth=3
	v_min_i32_e32 v0, 15, v0
	s_delay_alu instid0(VALU_DEP_1) | instskip(NEXT) | instid1(VALU_DEP_1)
	v_lshl_or_b32 v0, v0, 3, v66
                                        ; implicit-def: $vgpr66
	v_and_or_b32 v99, v14, 7, v0
; %bb.10791:                            ;   in Loop: Header=BB6_10440 Depth=3
	s_and_not1_saveexec_b32 s13, s13
; %bb.10792:                            ;   in Loop: Header=BB6_10440 Depth=3
	v_mov_b32_e32 v99, v66
; %bb.10793:                            ;   in Loop: Header=BB6_10440 Depth=3
	s_or_b32 exec_lo, exec_lo, s13
.LBB6_10794:                            ;   in Loop: Header=BB6_10440 Depth=3
	s_delay_alu instid0(SALU_CYCLE_1)
	s_or_b32 exec_lo, exec_lo, s75
                                        ; implicit-def: $vgpr66
.LBB6_10795:                            ;   in Loop: Header=BB6_10440 Depth=3
	s_and_not1_saveexec_b32 s13, s74
; %bb.10796:                            ;   in Loop: Header=BB6_10440 Depth=3
	v_or_b32_e32 v99, 0x7e, v66
; %bb.10797:                            ;   in Loop: Header=BB6_10440 Depth=3
	s_or_b32 exec_lo, exec_lo, s13
                                        ; implicit-def: $vgpr0
.LBB6_10798:                            ;   in Loop: Header=BB6_10440 Depth=3
	s_and_not1_saveexec_b32 s13, s45
; %bb.10799:                            ;   in Loop: Header=BB6_10440 Depth=3
	v_lshrrev_b32_e32 v0, 24, v0
	s_delay_alu instid0(VALU_DEP_1)
	v_or_b32_e32 v99, 0x7f, v0
; %bb.10800:                            ;   in Loop: Header=BB6_10440 Depth=3
	s_or_b32 exec_lo, exec_lo, s13
	v_and_b32_e32 v0, 0xff, v104
	v_dual_mov_b32 v16, 0 :: v_dual_mov_b32 v17, 0
	s_mov_b32 s13, exec_lo
	s_delay_alu instid0(VALU_DEP_2)
	v_cmpx_ne_u16_e32 0, v0
	s_cbranch_execz .LBB6_10808
; %bb.10801:                            ;   in Loop: Header=BB6_10440 Depth=3
	v_bfrev_b32_e32 v17, 1
	s_mov_b32 s45, exec_lo
	v_cmpx_ne_u16_e32 0x80, v0
	s_cbranch_execz .LBB6_10807
; %bb.10802:                            ;   in Loop: Header=BB6_10440 Depth=3
	v_and_b32_e32 v14, 0x7f, v104
	v_mov_b32_e32 v17, 0x7f800001
	s_mov_b32 s74, exec_lo
	s_delay_alu instid0(VALU_DEP_2)
	v_cmpx_ne_u32_e32 0x7f, v14
	s_cbranch_execz .LBB6_10806
; %bb.10803:                            ;   in Loop: Header=BB6_10440 Depth=3
	v_dual_lshrrev_b32 v0, 3, v14 :: v_dual_bitop2_b32 v2, 7, v0 bitop3:0x40
	v_cmp_gt_u32_e32 vcc_lo, 8, v14
	s_delay_alu instid0(VALU_DEP_2)
	v_mov_b64_e32 v[14:15], v[2:3]
	s_and_saveexec_b32 s75, vcc_lo
; %bb.10804:                            ;   in Loop: Header=BB6_10440 Depth=3
	v_clz_i32_u32_e32 v0, v2
	s_delay_alu instid0(VALU_DEP_1) | instskip(NEXT) | instid1(VALU_DEP_1)
	v_min_u32_e32 v0, 32, v0
	v_subrev_nc_u32_e32 v14, 28, v0
	s_delay_alu instid0(VALU_DEP_1) | instskip(NEXT) | instid1(VALU_DEP_1)
	v_lshlrev_b64_e32 v[14:15], v14, v[2:3]
	v_dual_sub_nc_u32 v0, 29, v0 :: v_dual_bitop2_b32 v14, 7, v14 bitop3:0x40
; %bb.10805:                            ;   in Loop: Header=BB6_10440 Depth=3
	s_or_b32 exec_lo, exec_lo, s75
	s_delay_alu instid0(VALU_DEP_1) | instskip(NEXT) | instid1(VALU_DEP_2)
	v_dual_lshlrev_b32 v2, 24, v104 :: v_dual_lshlrev_b32 v14, 20, v14
	v_lshl_add_u32 v0, v0, 23, 0x3c000000
	s_delay_alu instid0(VALU_DEP_2) | instskip(NEXT) | instid1(VALU_DEP_1)
	v_and_b32_e32 v2, 0x80000000, v2
	v_or3_b32 v17, v14, v2, v0
.LBB6_10806:                            ;   in Loop: Header=BB6_10440 Depth=3
	s_or_b32 exec_lo, exec_lo, s74
.LBB6_10807:                            ;   in Loop: Header=BB6_10440 Depth=3
	s_delay_alu instid0(SALU_CYCLE_1)
	s_or_b32 exec_lo, exec_lo, s45
.LBB6_10808:                            ;   in Loop: Header=BB6_10440 Depth=3
	s_delay_alu instid0(SALU_CYCLE_1) | instskip(SKIP_3) | instid1(VALU_DEP_1)
	s_or_b32 exec_lo, exec_lo, s13
	s_wait_loadcnt_dscnt 0x1515
	v_and_b32_e32 v0, 0xff, v58
	s_mov_b32 s13, exec_lo
	v_cmpx_ne_u16_e32 0, v0
	s_cbranch_execz .LBB6_10816
; %bb.10809:                            ;   in Loop: Header=BB6_10440 Depth=3
	v_bfrev_b32_e32 v16, 1
	s_mov_b32 s45, exec_lo
	v_cmpx_ne_u16_e32 0x80, v0
	s_cbranch_execz .LBB6_10815
; %bb.10810:                            ;   in Loop: Header=BB6_10440 Depth=3
	v_and_b32_e32 v14, 0x7f, v58
	v_mov_b32_e32 v16, 0x7f800001
	s_mov_b32 s74, exec_lo
	s_delay_alu instid0(VALU_DEP_2)
	v_cmpx_ne_u32_e32 0x7f, v14
	s_cbranch_execz .LBB6_10814
; %bb.10811:                            ;   in Loop: Header=BB6_10440 Depth=3
	v_dual_lshrrev_b32 v0, 3, v14 :: v_dual_bitop2_b32 v2, 7, v0 bitop3:0x40
	v_cmp_gt_u32_e32 vcc_lo, 8, v14
	s_delay_alu instid0(VALU_DEP_2)
	v_mov_b64_e32 v[14:15], v[2:3]
	s_and_saveexec_b32 s75, vcc_lo
; %bb.10812:                            ;   in Loop: Header=BB6_10440 Depth=3
	v_clz_i32_u32_e32 v0, v2
	s_delay_alu instid0(VALU_DEP_1) | instskip(NEXT) | instid1(VALU_DEP_1)
	v_min_u32_e32 v0, 32, v0
	v_subrev_nc_u32_e32 v14, 28, v0
	s_delay_alu instid0(VALU_DEP_1) | instskip(NEXT) | instid1(VALU_DEP_1)
	v_lshlrev_b64_e32 v[14:15], v14, v[2:3]
	v_dual_sub_nc_u32 v0, 29, v0 :: v_dual_bitop2_b32 v14, 7, v14 bitop3:0x40
; %bb.10813:                            ;   in Loop: Header=BB6_10440 Depth=3
	s_or_b32 exec_lo, exec_lo, s75
	v_lshlrev_b32_e32 v2, 24, v58
	s_delay_alu instid0(VALU_DEP_2) | instskip(NEXT) | instid1(VALU_DEP_3)
	v_lshlrev_b32_e32 v14, 20, v14
	v_lshl_add_u32 v0, v0, 23, 0x3c000000
	s_delay_alu instid0(VALU_DEP_3) | instskip(NEXT) | instid1(VALU_DEP_1)
	v_and_b32_e32 v2, 0x80000000, v2
	v_or3_b32 v16, v14, v2, v0
.LBB6_10814:                            ;   in Loop: Header=BB6_10440 Depth=3
	s_or_b32 exec_lo, exec_lo, s74
.LBB6_10815:                            ;   in Loop: Header=BB6_10440 Depth=3
	s_delay_alu instid0(SALU_CYCLE_1)
	s_or_b32 exec_lo, exec_lo, s45
.LBB6_10816:                            ;   in Loop: Header=BB6_10440 Depth=3
	s_delay_alu instid0(SALU_CYCLE_1) | instskip(NEXT) | instid1(VALU_DEP_1)
	s_or_b32 exec_lo, exec_lo, s13
	v_add_f32_e32 v0, v17, v16
                                        ; implicit-def: $vgpr58
	s_mov_b32 s13, exec_lo
	s_delay_alu instid0(VALU_DEP_1) | instskip(NEXT) | instid1(VALU_DEP_1)
	v_and_b32_e32 v2, 0x7f800000, v0
	v_cmpx_ne_u64_e32 0x7f800000, v[2:3]
	s_xor_b32 s45, exec_lo, s13
	s_cbranch_execz .LBB6_10834
; %bb.10817:                            ;   in Loop: Header=BB6_10440 Depth=3
	v_lshrrev_b32_e32 v14, 24, v0
	v_and_b32_e32 v2, 0x7fffffff, v0
                                        ; implicit-def: $vgpr58
	s_mov_b32 s13, exec_lo
	s_delay_alu instid0(VALU_DEP_2) | instskip(NEXT) | instid1(VALU_DEP_2)
	v_and_b32_e32 v66, 0x80, v14
	v_cmpx_gt_u64_e32 0x43e00001, v[2:3]
	s_xor_b32 s74, exec_lo, s13
	s_cbranch_execz .LBB6_10831
; %bb.10818:                            ;   in Loop: Header=BB6_10440 Depth=3
	v_mov_b32_e32 v58, 0
	s_mov_b32 s75, exec_lo
	v_cmpx_ne_u32_e32 0, v0
	s_cbranch_execz .LBB6_10830
; %bb.10819:                            ;   in Loop: Header=BB6_10440 Depth=3
	v_bfe_u32 v67, v0, 23, 8
	v_and_b32_e32 v2, 0x7fffff, v0
	s_delay_alu instid0(VALU_DEP_2) | instskip(SKIP_2) | instid1(VALU_DEP_4)
	v_cmp_gt_u32_e64 s13, 0x7a, v67
	v_sub_nc_u32_e32 v0, 0x79, v67
	v_cmp_eq_u32_e32 vcc_lo, 0, v67
	v_or_b32_e32 v14, 0x800000, v2
	s_delay_alu instid0(VALU_DEP_1) | instskip(NEXT) | instid1(VALU_DEP_1)
	v_dual_cndmask_b32 v0, 0, v0, s13 :: v_dual_cndmask_b32 v2, v14, v2, vcc_lo
	v_cndmask_b32_e64 v0, v0, 0x78, vcc_lo
	s_delay_alu instid0(VALU_DEP_1) | instskip(NEXT) | instid1(VALU_DEP_1)
	v_dual_add_nc_u32 v14, 20, v0 :: v_dual_add_nc_u32 v16, 19, v0
	v_lshlrev_b64_e64 v[14:15], v14, -1
	s_delay_alu instid0(VALU_DEP_2) | instskip(NEXT) | instid1(VALU_DEP_2)
	v_lshlrev_b64_e64 v[16:17], v16, 1
	v_bfi_b32 v15, v15, 0, 0
	s_delay_alu instid0(VALU_DEP_3) | instskip(NEXT) | instid1(VALU_DEP_1)
	v_bfi_b32 v14, v14, 0, v2
	v_cmp_eq_u64_e64 s13, v[14:15], v[16:17]
	v_lshrrev_b64 v[14:15], v0, v[2:3]
	s_delay_alu instid0(VALU_DEP_1)
	v_mov_b64_e32 v[16:17], v[14:15]
	s_and_saveexec_b32 s76, s13
; %bb.10820:                            ;   in Loop: Header=BB6_10440 Depth=3
	v_bfe_u32 v2, v14, 20, 1
	s_delay_alu instid0(VALU_DEP_1) | instskip(NEXT) | instid1(VALU_DEP_1)
	v_add_nc_u64_e32 v[16:17], v[14:15], v[2:3]
	v_add_nc_u64_e32 v[16:17], -1, v[16:17]
; %bb.10821:                            ;   in Loop: Header=BB6_10440 Depth=3
	s_or_b32 exec_lo, exec_lo, s76
	v_add_nc_u32_e32 v2, 0xffffff81, v67
	v_lshrrev_b32_e32 v15, 23, v14
	s_mov_b32 s13, exec_lo
	s_delay_alu instid0(VALU_DEP_2) | instskip(NEXT) | instid1(VALU_DEP_1)
	v_cndmask_b32_e64 v2, v2, 0xffffff82, vcc_lo
	v_add3_u32 v17, v0, v2, v15
	v_and_b32_e32 v0, 0xfffff, v16
	s_delay_alu instid0(VALU_DEP_1) | instskip(NEXT) | instid1(VALU_DEP_1)
	v_dual_add_nc_u32 v16, 6, v17 :: v_dual_add_nc_u32 v2, v0, v14
                                        ; implicit-def: $vgpr14_vgpr15
                                        ; implicit-def: $vgpr0
	v_cmpx_ne_u32_e32 0, v16
	s_xor_b32 s13, exec_lo, s13
; %bb.10822:                            ;   in Loop: Header=BB6_10440 Depth=3
	s_delay_alu instid0(VALU_DEP_2) | instskip(SKIP_2) | instid1(VALU_DEP_2)
	v_cmp_lt_u64_e32 vcc_lo, 0xffffff, v[2:3]
	v_add_nc_u32_e32 v0, 7, v17
	v_cndmask_b32_e64 v14, 0, 1, vcc_lo
	v_cndmask_b32_e32 v0, v16, v0, vcc_lo
	s_delay_alu instid0(VALU_DEP_2)
	v_lshrrev_b64 v[14:15], v14, v[2:3]
; %bb.10823:                            ;   in Loop: Header=BB6_10440 Depth=3
	s_and_not1_saveexec_b32 s13, s13
; %bb.10824:                            ;   in Loop: Header=BB6_10440 Depth=3
	v_mov_b64_e32 v[14:15], v[2:3]
	v_bfe_u32 v0, v2, 23, 1
; %bb.10825:                            ;   in Loop: Header=BB6_10440 Depth=3
	s_or_b32 exec_lo, exec_lo, s13
	s_delay_alu instid0(VALU_DEP_2) | instskip(NEXT) | instid1(VALU_DEP_2)
	v_lshrrev_b64 v[14:15], 20, v[14:15]
	v_cmp_gt_i32_e32 vcc_lo, 16, v0
	v_cmp_ne_u32_e64 s13, 0, v0
                                        ; implicit-def: $vgpr58
	s_delay_alu instid0(VALU_DEP_3) | instskip(NEXT) | instid1(VALU_DEP_1)
	v_dual_cndmask_b32 v15, 0, v15 :: v_dual_cndmask_b32 v14, 7, v14
	v_cmp_ne_u64_e32 vcc_lo, 0, v[14:15]
	s_or_b32 s13, s13, vcc_lo
	s_delay_alu instid0(SALU_CYCLE_1) | instskip(NEXT) | instid1(SALU_CYCLE_1)
	s_and_saveexec_b32 s76, s13
	s_xor_b32 s13, exec_lo, s76
; %bb.10826:                            ;   in Loop: Header=BB6_10440 Depth=3
	v_min_i32_e32 v0, 15, v0
	s_delay_alu instid0(VALU_DEP_1) | instskip(NEXT) | instid1(VALU_DEP_1)
	v_lshl_or_b32 v0, v0, 3, v66
                                        ; implicit-def: $vgpr66
	v_and_or_b32 v58, v14, 7, v0
; %bb.10827:                            ;   in Loop: Header=BB6_10440 Depth=3
	s_and_not1_saveexec_b32 s13, s13
; %bb.10828:                            ;   in Loop: Header=BB6_10440 Depth=3
	v_mov_b32_e32 v58, v66
; %bb.10829:                            ;   in Loop: Header=BB6_10440 Depth=3
	s_or_b32 exec_lo, exec_lo, s13
.LBB6_10830:                            ;   in Loop: Header=BB6_10440 Depth=3
	s_delay_alu instid0(SALU_CYCLE_1)
	s_or_b32 exec_lo, exec_lo, s75
                                        ; implicit-def: $vgpr66
.LBB6_10831:                            ;   in Loop: Header=BB6_10440 Depth=3
	s_and_not1_saveexec_b32 s13, s74
; %bb.10832:                            ;   in Loop: Header=BB6_10440 Depth=3
	v_or_b32_e32 v58, 0x7e, v66
; %bb.10833:                            ;   in Loop: Header=BB6_10440 Depth=3
	s_or_b32 exec_lo, exec_lo, s13
                                        ; implicit-def: $vgpr0
.LBB6_10834:                            ;   in Loop: Header=BB6_10440 Depth=3
	s_and_not1_saveexec_b32 s13, s45
; %bb.10835:                            ;   in Loop: Header=BB6_10440 Depth=3
	v_lshrrev_b32_e32 v0, 24, v0
	s_delay_alu instid0(VALU_DEP_1)
	v_or_b32_e32 v58, 0x7f, v0
; %bb.10836:                            ;   in Loop: Header=BB6_10440 Depth=3
	s_or_b32 exec_lo, exec_lo, s13
	v_and_b32_e32 v0, 0xff, v77
	v_dual_mov_b32 v16, 0 :: v_dual_mov_b32 v17, 0
	s_mov_b32 s13, exec_lo
	s_delay_alu instid0(VALU_DEP_2)
	v_cmpx_ne_u16_e32 0, v0
	s_cbranch_execz .LBB6_10844
; %bb.10837:                            ;   in Loop: Header=BB6_10440 Depth=3
	v_bfrev_b32_e32 v17, 1
	s_mov_b32 s45, exec_lo
	v_cmpx_ne_u16_e32 0x80, v0
	s_cbranch_execz .LBB6_10843
; %bb.10838:                            ;   in Loop: Header=BB6_10440 Depth=3
	v_and_b32_e32 v14, 0x7f, v77
	v_mov_b32_e32 v17, 0x7f800001
	s_mov_b32 s74, exec_lo
	s_delay_alu instid0(VALU_DEP_2)
	v_cmpx_ne_u32_e32 0x7f, v14
	s_cbranch_execz .LBB6_10842
; %bb.10839:                            ;   in Loop: Header=BB6_10440 Depth=3
	v_dual_lshrrev_b32 v0, 3, v14 :: v_dual_bitop2_b32 v2, 7, v0 bitop3:0x40
	v_cmp_gt_u32_e32 vcc_lo, 8, v14
	s_delay_alu instid0(VALU_DEP_2)
	v_mov_b64_e32 v[14:15], v[2:3]
	s_and_saveexec_b32 s75, vcc_lo
; %bb.10840:                            ;   in Loop: Header=BB6_10440 Depth=3
	v_clz_i32_u32_e32 v0, v2
	s_delay_alu instid0(VALU_DEP_1) | instskip(NEXT) | instid1(VALU_DEP_1)
	v_min_u32_e32 v0, 32, v0
	v_subrev_nc_u32_e32 v14, 28, v0
	s_delay_alu instid0(VALU_DEP_1) | instskip(NEXT) | instid1(VALU_DEP_1)
	v_lshlrev_b64_e32 v[14:15], v14, v[2:3]
	v_dual_sub_nc_u32 v0, 29, v0 :: v_dual_bitop2_b32 v14, 7, v14 bitop3:0x40
; %bb.10841:                            ;   in Loop: Header=BB6_10440 Depth=3
	s_or_b32 exec_lo, exec_lo, s75
	s_delay_alu instid0(VALU_DEP_1) | instskip(NEXT) | instid1(VALU_DEP_2)
	v_dual_lshlrev_b32 v2, 24, v77 :: v_dual_lshlrev_b32 v14, 20, v14
	v_lshl_add_u32 v0, v0, 23, 0x3c000000
	s_delay_alu instid0(VALU_DEP_2) | instskip(NEXT) | instid1(VALU_DEP_1)
	v_and_b32_e32 v2, 0x80000000, v2
	v_or3_b32 v17, v14, v2, v0
.LBB6_10842:                            ;   in Loop: Header=BB6_10440 Depth=3
	s_or_b32 exec_lo, exec_lo, s74
.LBB6_10843:                            ;   in Loop: Header=BB6_10440 Depth=3
	s_delay_alu instid0(SALU_CYCLE_1)
	s_or_b32 exec_lo, exec_lo, s45
.LBB6_10844:                            ;   in Loop: Header=BB6_10440 Depth=3
	s_delay_alu instid0(SALU_CYCLE_1) | instskip(SKIP_3) | instid1(VALU_DEP_1)
	s_or_b32 exec_lo, exec_lo, s13
	s_wait_loadcnt_dscnt 0x1414
	v_and_b32_e32 v0, 0xff, v63
	s_mov_b32 s13, exec_lo
	v_cmpx_ne_u16_e32 0, v0
	s_cbranch_execz .LBB6_10852
; %bb.10845:                            ;   in Loop: Header=BB6_10440 Depth=3
	v_bfrev_b32_e32 v16, 1
	s_mov_b32 s45, exec_lo
	v_cmpx_ne_u16_e32 0x80, v0
	s_cbranch_execz .LBB6_10851
; %bb.10846:                            ;   in Loop: Header=BB6_10440 Depth=3
	v_and_b32_e32 v14, 0x7f, v63
	v_mov_b32_e32 v16, 0x7f800001
	s_mov_b32 s74, exec_lo
	s_delay_alu instid0(VALU_DEP_2)
	v_cmpx_ne_u32_e32 0x7f, v14
	s_cbranch_execz .LBB6_10850
; %bb.10847:                            ;   in Loop: Header=BB6_10440 Depth=3
	v_dual_lshrrev_b32 v0, 3, v14 :: v_dual_bitop2_b32 v2, 7, v0 bitop3:0x40
	v_cmp_gt_u32_e32 vcc_lo, 8, v14
	s_delay_alu instid0(VALU_DEP_2)
	v_mov_b64_e32 v[14:15], v[2:3]
	s_and_saveexec_b32 s75, vcc_lo
; %bb.10848:                            ;   in Loop: Header=BB6_10440 Depth=3
	v_clz_i32_u32_e32 v0, v2
	s_delay_alu instid0(VALU_DEP_1) | instskip(NEXT) | instid1(VALU_DEP_1)
	v_min_u32_e32 v0, 32, v0
	v_subrev_nc_u32_e32 v14, 28, v0
	s_delay_alu instid0(VALU_DEP_1) | instskip(NEXT) | instid1(VALU_DEP_1)
	v_lshlrev_b64_e32 v[14:15], v14, v[2:3]
	v_dual_sub_nc_u32 v0, 29, v0 :: v_dual_bitop2_b32 v14, 7, v14 bitop3:0x40
; %bb.10849:                            ;   in Loop: Header=BB6_10440 Depth=3
	s_or_b32 exec_lo, exec_lo, s75
	s_delay_alu instid0(VALU_DEP_1) | instskip(NEXT) | instid1(VALU_DEP_2)
	v_dual_lshlrev_b32 v2, 24, v63 :: v_dual_lshlrev_b32 v14, 20, v14
	v_lshl_add_u32 v0, v0, 23, 0x3c000000
	s_delay_alu instid0(VALU_DEP_2) | instskip(NEXT) | instid1(VALU_DEP_1)
	v_and_b32_e32 v2, 0x80000000, v2
	v_or3_b32 v16, v14, v2, v0
.LBB6_10850:                            ;   in Loop: Header=BB6_10440 Depth=3
	s_or_b32 exec_lo, exec_lo, s74
.LBB6_10851:                            ;   in Loop: Header=BB6_10440 Depth=3
	s_delay_alu instid0(SALU_CYCLE_1)
	s_or_b32 exec_lo, exec_lo, s45
.LBB6_10852:                            ;   in Loop: Header=BB6_10440 Depth=3
	s_delay_alu instid0(SALU_CYCLE_1) | instskip(NEXT) | instid1(VALU_DEP_1)
	s_or_b32 exec_lo, exec_lo, s13
	v_add_f32_e32 v0, v17, v16
                                        ; implicit-def: $vgpr63
	s_mov_b32 s13, exec_lo
	s_delay_alu instid0(VALU_DEP_1) | instskip(NEXT) | instid1(VALU_DEP_1)
	v_and_b32_e32 v2, 0x7f800000, v0
	v_cmpx_ne_u64_e32 0x7f800000, v[2:3]
	s_xor_b32 s45, exec_lo, s13
	s_cbranch_execz .LBB6_10870
; %bb.10853:                            ;   in Loop: Header=BB6_10440 Depth=3
	v_lshrrev_b32_e32 v14, 24, v0
	v_and_b32_e32 v2, 0x7fffffff, v0
                                        ; implicit-def: $vgpr63
	s_mov_b32 s13, exec_lo
	s_delay_alu instid0(VALU_DEP_2) | instskip(NEXT) | instid1(VALU_DEP_2)
	v_and_b32_e32 v66, 0x80, v14
	v_cmpx_gt_u64_e32 0x43e00001, v[2:3]
	s_xor_b32 s74, exec_lo, s13
	s_cbranch_execz .LBB6_10867
; %bb.10854:                            ;   in Loop: Header=BB6_10440 Depth=3
	v_mov_b32_e32 v63, 0
	s_mov_b32 s75, exec_lo
	v_cmpx_ne_u32_e32 0, v0
	s_cbranch_execz .LBB6_10866
; %bb.10855:                            ;   in Loop: Header=BB6_10440 Depth=3
	v_bfe_u32 v67, v0, 23, 8
	v_and_b32_e32 v2, 0x7fffff, v0
	s_delay_alu instid0(VALU_DEP_2) | instskip(SKIP_2) | instid1(VALU_DEP_4)
	v_cmp_gt_u32_e64 s13, 0x7a, v67
	v_sub_nc_u32_e32 v0, 0x79, v67
	v_cmp_eq_u32_e32 vcc_lo, 0, v67
	v_or_b32_e32 v14, 0x800000, v2
	s_delay_alu instid0(VALU_DEP_1) | instskip(NEXT) | instid1(VALU_DEP_1)
	v_dual_cndmask_b32 v0, 0, v0, s13 :: v_dual_cndmask_b32 v2, v14, v2, vcc_lo
	v_cndmask_b32_e64 v0, v0, 0x78, vcc_lo
	s_delay_alu instid0(VALU_DEP_1) | instskip(NEXT) | instid1(VALU_DEP_1)
	v_dual_add_nc_u32 v14, 20, v0 :: v_dual_add_nc_u32 v16, 19, v0
	v_lshlrev_b64_e64 v[14:15], v14, -1
	s_delay_alu instid0(VALU_DEP_2) | instskip(NEXT) | instid1(VALU_DEP_2)
	v_lshlrev_b64_e64 v[16:17], v16, 1
	v_bfi_b32 v15, v15, 0, 0
	s_delay_alu instid0(VALU_DEP_3) | instskip(NEXT) | instid1(VALU_DEP_1)
	v_bfi_b32 v14, v14, 0, v2
	v_cmp_eq_u64_e64 s13, v[14:15], v[16:17]
	v_lshrrev_b64 v[14:15], v0, v[2:3]
	s_delay_alu instid0(VALU_DEP_1)
	v_mov_b64_e32 v[16:17], v[14:15]
	s_and_saveexec_b32 s76, s13
; %bb.10856:                            ;   in Loop: Header=BB6_10440 Depth=3
	v_bfe_u32 v2, v14, 20, 1
	s_delay_alu instid0(VALU_DEP_1) | instskip(NEXT) | instid1(VALU_DEP_1)
	v_add_nc_u64_e32 v[16:17], v[14:15], v[2:3]
	v_add_nc_u64_e32 v[16:17], -1, v[16:17]
; %bb.10857:                            ;   in Loop: Header=BB6_10440 Depth=3
	s_or_b32 exec_lo, exec_lo, s76
	v_add_nc_u32_e32 v2, 0xffffff81, v67
	v_lshrrev_b32_e32 v15, 23, v14
	s_mov_b32 s13, exec_lo
	s_delay_alu instid0(VALU_DEP_2) | instskip(NEXT) | instid1(VALU_DEP_1)
	v_cndmask_b32_e64 v2, v2, 0xffffff82, vcc_lo
	v_add3_u32 v17, v0, v2, v15
	v_and_b32_e32 v0, 0xfffff, v16
	s_delay_alu instid0(VALU_DEP_1) | instskip(NEXT) | instid1(VALU_DEP_1)
	v_dual_add_nc_u32 v16, 6, v17 :: v_dual_add_nc_u32 v2, v0, v14
                                        ; implicit-def: $vgpr14_vgpr15
                                        ; implicit-def: $vgpr0
	v_cmpx_ne_u32_e32 0, v16
	s_xor_b32 s13, exec_lo, s13
; %bb.10858:                            ;   in Loop: Header=BB6_10440 Depth=3
	s_delay_alu instid0(VALU_DEP_2) | instskip(SKIP_2) | instid1(VALU_DEP_2)
	v_cmp_lt_u64_e32 vcc_lo, 0xffffff, v[2:3]
	v_add_nc_u32_e32 v0, 7, v17
	v_cndmask_b32_e64 v14, 0, 1, vcc_lo
	v_cndmask_b32_e32 v0, v16, v0, vcc_lo
	s_delay_alu instid0(VALU_DEP_2)
	v_lshrrev_b64 v[14:15], v14, v[2:3]
; %bb.10859:                            ;   in Loop: Header=BB6_10440 Depth=3
	s_and_not1_saveexec_b32 s13, s13
; %bb.10860:                            ;   in Loop: Header=BB6_10440 Depth=3
	v_mov_b64_e32 v[14:15], v[2:3]
	v_bfe_u32 v0, v2, 23, 1
; %bb.10861:                            ;   in Loop: Header=BB6_10440 Depth=3
	s_or_b32 exec_lo, exec_lo, s13
	s_delay_alu instid0(VALU_DEP_2) | instskip(NEXT) | instid1(VALU_DEP_2)
	v_lshrrev_b64 v[14:15], 20, v[14:15]
	v_cmp_gt_i32_e32 vcc_lo, 16, v0
	v_cmp_ne_u32_e64 s13, 0, v0
                                        ; implicit-def: $vgpr63
	s_delay_alu instid0(VALU_DEP_3) | instskip(NEXT) | instid1(VALU_DEP_1)
	v_dual_cndmask_b32 v15, 0, v15 :: v_dual_cndmask_b32 v14, 7, v14
	v_cmp_ne_u64_e32 vcc_lo, 0, v[14:15]
	s_or_b32 s13, s13, vcc_lo
	s_delay_alu instid0(SALU_CYCLE_1) | instskip(NEXT) | instid1(SALU_CYCLE_1)
	s_and_saveexec_b32 s76, s13
	s_xor_b32 s13, exec_lo, s76
; %bb.10862:                            ;   in Loop: Header=BB6_10440 Depth=3
	v_min_i32_e32 v0, 15, v0
	s_delay_alu instid0(VALU_DEP_1) | instskip(NEXT) | instid1(VALU_DEP_1)
	v_lshl_or_b32 v0, v0, 3, v66
                                        ; implicit-def: $vgpr66
	v_and_or_b32 v63, v14, 7, v0
; %bb.10863:                            ;   in Loop: Header=BB6_10440 Depth=3
	s_and_not1_saveexec_b32 s13, s13
; %bb.10864:                            ;   in Loop: Header=BB6_10440 Depth=3
	v_mov_b32_e32 v63, v66
; %bb.10865:                            ;   in Loop: Header=BB6_10440 Depth=3
	s_or_b32 exec_lo, exec_lo, s13
.LBB6_10866:                            ;   in Loop: Header=BB6_10440 Depth=3
	s_delay_alu instid0(SALU_CYCLE_1)
	s_or_b32 exec_lo, exec_lo, s75
                                        ; implicit-def: $vgpr66
.LBB6_10867:                            ;   in Loop: Header=BB6_10440 Depth=3
	s_and_not1_saveexec_b32 s13, s74
; %bb.10868:                            ;   in Loop: Header=BB6_10440 Depth=3
	v_or_b32_e32 v63, 0x7e, v66
; %bb.10869:                            ;   in Loop: Header=BB6_10440 Depth=3
	s_or_b32 exec_lo, exec_lo, s13
                                        ; implicit-def: $vgpr0
.LBB6_10870:                            ;   in Loop: Header=BB6_10440 Depth=3
	s_and_not1_saveexec_b32 s13, s45
; %bb.10871:                            ;   in Loop: Header=BB6_10440 Depth=3
	v_lshrrev_b32_e32 v0, 24, v0
	s_delay_alu instid0(VALU_DEP_1)
	v_or_b32_e32 v63, 0x7f, v0
; %bb.10872:                            ;   in Loop: Header=BB6_10440 Depth=3
	s_or_b32 exec_lo, exec_lo, s13
	v_and_b32_e32 v0, 0xff, v47
	v_dual_mov_b32 v16, 0 :: v_dual_mov_b32 v17, 0
	s_mov_b32 s13, exec_lo
	s_delay_alu instid0(VALU_DEP_2)
	v_cmpx_ne_u16_e32 0, v0
	s_cbranch_execz .LBB6_10880
; %bb.10873:                            ;   in Loop: Header=BB6_10440 Depth=3
	v_bfrev_b32_e32 v17, 1
	s_mov_b32 s45, exec_lo
	v_cmpx_ne_u16_e32 0x80, v0
	s_cbranch_execz .LBB6_10879
; %bb.10874:                            ;   in Loop: Header=BB6_10440 Depth=3
	v_and_b32_e32 v14, 0x7f, v47
	v_mov_b32_e32 v17, 0x7f800001
	s_mov_b32 s74, exec_lo
	s_delay_alu instid0(VALU_DEP_2)
	v_cmpx_ne_u32_e32 0x7f, v14
	s_cbranch_execz .LBB6_10878
; %bb.10875:                            ;   in Loop: Header=BB6_10440 Depth=3
	v_dual_lshrrev_b32 v0, 3, v14 :: v_dual_bitop2_b32 v2, 7, v0 bitop3:0x40
	v_cmp_gt_u32_e32 vcc_lo, 8, v14
	s_delay_alu instid0(VALU_DEP_2)
	v_mov_b64_e32 v[14:15], v[2:3]
	s_and_saveexec_b32 s75, vcc_lo
; %bb.10876:                            ;   in Loop: Header=BB6_10440 Depth=3
	v_clz_i32_u32_e32 v0, v2
	s_delay_alu instid0(VALU_DEP_1) | instskip(NEXT) | instid1(VALU_DEP_1)
	v_min_u32_e32 v0, 32, v0
	v_subrev_nc_u32_e32 v14, 28, v0
	s_delay_alu instid0(VALU_DEP_1) | instskip(NEXT) | instid1(VALU_DEP_1)
	v_lshlrev_b64_e32 v[14:15], v14, v[2:3]
	v_dual_sub_nc_u32 v0, 29, v0 :: v_dual_bitop2_b32 v14, 7, v14 bitop3:0x40
; %bb.10877:                            ;   in Loop: Header=BB6_10440 Depth=3
	s_or_b32 exec_lo, exec_lo, s75
	s_delay_alu instid0(VALU_DEP_1) | instskip(NEXT) | instid1(VALU_DEP_2)
	v_dual_lshlrev_b32 v2, 24, v47 :: v_dual_lshlrev_b32 v14, 20, v14
	v_lshl_add_u32 v0, v0, 23, 0x3c000000
	s_delay_alu instid0(VALU_DEP_2) | instskip(NEXT) | instid1(VALU_DEP_1)
	v_and_b32_e32 v2, 0x80000000, v2
	v_or3_b32 v17, v14, v2, v0
.LBB6_10878:                            ;   in Loop: Header=BB6_10440 Depth=3
	s_or_b32 exec_lo, exec_lo, s74
.LBB6_10879:                            ;   in Loop: Header=BB6_10440 Depth=3
	s_delay_alu instid0(SALU_CYCLE_1)
	s_or_b32 exec_lo, exec_lo, s45
.LBB6_10880:                            ;   in Loop: Header=BB6_10440 Depth=3
	s_delay_alu instid0(SALU_CYCLE_1) | instskip(SKIP_3) | instid1(VALU_DEP_1)
	s_or_b32 exec_lo, exec_lo, s13
	s_wait_loadcnt_dscnt 0x1313
	v_and_b32_e32 v0, 0xff, v46
	s_mov_b32 s13, exec_lo
	v_cmpx_ne_u16_e32 0, v0
	s_cbranch_execz .LBB6_10888
; %bb.10881:                            ;   in Loop: Header=BB6_10440 Depth=3
	v_bfrev_b32_e32 v16, 1
	s_mov_b32 s45, exec_lo
	v_cmpx_ne_u16_e32 0x80, v0
	s_cbranch_execz .LBB6_10887
; %bb.10882:                            ;   in Loop: Header=BB6_10440 Depth=3
	v_and_b32_e32 v14, 0x7f, v46
	v_mov_b32_e32 v16, 0x7f800001
	s_mov_b32 s74, exec_lo
	s_delay_alu instid0(VALU_DEP_2)
	v_cmpx_ne_u32_e32 0x7f, v14
	s_cbranch_execz .LBB6_10886
; %bb.10883:                            ;   in Loop: Header=BB6_10440 Depth=3
	v_dual_lshrrev_b32 v0, 3, v14 :: v_dual_bitop2_b32 v2, 7, v0 bitop3:0x40
	v_cmp_gt_u32_e32 vcc_lo, 8, v14
	s_delay_alu instid0(VALU_DEP_2)
	v_mov_b64_e32 v[14:15], v[2:3]
	s_and_saveexec_b32 s75, vcc_lo
; %bb.10884:                            ;   in Loop: Header=BB6_10440 Depth=3
	v_clz_i32_u32_e32 v0, v2
	s_delay_alu instid0(VALU_DEP_1) | instskip(NEXT) | instid1(VALU_DEP_1)
	v_min_u32_e32 v0, 32, v0
	v_subrev_nc_u32_e32 v14, 28, v0
	s_delay_alu instid0(VALU_DEP_1) | instskip(NEXT) | instid1(VALU_DEP_1)
	v_lshlrev_b64_e32 v[14:15], v14, v[2:3]
	v_dual_sub_nc_u32 v0, 29, v0 :: v_dual_bitop2_b32 v14, 7, v14 bitop3:0x40
; %bb.10885:                            ;   in Loop: Header=BB6_10440 Depth=3
	s_or_b32 exec_lo, exec_lo, s75
	v_lshlrev_b32_e32 v2, 24, v46
	s_delay_alu instid0(VALU_DEP_2) | instskip(NEXT) | instid1(VALU_DEP_3)
	v_lshlrev_b32_e32 v14, 20, v14
	v_lshl_add_u32 v0, v0, 23, 0x3c000000
	s_delay_alu instid0(VALU_DEP_3) | instskip(NEXT) | instid1(VALU_DEP_1)
	v_and_b32_e32 v2, 0x80000000, v2
	v_or3_b32 v16, v14, v2, v0
.LBB6_10886:                            ;   in Loop: Header=BB6_10440 Depth=3
	s_or_b32 exec_lo, exec_lo, s74
.LBB6_10887:                            ;   in Loop: Header=BB6_10440 Depth=3
	s_delay_alu instid0(SALU_CYCLE_1)
	s_or_b32 exec_lo, exec_lo, s45
.LBB6_10888:                            ;   in Loop: Header=BB6_10440 Depth=3
	s_delay_alu instid0(SALU_CYCLE_1) | instskip(NEXT) | instid1(VALU_DEP_1)
	s_or_b32 exec_lo, exec_lo, s13
	v_add_f32_e32 v0, v17, v16
                                        ; implicit-def: $vgpr77
	s_mov_b32 s13, exec_lo
	s_delay_alu instid0(VALU_DEP_1) | instskip(NEXT) | instid1(VALU_DEP_1)
	v_and_b32_e32 v2, 0x7f800000, v0
	v_cmpx_ne_u64_e32 0x7f800000, v[2:3]
	s_xor_b32 s45, exec_lo, s13
	s_cbranch_execz .LBB6_10906
; %bb.10889:                            ;   in Loop: Header=BB6_10440 Depth=3
	v_lshrrev_b32_e32 v14, 24, v0
	v_and_b32_e32 v2, 0x7fffffff, v0
                                        ; implicit-def: $vgpr77
	s_mov_b32 s13, exec_lo
	s_delay_alu instid0(VALU_DEP_2) | instskip(NEXT) | instid1(VALU_DEP_2)
	v_and_b32_e32 v66, 0x80, v14
	v_cmpx_gt_u64_e32 0x43e00001, v[2:3]
	s_xor_b32 s74, exec_lo, s13
	s_cbranch_execz .LBB6_10903
; %bb.10890:                            ;   in Loop: Header=BB6_10440 Depth=3
	v_mov_b32_e32 v77, 0
	s_mov_b32 s75, exec_lo
	v_cmpx_ne_u32_e32 0, v0
	s_cbranch_execz .LBB6_10902
; %bb.10891:                            ;   in Loop: Header=BB6_10440 Depth=3
	v_bfe_u32 v67, v0, 23, 8
	v_and_b32_e32 v2, 0x7fffff, v0
	s_delay_alu instid0(VALU_DEP_2) | instskip(SKIP_2) | instid1(VALU_DEP_4)
	v_cmp_gt_u32_e64 s13, 0x7a, v67
	v_sub_nc_u32_e32 v0, 0x79, v67
	v_cmp_eq_u32_e32 vcc_lo, 0, v67
	v_or_b32_e32 v14, 0x800000, v2
	s_delay_alu instid0(VALU_DEP_1) | instskip(NEXT) | instid1(VALU_DEP_1)
	v_dual_cndmask_b32 v0, 0, v0, s13 :: v_dual_cndmask_b32 v2, v14, v2, vcc_lo
	v_cndmask_b32_e64 v0, v0, 0x78, vcc_lo
	s_delay_alu instid0(VALU_DEP_1) | instskip(NEXT) | instid1(VALU_DEP_1)
	v_dual_add_nc_u32 v14, 20, v0 :: v_dual_add_nc_u32 v16, 19, v0
	v_lshlrev_b64_e64 v[14:15], v14, -1
	s_delay_alu instid0(VALU_DEP_2) | instskip(NEXT) | instid1(VALU_DEP_2)
	v_lshlrev_b64_e64 v[16:17], v16, 1
	v_bfi_b32 v15, v15, 0, 0
	s_delay_alu instid0(VALU_DEP_3) | instskip(NEXT) | instid1(VALU_DEP_1)
	v_bfi_b32 v14, v14, 0, v2
	v_cmp_eq_u64_e64 s13, v[14:15], v[16:17]
	v_lshrrev_b64 v[14:15], v0, v[2:3]
	s_delay_alu instid0(VALU_DEP_1)
	v_mov_b64_e32 v[16:17], v[14:15]
	s_and_saveexec_b32 s76, s13
; %bb.10892:                            ;   in Loop: Header=BB6_10440 Depth=3
	v_bfe_u32 v2, v14, 20, 1
	s_delay_alu instid0(VALU_DEP_1) | instskip(NEXT) | instid1(VALU_DEP_1)
	v_add_nc_u64_e32 v[16:17], v[14:15], v[2:3]
	v_add_nc_u64_e32 v[16:17], -1, v[16:17]
; %bb.10893:                            ;   in Loop: Header=BB6_10440 Depth=3
	s_or_b32 exec_lo, exec_lo, s76
	v_add_nc_u32_e32 v2, 0xffffff81, v67
	v_lshrrev_b32_e32 v15, 23, v14
	s_mov_b32 s13, exec_lo
	s_delay_alu instid0(VALU_DEP_2) | instskip(NEXT) | instid1(VALU_DEP_1)
	v_cndmask_b32_e64 v2, v2, 0xffffff82, vcc_lo
	v_add3_u32 v17, v0, v2, v15
	v_and_b32_e32 v0, 0xfffff, v16
	s_delay_alu instid0(VALU_DEP_1) | instskip(NEXT) | instid1(VALU_DEP_1)
	v_dual_add_nc_u32 v16, 6, v17 :: v_dual_add_nc_u32 v2, v0, v14
                                        ; implicit-def: $vgpr14_vgpr15
                                        ; implicit-def: $vgpr0
	v_cmpx_ne_u32_e32 0, v16
	s_xor_b32 s13, exec_lo, s13
; %bb.10894:                            ;   in Loop: Header=BB6_10440 Depth=3
	s_delay_alu instid0(VALU_DEP_2) | instskip(SKIP_2) | instid1(VALU_DEP_2)
	v_cmp_lt_u64_e32 vcc_lo, 0xffffff, v[2:3]
	v_add_nc_u32_e32 v0, 7, v17
	v_cndmask_b32_e64 v14, 0, 1, vcc_lo
	v_cndmask_b32_e32 v0, v16, v0, vcc_lo
	s_delay_alu instid0(VALU_DEP_2)
	v_lshrrev_b64 v[14:15], v14, v[2:3]
; %bb.10895:                            ;   in Loop: Header=BB6_10440 Depth=3
	s_and_not1_saveexec_b32 s13, s13
; %bb.10896:                            ;   in Loop: Header=BB6_10440 Depth=3
	v_mov_b64_e32 v[14:15], v[2:3]
	v_bfe_u32 v0, v2, 23, 1
; %bb.10897:                            ;   in Loop: Header=BB6_10440 Depth=3
	s_or_b32 exec_lo, exec_lo, s13
	s_delay_alu instid0(VALU_DEP_2) | instskip(NEXT) | instid1(VALU_DEP_2)
	v_lshrrev_b64 v[14:15], 20, v[14:15]
	v_cmp_gt_i32_e32 vcc_lo, 16, v0
	v_cmp_ne_u32_e64 s13, 0, v0
                                        ; implicit-def: $vgpr77
	s_delay_alu instid0(VALU_DEP_3) | instskip(NEXT) | instid1(VALU_DEP_1)
	v_dual_cndmask_b32 v15, 0, v15 :: v_dual_cndmask_b32 v14, 7, v14
	v_cmp_ne_u64_e32 vcc_lo, 0, v[14:15]
	s_or_b32 s13, s13, vcc_lo
	s_delay_alu instid0(SALU_CYCLE_1) | instskip(NEXT) | instid1(SALU_CYCLE_1)
	s_and_saveexec_b32 s76, s13
	s_xor_b32 s13, exec_lo, s76
; %bb.10898:                            ;   in Loop: Header=BB6_10440 Depth=3
	v_min_i32_e32 v0, 15, v0
	s_delay_alu instid0(VALU_DEP_1) | instskip(NEXT) | instid1(VALU_DEP_1)
	v_lshl_or_b32 v0, v0, 3, v66
                                        ; implicit-def: $vgpr66
	v_and_or_b32 v77, v14, 7, v0
; %bb.10899:                            ;   in Loop: Header=BB6_10440 Depth=3
	s_and_not1_saveexec_b32 s13, s13
; %bb.10900:                            ;   in Loop: Header=BB6_10440 Depth=3
	v_mov_b32_e32 v77, v66
; %bb.10901:                            ;   in Loop: Header=BB6_10440 Depth=3
	s_or_b32 exec_lo, exec_lo, s13
.LBB6_10902:                            ;   in Loop: Header=BB6_10440 Depth=3
	s_delay_alu instid0(SALU_CYCLE_1)
	s_or_b32 exec_lo, exec_lo, s75
                                        ; implicit-def: $vgpr66
.LBB6_10903:                            ;   in Loop: Header=BB6_10440 Depth=3
	s_and_not1_saveexec_b32 s13, s74
; %bb.10904:                            ;   in Loop: Header=BB6_10440 Depth=3
	v_or_b32_e32 v77, 0x7e, v66
; %bb.10905:                            ;   in Loop: Header=BB6_10440 Depth=3
	s_or_b32 exec_lo, exec_lo, s13
                                        ; implicit-def: $vgpr0
.LBB6_10906:                            ;   in Loop: Header=BB6_10440 Depth=3
	s_and_not1_saveexec_b32 s13, s45
; %bb.10907:                            ;   in Loop: Header=BB6_10440 Depth=3
	v_lshrrev_b32_e32 v0, 24, v0
	s_delay_alu instid0(VALU_DEP_1)
	v_or_b32_e32 v77, 0x7f, v0
; %bb.10908:                            ;   in Loop: Header=BB6_10440 Depth=3
	s_or_b32 exec_lo, exec_lo, s13
	v_and_b32_e32 v0, 0xff, v95
	v_dual_mov_b32 v16, 0 :: v_dual_mov_b32 v17, 0
	s_mov_b32 s13, exec_lo
	s_delay_alu instid0(VALU_DEP_2)
	v_cmpx_ne_u16_e32 0, v0
	s_cbranch_execz .LBB6_10916
; %bb.10909:                            ;   in Loop: Header=BB6_10440 Depth=3
	v_bfrev_b32_e32 v17, 1
	s_mov_b32 s45, exec_lo
	v_cmpx_ne_u16_e32 0x80, v0
	s_cbranch_execz .LBB6_10915
; %bb.10910:                            ;   in Loop: Header=BB6_10440 Depth=3
	v_and_b32_e32 v14, 0x7f, v95
	v_mov_b32_e32 v17, 0x7f800001
	s_mov_b32 s74, exec_lo
	s_delay_alu instid0(VALU_DEP_2)
	v_cmpx_ne_u32_e32 0x7f, v14
	s_cbranch_execz .LBB6_10914
; %bb.10911:                            ;   in Loop: Header=BB6_10440 Depth=3
	v_dual_lshrrev_b32 v0, 3, v14 :: v_dual_bitop2_b32 v2, 7, v0 bitop3:0x40
	v_cmp_gt_u32_e32 vcc_lo, 8, v14
	s_delay_alu instid0(VALU_DEP_2)
	v_mov_b64_e32 v[14:15], v[2:3]
	s_and_saveexec_b32 s75, vcc_lo
; %bb.10912:                            ;   in Loop: Header=BB6_10440 Depth=3
	v_clz_i32_u32_e32 v0, v2
	s_delay_alu instid0(VALU_DEP_1) | instskip(NEXT) | instid1(VALU_DEP_1)
	v_min_u32_e32 v0, 32, v0
	v_subrev_nc_u32_e32 v14, 28, v0
	s_delay_alu instid0(VALU_DEP_1) | instskip(NEXT) | instid1(VALU_DEP_1)
	v_lshlrev_b64_e32 v[14:15], v14, v[2:3]
	v_dual_sub_nc_u32 v0, 29, v0 :: v_dual_bitop2_b32 v14, 7, v14 bitop3:0x40
; %bb.10913:                            ;   in Loop: Header=BB6_10440 Depth=3
	s_or_b32 exec_lo, exec_lo, s75
	s_delay_alu instid0(VALU_DEP_1) | instskip(NEXT) | instid1(VALU_DEP_2)
	v_dual_lshlrev_b32 v2, 24, v95 :: v_dual_lshlrev_b32 v14, 20, v14
	v_lshl_add_u32 v0, v0, 23, 0x3c000000
	s_delay_alu instid0(VALU_DEP_2) | instskip(NEXT) | instid1(VALU_DEP_1)
	v_and_b32_e32 v2, 0x80000000, v2
	v_or3_b32 v17, v14, v2, v0
.LBB6_10914:                            ;   in Loop: Header=BB6_10440 Depth=3
	s_or_b32 exec_lo, exec_lo, s74
.LBB6_10915:                            ;   in Loop: Header=BB6_10440 Depth=3
	s_delay_alu instid0(SALU_CYCLE_1)
	s_or_b32 exec_lo, exec_lo, s45
.LBB6_10916:                            ;   in Loop: Header=BB6_10440 Depth=3
	s_delay_alu instid0(SALU_CYCLE_1) | instskip(SKIP_3) | instid1(VALU_DEP_1)
	s_or_b32 exec_lo, exec_lo, s13
	s_wait_loadcnt_dscnt 0x1212
	v_and_b32_e32 v0, 0xff, v78
	s_mov_b32 s13, exec_lo
	v_cmpx_ne_u16_e32 0, v0
	s_cbranch_execz .LBB6_10924
; %bb.10917:                            ;   in Loop: Header=BB6_10440 Depth=3
	v_bfrev_b32_e32 v16, 1
	s_mov_b32 s45, exec_lo
	v_cmpx_ne_u16_e32 0x80, v0
	s_cbranch_execz .LBB6_10923
; %bb.10918:                            ;   in Loop: Header=BB6_10440 Depth=3
	v_and_b32_e32 v14, 0x7f, v78
	v_mov_b32_e32 v16, 0x7f800001
	s_mov_b32 s74, exec_lo
	s_delay_alu instid0(VALU_DEP_2)
	v_cmpx_ne_u32_e32 0x7f, v14
	s_cbranch_execz .LBB6_10922
; %bb.10919:                            ;   in Loop: Header=BB6_10440 Depth=3
	v_dual_lshrrev_b32 v0, 3, v14 :: v_dual_bitop2_b32 v2, 7, v0 bitop3:0x40
	v_cmp_gt_u32_e32 vcc_lo, 8, v14
	s_delay_alu instid0(VALU_DEP_2)
	v_mov_b64_e32 v[14:15], v[2:3]
	s_and_saveexec_b32 s75, vcc_lo
; %bb.10920:                            ;   in Loop: Header=BB6_10440 Depth=3
	v_clz_i32_u32_e32 v0, v2
	s_delay_alu instid0(VALU_DEP_1) | instskip(NEXT) | instid1(VALU_DEP_1)
	v_min_u32_e32 v0, 32, v0
	v_subrev_nc_u32_e32 v14, 28, v0
	s_delay_alu instid0(VALU_DEP_1) | instskip(NEXT) | instid1(VALU_DEP_1)
	v_lshlrev_b64_e32 v[14:15], v14, v[2:3]
	v_dual_sub_nc_u32 v0, 29, v0 :: v_dual_bitop2_b32 v14, 7, v14 bitop3:0x40
; %bb.10921:                            ;   in Loop: Header=BB6_10440 Depth=3
	s_or_b32 exec_lo, exec_lo, s75
	v_lshlrev_b32_e32 v2, 24, v78
	s_delay_alu instid0(VALU_DEP_2) | instskip(NEXT) | instid1(VALU_DEP_3)
	v_lshlrev_b32_e32 v14, 20, v14
	v_lshl_add_u32 v0, v0, 23, 0x3c000000
	s_delay_alu instid0(VALU_DEP_3) | instskip(NEXT) | instid1(VALU_DEP_1)
	v_and_b32_e32 v2, 0x80000000, v2
	v_or3_b32 v16, v14, v2, v0
.LBB6_10922:                            ;   in Loop: Header=BB6_10440 Depth=3
	s_or_b32 exec_lo, exec_lo, s74
.LBB6_10923:                            ;   in Loop: Header=BB6_10440 Depth=3
	s_delay_alu instid0(SALU_CYCLE_1)
	s_or_b32 exec_lo, exec_lo, s45
.LBB6_10924:                            ;   in Loop: Header=BB6_10440 Depth=3
	s_delay_alu instid0(SALU_CYCLE_1) | instskip(NEXT) | instid1(VALU_DEP_1)
	s_or_b32 exec_lo, exec_lo, s13
	v_add_f32_e32 v0, v17, v16
                                        ; implicit-def: $vgpr78
	s_mov_b32 s13, exec_lo
	s_delay_alu instid0(VALU_DEP_1) | instskip(NEXT) | instid1(VALU_DEP_1)
	v_and_b32_e32 v2, 0x7f800000, v0
	v_cmpx_ne_u64_e32 0x7f800000, v[2:3]
	s_xor_b32 s45, exec_lo, s13
	s_cbranch_execz .LBB6_10942
; %bb.10925:                            ;   in Loop: Header=BB6_10440 Depth=3
	v_lshrrev_b32_e32 v14, 24, v0
	v_and_b32_e32 v2, 0x7fffffff, v0
                                        ; implicit-def: $vgpr78
	s_mov_b32 s13, exec_lo
	s_delay_alu instid0(VALU_DEP_2) | instskip(NEXT) | instid1(VALU_DEP_2)
	v_and_b32_e32 v66, 0x80, v14
	v_cmpx_gt_u64_e32 0x43e00001, v[2:3]
	s_xor_b32 s74, exec_lo, s13
	s_cbranch_execz .LBB6_10939
; %bb.10926:                            ;   in Loop: Header=BB6_10440 Depth=3
	v_mov_b32_e32 v78, 0
	s_mov_b32 s75, exec_lo
	v_cmpx_ne_u32_e32 0, v0
	s_cbranch_execz .LBB6_10938
; %bb.10927:                            ;   in Loop: Header=BB6_10440 Depth=3
	v_bfe_u32 v67, v0, 23, 8
	v_and_b32_e32 v2, 0x7fffff, v0
	s_delay_alu instid0(VALU_DEP_2) | instskip(SKIP_2) | instid1(VALU_DEP_4)
	v_cmp_gt_u32_e64 s13, 0x7a, v67
	v_sub_nc_u32_e32 v0, 0x79, v67
	v_cmp_eq_u32_e32 vcc_lo, 0, v67
	v_or_b32_e32 v14, 0x800000, v2
	s_delay_alu instid0(VALU_DEP_1) | instskip(NEXT) | instid1(VALU_DEP_1)
	v_dual_cndmask_b32 v0, 0, v0, s13 :: v_dual_cndmask_b32 v2, v14, v2, vcc_lo
	v_cndmask_b32_e64 v0, v0, 0x78, vcc_lo
	s_delay_alu instid0(VALU_DEP_1) | instskip(NEXT) | instid1(VALU_DEP_1)
	v_dual_add_nc_u32 v14, 20, v0 :: v_dual_add_nc_u32 v16, 19, v0
	v_lshlrev_b64_e64 v[14:15], v14, -1
	s_delay_alu instid0(VALU_DEP_2) | instskip(NEXT) | instid1(VALU_DEP_2)
	v_lshlrev_b64_e64 v[16:17], v16, 1
	v_bfi_b32 v15, v15, 0, 0
	s_delay_alu instid0(VALU_DEP_3) | instskip(NEXT) | instid1(VALU_DEP_1)
	v_bfi_b32 v14, v14, 0, v2
	v_cmp_eq_u64_e64 s13, v[14:15], v[16:17]
	v_lshrrev_b64 v[14:15], v0, v[2:3]
	s_delay_alu instid0(VALU_DEP_1)
	v_mov_b64_e32 v[16:17], v[14:15]
	s_and_saveexec_b32 s76, s13
; %bb.10928:                            ;   in Loop: Header=BB6_10440 Depth=3
	v_bfe_u32 v2, v14, 20, 1
	s_delay_alu instid0(VALU_DEP_1) | instskip(NEXT) | instid1(VALU_DEP_1)
	v_add_nc_u64_e32 v[16:17], v[14:15], v[2:3]
	v_add_nc_u64_e32 v[16:17], -1, v[16:17]
; %bb.10929:                            ;   in Loop: Header=BB6_10440 Depth=3
	s_or_b32 exec_lo, exec_lo, s76
	v_add_nc_u32_e32 v2, 0xffffff81, v67
	v_lshrrev_b32_e32 v15, 23, v14
	s_mov_b32 s13, exec_lo
	s_delay_alu instid0(VALU_DEP_2) | instskip(NEXT) | instid1(VALU_DEP_1)
	v_cndmask_b32_e64 v2, v2, 0xffffff82, vcc_lo
	v_add3_u32 v17, v0, v2, v15
	v_and_b32_e32 v0, 0xfffff, v16
	s_delay_alu instid0(VALU_DEP_1) | instskip(NEXT) | instid1(VALU_DEP_1)
	v_dual_add_nc_u32 v16, 6, v17 :: v_dual_add_nc_u32 v2, v0, v14
                                        ; implicit-def: $vgpr14_vgpr15
                                        ; implicit-def: $vgpr0
	v_cmpx_ne_u32_e32 0, v16
	s_xor_b32 s13, exec_lo, s13
; %bb.10930:                            ;   in Loop: Header=BB6_10440 Depth=3
	s_delay_alu instid0(VALU_DEP_2) | instskip(SKIP_2) | instid1(VALU_DEP_2)
	v_cmp_lt_u64_e32 vcc_lo, 0xffffff, v[2:3]
	v_add_nc_u32_e32 v0, 7, v17
	v_cndmask_b32_e64 v14, 0, 1, vcc_lo
	v_cndmask_b32_e32 v0, v16, v0, vcc_lo
	s_delay_alu instid0(VALU_DEP_2)
	v_lshrrev_b64 v[14:15], v14, v[2:3]
; %bb.10931:                            ;   in Loop: Header=BB6_10440 Depth=3
	s_and_not1_saveexec_b32 s13, s13
; %bb.10932:                            ;   in Loop: Header=BB6_10440 Depth=3
	v_mov_b64_e32 v[14:15], v[2:3]
	v_bfe_u32 v0, v2, 23, 1
; %bb.10933:                            ;   in Loop: Header=BB6_10440 Depth=3
	s_or_b32 exec_lo, exec_lo, s13
	s_delay_alu instid0(VALU_DEP_2) | instskip(NEXT) | instid1(VALU_DEP_2)
	v_lshrrev_b64 v[14:15], 20, v[14:15]
	v_cmp_gt_i32_e32 vcc_lo, 16, v0
	v_cmp_ne_u32_e64 s13, 0, v0
                                        ; implicit-def: $vgpr78
	s_delay_alu instid0(VALU_DEP_3) | instskip(NEXT) | instid1(VALU_DEP_1)
	v_dual_cndmask_b32 v15, 0, v15 :: v_dual_cndmask_b32 v14, 7, v14
	v_cmp_ne_u64_e32 vcc_lo, 0, v[14:15]
	s_or_b32 s13, s13, vcc_lo
	s_delay_alu instid0(SALU_CYCLE_1) | instskip(NEXT) | instid1(SALU_CYCLE_1)
	s_and_saveexec_b32 s76, s13
	s_xor_b32 s13, exec_lo, s76
; %bb.10934:                            ;   in Loop: Header=BB6_10440 Depth=3
	v_min_i32_e32 v0, 15, v0
	s_delay_alu instid0(VALU_DEP_1) | instskip(NEXT) | instid1(VALU_DEP_1)
	v_lshl_or_b32 v0, v0, 3, v66
                                        ; implicit-def: $vgpr66
	v_and_or_b32 v78, v14, 7, v0
; %bb.10935:                            ;   in Loop: Header=BB6_10440 Depth=3
	s_and_not1_saveexec_b32 s13, s13
; %bb.10936:                            ;   in Loop: Header=BB6_10440 Depth=3
	v_mov_b32_e32 v78, v66
; %bb.10937:                            ;   in Loop: Header=BB6_10440 Depth=3
	s_or_b32 exec_lo, exec_lo, s13
.LBB6_10938:                            ;   in Loop: Header=BB6_10440 Depth=3
	s_delay_alu instid0(SALU_CYCLE_1)
	s_or_b32 exec_lo, exec_lo, s75
                                        ; implicit-def: $vgpr66
.LBB6_10939:                            ;   in Loop: Header=BB6_10440 Depth=3
	s_and_not1_saveexec_b32 s13, s74
; %bb.10940:                            ;   in Loop: Header=BB6_10440 Depth=3
	v_or_b32_e32 v78, 0x7e, v66
; %bb.10941:                            ;   in Loop: Header=BB6_10440 Depth=3
	s_or_b32 exec_lo, exec_lo, s13
                                        ; implicit-def: $vgpr0
.LBB6_10942:                            ;   in Loop: Header=BB6_10440 Depth=3
	s_and_not1_saveexec_b32 s13, s45
; %bb.10943:                            ;   in Loop: Header=BB6_10440 Depth=3
	v_lshrrev_b32_e32 v0, 24, v0
	s_delay_alu instid0(VALU_DEP_1)
	v_or_b32_e32 v78, 0x7f, v0
; %bb.10944:                            ;   in Loop: Header=BB6_10440 Depth=3
	s_or_b32 exec_lo, exec_lo, s13
	v_and_b32_e32 v0, 0xff, v94
	v_dual_mov_b32 v16, 0 :: v_dual_mov_b32 v17, 0
	s_mov_b32 s13, exec_lo
	s_delay_alu instid0(VALU_DEP_2)
	v_cmpx_ne_u16_e32 0, v0
	s_cbranch_execz .LBB6_10952
; %bb.10945:                            ;   in Loop: Header=BB6_10440 Depth=3
	v_bfrev_b32_e32 v17, 1
	s_mov_b32 s45, exec_lo
	v_cmpx_ne_u16_e32 0x80, v0
	s_cbranch_execz .LBB6_10951
; %bb.10946:                            ;   in Loop: Header=BB6_10440 Depth=3
	v_and_b32_e32 v14, 0x7f, v94
	v_mov_b32_e32 v17, 0x7f800001
	s_mov_b32 s74, exec_lo
	s_delay_alu instid0(VALU_DEP_2)
	v_cmpx_ne_u32_e32 0x7f, v14
	s_cbranch_execz .LBB6_10950
; %bb.10947:                            ;   in Loop: Header=BB6_10440 Depth=3
	v_dual_lshrrev_b32 v0, 3, v14 :: v_dual_bitop2_b32 v2, 7, v0 bitop3:0x40
	v_cmp_gt_u32_e32 vcc_lo, 8, v14
	s_delay_alu instid0(VALU_DEP_2)
	v_mov_b64_e32 v[14:15], v[2:3]
	s_and_saveexec_b32 s75, vcc_lo
; %bb.10948:                            ;   in Loop: Header=BB6_10440 Depth=3
	v_clz_i32_u32_e32 v0, v2
	s_delay_alu instid0(VALU_DEP_1) | instskip(NEXT) | instid1(VALU_DEP_1)
	v_min_u32_e32 v0, 32, v0
	v_subrev_nc_u32_e32 v14, 28, v0
	s_delay_alu instid0(VALU_DEP_1) | instskip(NEXT) | instid1(VALU_DEP_1)
	v_lshlrev_b64_e32 v[14:15], v14, v[2:3]
	v_dual_sub_nc_u32 v0, 29, v0 :: v_dual_bitop2_b32 v14, 7, v14 bitop3:0x40
; %bb.10949:                            ;   in Loop: Header=BB6_10440 Depth=3
	s_or_b32 exec_lo, exec_lo, s75
	v_lshlrev_b32_e32 v2, 24, v94
	s_delay_alu instid0(VALU_DEP_2) | instskip(NEXT) | instid1(VALU_DEP_3)
	v_lshlrev_b32_e32 v14, 20, v14
	v_lshl_add_u32 v0, v0, 23, 0x3c000000
	s_delay_alu instid0(VALU_DEP_3) | instskip(NEXT) | instid1(VALU_DEP_1)
	v_and_b32_e32 v2, 0x80000000, v2
	v_or3_b32 v17, v14, v2, v0
.LBB6_10950:                            ;   in Loop: Header=BB6_10440 Depth=3
	s_or_b32 exec_lo, exec_lo, s74
.LBB6_10951:                            ;   in Loop: Header=BB6_10440 Depth=3
	s_delay_alu instid0(SALU_CYCLE_1)
	s_or_b32 exec_lo, exec_lo, s45
.LBB6_10952:                            ;   in Loop: Header=BB6_10440 Depth=3
	s_delay_alu instid0(SALU_CYCLE_1) | instskip(SKIP_3) | instid1(VALU_DEP_1)
	s_or_b32 exec_lo, exec_lo, s13
	s_wait_loadcnt_dscnt 0x1111
	v_and_b32_e32 v0, 0xff, v89
	s_mov_b32 s13, exec_lo
	v_cmpx_ne_u16_e32 0, v0
	s_cbranch_execz .LBB6_10960
; %bb.10953:                            ;   in Loop: Header=BB6_10440 Depth=3
	v_bfrev_b32_e32 v16, 1
	s_mov_b32 s45, exec_lo
	v_cmpx_ne_u16_e32 0x80, v0
	s_cbranch_execz .LBB6_10959
; %bb.10954:                            ;   in Loop: Header=BB6_10440 Depth=3
	v_and_b32_e32 v14, 0x7f, v89
	v_mov_b32_e32 v16, 0x7f800001
	s_mov_b32 s74, exec_lo
	s_delay_alu instid0(VALU_DEP_2)
	v_cmpx_ne_u32_e32 0x7f, v14
	s_cbranch_execz .LBB6_10958
; %bb.10955:                            ;   in Loop: Header=BB6_10440 Depth=3
	v_dual_lshrrev_b32 v0, 3, v14 :: v_dual_bitop2_b32 v2, 7, v0 bitop3:0x40
	v_cmp_gt_u32_e32 vcc_lo, 8, v14
	s_delay_alu instid0(VALU_DEP_2)
	v_mov_b64_e32 v[14:15], v[2:3]
	s_and_saveexec_b32 s75, vcc_lo
; %bb.10956:                            ;   in Loop: Header=BB6_10440 Depth=3
	v_clz_i32_u32_e32 v0, v2
	s_delay_alu instid0(VALU_DEP_1) | instskip(NEXT) | instid1(VALU_DEP_1)
	v_min_u32_e32 v0, 32, v0
	v_subrev_nc_u32_e32 v14, 28, v0
	s_delay_alu instid0(VALU_DEP_1) | instskip(NEXT) | instid1(VALU_DEP_1)
	v_lshlrev_b64_e32 v[14:15], v14, v[2:3]
	v_dual_sub_nc_u32 v0, 29, v0 :: v_dual_bitop2_b32 v14, 7, v14 bitop3:0x40
; %bb.10957:                            ;   in Loop: Header=BB6_10440 Depth=3
	s_or_b32 exec_lo, exec_lo, s75
	s_delay_alu instid0(VALU_DEP_1) | instskip(NEXT) | instid1(VALU_DEP_2)
	v_dual_lshlrev_b32 v2, 24, v89 :: v_dual_lshlrev_b32 v14, 20, v14
	v_lshl_add_u32 v0, v0, 23, 0x3c000000
	s_delay_alu instid0(VALU_DEP_2) | instskip(NEXT) | instid1(VALU_DEP_1)
	v_and_b32_e32 v2, 0x80000000, v2
	v_or3_b32 v16, v14, v2, v0
.LBB6_10958:                            ;   in Loop: Header=BB6_10440 Depth=3
	s_or_b32 exec_lo, exec_lo, s74
.LBB6_10959:                            ;   in Loop: Header=BB6_10440 Depth=3
	s_delay_alu instid0(SALU_CYCLE_1)
	s_or_b32 exec_lo, exec_lo, s45
.LBB6_10960:                            ;   in Loop: Header=BB6_10440 Depth=3
	s_delay_alu instid0(SALU_CYCLE_1) | instskip(NEXT) | instid1(VALU_DEP_1)
	s_or_b32 exec_lo, exec_lo, s13
	v_add_f32_e32 v0, v17, v16
                                        ; implicit-def: $vgpr89
	s_mov_b32 s13, exec_lo
	s_delay_alu instid0(VALU_DEP_1) | instskip(NEXT) | instid1(VALU_DEP_1)
	v_and_b32_e32 v2, 0x7f800000, v0
	v_cmpx_ne_u64_e32 0x7f800000, v[2:3]
	s_xor_b32 s45, exec_lo, s13
	s_cbranch_execz .LBB6_10978
; %bb.10961:                            ;   in Loop: Header=BB6_10440 Depth=3
	v_lshrrev_b32_e32 v14, 24, v0
	v_and_b32_e32 v2, 0x7fffffff, v0
                                        ; implicit-def: $vgpr89
	s_mov_b32 s13, exec_lo
	s_delay_alu instid0(VALU_DEP_2) | instskip(NEXT) | instid1(VALU_DEP_2)
	v_and_b32_e32 v66, 0x80, v14
	v_cmpx_gt_u64_e32 0x43e00001, v[2:3]
	s_xor_b32 s74, exec_lo, s13
	s_cbranch_execz .LBB6_10975
; %bb.10962:                            ;   in Loop: Header=BB6_10440 Depth=3
	v_mov_b32_e32 v89, 0
	s_mov_b32 s75, exec_lo
	v_cmpx_ne_u32_e32 0, v0
	s_cbranch_execz .LBB6_10974
; %bb.10963:                            ;   in Loop: Header=BB6_10440 Depth=3
	v_bfe_u32 v67, v0, 23, 8
	v_and_b32_e32 v2, 0x7fffff, v0
	s_delay_alu instid0(VALU_DEP_2) | instskip(SKIP_2) | instid1(VALU_DEP_4)
	v_cmp_gt_u32_e64 s13, 0x7a, v67
	v_sub_nc_u32_e32 v0, 0x79, v67
	v_cmp_eq_u32_e32 vcc_lo, 0, v67
	v_or_b32_e32 v14, 0x800000, v2
	s_delay_alu instid0(VALU_DEP_1) | instskip(NEXT) | instid1(VALU_DEP_1)
	v_dual_cndmask_b32 v0, 0, v0, s13 :: v_dual_cndmask_b32 v2, v14, v2, vcc_lo
	v_cndmask_b32_e64 v0, v0, 0x78, vcc_lo
	s_delay_alu instid0(VALU_DEP_1) | instskip(NEXT) | instid1(VALU_DEP_1)
	v_dual_add_nc_u32 v14, 20, v0 :: v_dual_add_nc_u32 v16, 19, v0
	v_lshlrev_b64_e64 v[14:15], v14, -1
	s_delay_alu instid0(VALU_DEP_2) | instskip(NEXT) | instid1(VALU_DEP_2)
	v_lshlrev_b64_e64 v[16:17], v16, 1
	v_bfi_b32 v15, v15, 0, 0
	s_delay_alu instid0(VALU_DEP_3) | instskip(NEXT) | instid1(VALU_DEP_1)
	v_bfi_b32 v14, v14, 0, v2
	v_cmp_eq_u64_e64 s13, v[14:15], v[16:17]
	v_lshrrev_b64 v[14:15], v0, v[2:3]
	s_delay_alu instid0(VALU_DEP_1)
	v_mov_b64_e32 v[16:17], v[14:15]
	s_and_saveexec_b32 s76, s13
; %bb.10964:                            ;   in Loop: Header=BB6_10440 Depth=3
	v_bfe_u32 v2, v14, 20, 1
	s_delay_alu instid0(VALU_DEP_1) | instskip(NEXT) | instid1(VALU_DEP_1)
	v_add_nc_u64_e32 v[16:17], v[14:15], v[2:3]
	v_add_nc_u64_e32 v[16:17], -1, v[16:17]
; %bb.10965:                            ;   in Loop: Header=BB6_10440 Depth=3
	s_or_b32 exec_lo, exec_lo, s76
	v_add_nc_u32_e32 v2, 0xffffff81, v67
	v_lshrrev_b32_e32 v15, 23, v14
	s_mov_b32 s13, exec_lo
	s_delay_alu instid0(VALU_DEP_2) | instskip(NEXT) | instid1(VALU_DEP_1)
	v_cndmask_b32_e64 v2, v2, 0xffffff82, vcc_lo
	v_add3_u32 v17, v0, v2, v15
	v_and_b32_e32 v0, 0xfffff, v16
	s_delay_alu instid0(VALU_DEP_1) | instskip(NEXT) | instid1(VALU_DEP_1)
	v_dual_add_nc_u32 v16, 6, v17 :: v_dual_add_nc_u32 v2, v0, v14
                                        ; implicit-def: $vgpr14_vgpr15
                                        ; implicit-def: $vgpr0
	v_cmpx_ne_u32_e32 0, v16
	s_xor_b32 s13, exec_lo, s13
; %bb.10966:                            ;   in Loop: Header=BB6_10440 Depth=3
	s_delay_alu instid0(VALU_DEP_2) | instskip(SKIP_2) | instid1(VALU_DEP_2)
	v_cmp_lt_u64_e32 vcc_lo, 0xffffff, v[2:3]
	v_add_nc_u32_e32 v0, 7, v17
	v_cndmask_b32_e64 v14, 0, 1, vcc_lo
	v_cndmask_b32_e32 v0, v16, v0, vcc_lo
	s_delay_alu instid0(VALU_DEP_2)
	v_lshrrev_b64 v[14:15], v14, v[2:3]
; %bb.10967:                            ;   in Loop: Header=BB6_10440 Depth=3
	s_and_not1_saveexec_b32 s13, s13
; %bb.10968:                            ;   in Loop: Header=BB6_10440 Depth=3
	v_mov_b64_e32 v[14:15], v[2:3]
	v_bfe_u32 v0, v2, 23, 1
; %bb.10969:                            ;   in Loop: Header=BB6_10440 Depth=3
	s_or_b32 exec_lo, exec_lo, s13
	s_delay_alu instid0(VALU_DEP_2) | instskip(NEXT) | instid1(VALU_DEP_2)
	v_lshrrev_b64 v[14:15], 20, v[14:15]
	v_cmp_gt_i32_e32 vcc_lo, 16, v0
	v_cmp_ne_u32_e64 s13, 0, v0
                                        ; implicit-def: $vgpr89
	s_delay_alu instid0(VALU_DEP_3) | instskip(NEXT) | instid1(VALU_DEP_1)
	v_dual_cndmask_b32 v15, 0, v15 :: v_dual_cndmask_b32 v14, 7, v14
	v_cmp_ne_u64_e32 vcc_lo, 0, v[14:15]
	s_or_b32 s13, s13, vcc_lo
	s_delay_alu instid0(SALU_CYCLE_1) | instskip(NEXT) | instid1(SALU_CYCLE_1)
	s_and_saveexec_b32 s76, s13
	s_xor_b32 s13, exec_lo, s76
; %bb.10970:                            ;   in Loop: Header=BB6_10440 Depth=3
	v_min_i32_e32 v0, 15, v0
	s_delay_alu instid0(VALU_DEP_1) | instskip(NEXT) | instid1(VALU_DEP_1)
	v_lshl_or_b32 v0, v0, 3, v66
                                        ; implicit-def: $vgpr66
	v_and_or_b32 v89, v14, 7, v0
; %bb.10971:                            ;   in Loop: Header=BB6_10440 Depth=3
	s_and_not1_saveexec_b32 s13, s13
; %bb.10972:                            ;   in Loop: Header=BB6_10440 Depth=3
	v_mov_b32_e32 v89, v66
; %bb.10973:                            ;   in Loop: Header=BB6_10440 Depth=3
	s_or_b32 exec_lo, exec_lo, s13
.LBB6_10974:                            ;   in Loop: Header=BB6_10440 Depth=3
	s_delay_alu instid0(SALU_CYCLE_1)
	s_or_b32 exec_lo, exec_lo, s75
                                        ; implicit-def: $vgpr66
.LBB6_10975:                            ;   in Loop: Header=BB6_10440 Depth=3
	s_and_not1_saveexec_b32 s13, s74
; %bb.10976:                            ;   in Loop: Header=BB6_10440 Depth=3
	v_or_b32_e32 v89, 0x7e, v66
; %bb.10977:                            ;   in Loop: Header=BB6_10440 Depth=3
	s_or_b32 exec_lo, exec_lo, s13
                                        ; implicit-def: $vgpr0
.LBB6_10978:                            ;   in Loop: Header=BB6_10440 Depth=3
	s_and_not1_saveexec_b32 s13, s45
; %bb.10979:                            ;   in Loop: Header=BB6_10440 Depth=3
	v_lshrrev_b32_e32 v0, 24, v0
	s_delay_alu instid0(VALU_DEP_1)
	v_or_b32_e32 v89, 0x7f, v0
; %bb.10980:                            ;   in Loop: Header=BB6_10440 Depth=3
	s_or_b32 exec_lo, exec_lo, s13
	v_and_b32_e32 v0, 0xff, v93
	v_dual_mov_b32 v16, 0 :: v_dual_mov_b32 v17, 0
	s_mov_b32 s13, exec_lo
	s_delay_alu instid0(VALU_DEP_2)
	v_cmpx_ne_u16_e32 0, v0
	s_cbranch_execz .LBB6_10988
; %bb.10981:                            ;   in Loop: Header=BB6_10440 Depth=3
	v_bfrev_b32_e32 v17, 1
	s_mov_b32 s45, exec_lo
	v_cmpx_ne_u16_e32 0x80, v0
	s_cbranch_execz .LBB6_10987
; %bb.10982:                            ;   in Loop: Header=BB6_10440 Depth=3
	v_and_b32_e32 v14, 0x7f, v93
	v_mov_b32_e32 v17, 0x7f800001
	s_mov_b32 s74, exec_lo
	s_delay_alu instid0(VALU_DEP_2)
	v_cmpx_ne_u32_e32 0x7f, v14
	s_cbranch_execz .LBB6_10986
; %bb.10983:                            ;   in Loop: Header=BB6_10440 Depth=3
	v_dual_lshrrev_b32 v0, 3, v14 :: v_dual_bitop2_b32 v2, 7, v0 bitop3:0x40
	v_cmp_gt_u32_e32 vcc_lo, 8, v14
	s_delay_alu instid0(VALU_DEP_2)
	v_mov_b64_e32 v[14:15], v[2:3]
	s_and_saveexec_b32 s75, vcc_lo
; %bb.10984:                            ;   in Loop: Header=BB6_10440 Depth=3
	v_clz_i32_u32_e32 v0, v2
	s_delay_alu instid0(VALU_DEP_1) | instskip(NEXT) | instid1(VALU_DEP_1)
	v_min_u32_e32 v0, 32, v0
	v_subrev_nc_u32_e32 v14, 28, v0
	s_delay_alu instid0(VALU_DEP_1) | instskip(NEXT) | instid1(VALU_DEP_1)
	v_lshlrev_b64_e32 v[14:15], v14, v[2:3]
	v_dual_sub_nc_u32 v0, 29, v0 :: v_dual_bitop2_b32 v14, 7, v14 bitop3:0x40
; %bb.10985:                            ;   in Loop: Header=BB6_10440 Depth=3
	s_or_b32 exec_lo, exec_lo, s75
	s_delay_alu instid0(VALU_DEP_1) | instskip(NEXT) | instid1(VALU_DEP_2)
	v_dual_lshlrev_b32 v2, 24, v93 :: v_dual_lshlrev_b32 v14, 20, v14
	v_lshl_add_u32 v0, v0, 23, 0x3c000000
	s_delay_alu instid0(VALU_DEP_2) | instskip(NEXT) | instid1(VALU_DEP_1)
	v_and_b32_e32 v2, 0x80000000, v2
	v_or3_b32 v17, v14, v2, v0
.LBB6_10986:                            ;   in Loop: Header=BB6_10440 Depth=3
	s_or_b32 exec_lo, exec_lo, s74
.LBB6_10987:                            ;   in Loop: Header=BB6_10440 Depth=3
	s_delay_alu instid0(SALU_CYCLE_1)
	s_or_b32 exec_lo, exec_lo, s45
.LBB6_10988:                            ;   in Loop: Header=BB6_10440 Depth=3
	s_delay_alu instid0(SALU_CYCLE_1) | instskip(SKIP_3) | instid1(VALU_DEP_1)
	s_or_b32 exec_lo, exec_lo, s13
	s_wait_loadcnt_dscnt 0x1010
	v_and_b32_e32 v0, 0xff, v92
	s_mov_b32 s13, exec_lo
	v_cmpx_ne_u16_e32 0, v0
	s_cbranch_execz .LBB6_10996
; %bb.10989:                            ;   in Loop: Header=BB6_10440 Depth=3
	v_bfrev_b32_e32 v16, 1
	s_mov_b32 s45, exec_lo
	v_cmpx_ne_u16_e32 0x80, v0
	s_cbranch_execz .LBB6_10995
; %bb.10990:                            ;   in Loop: Header=BB6_10440 Depth=3
	v_and_b32_e32 v14, 0x7f, v92
	v_mov_b32_e32 v16, 0x7f800001
	s_mov_b32 s74, exec_lo
	s_delay_alu instid0(VALU_DEP_2)
	v_cmpx_ne_u32_e32 0x7f, v14
	s_cbranch_execz .LBB6_10994
; %bb.10991:                            ;   in Loop: Header=BB6_10440 Depth=3
	v_dual_lshrrev_b32 v0, 3, v14 :: v_dual_bitop2_b32 v2, 7, v0 bitop3:0x40
	v_cmp_gt_u32_e32 vcc_lo, 8, v14
	s_delay_alu instid0(VALU_DEP_2)
	v_mov_b64_e32 v[14:15], v[2:3]
	s_and_saveexec_b32 s75, vcc_lo
; %bb.10992:                            ;   in Loop: Header=BB6_10440 Depth=3
	v_clz_i32_u32_e32 v0, v2
	s_delay_alu instid0(VALU_DEP_1) | instskip(NEXT) | instid1(VALU_DEP_1)
	v_min_u32_e32 v0, 32, v0
	v_subrev_nc_u32_e32 v14, 28, v0
	s_delay_alu instid0(VALU_DEP_1) | instskip(NEXT) | instid1(VALU_DEP_1)
	v_lshlrev_b64_e32 v[14:15], v14, v[2:3]
	v_dual_sub_nc_u32 v0, 29, v0 :: v_dual_bitop2_b32 v14, 7, v14 bitop3:0x40
; %bb.10993:                            ;   in Loop: Header=BB6_10440 Depth=3
	s_or_b32 exec_lo, exec_lo, s75
	s_delay_alu instid0(VALU_DEP_1) | instskip(NEXT) | instid1(VALU_DEP_2)
	v_dual_lshlrev_b32 v2, 24, v92 :: v_dual_lshlrev_b32 v14, 20, v14
	v_lshl_add_u32 v0, v0, 23, 0x3c000000
	s_delay_alu instid0(VALU_DEP_2) | instskip(NEXT) | instid1(VALU_DEP_1)
	v_and_b32_e32 v2, 0x80000000, v2
	v_or3_b32 v16, v14, v2, v0
.LBB6_10994:                            ;   in Loop: Header=BB6_10440 Depth=3
	s_or_b32 exec_lo, exec_lo, s74
.LBB6_10995:                            ;   in Loop: Header=BB6_10440 Depth=3
	s_delay_alu instid0(SALU_CYCLE_1)
	s_or_b32 exec_lo, exec_lo, s45
.LBB6_10996:                            ;   in Loop: Header=BB6_10440 Depth=3
	s_delay_alu instid0(SALU_CYCLE_1) | instskip(NEXT) | instid1(VALU_DEP_1)
	s_or_b32 exec_lo, exec_lo, s13
	v_add_f32_e32 v0, v17, v16
                                        ; implicit-def: $vgpr92
	s_mov_b32 s13, exec_lo
	s_delay_alu instid0(VALU_DEP_1) | instskip(NEXT) | instid1(VALU_DEP_1)
	v_and_b32_e32 v2, 0x7f800000, v0
	v_cmpx_ne_u64_e32 0x7f800000, v[2:3]
	s_xor_b32 s45, exec_lo, s13
	s_cbranch_execz .LBB6_11014
; %bb.10997:                            ;   in Loop: Header=BB6_10440 Depth=3
	v_lshrrev_b32_e32 v14, 24, v0
	v_and_b32_e32 v2, 0x7fffffff, v0
                                        ; implicit-def: $vgpr92
	s_mov_b32 s13, exec_lo
	s_delay_alu instid0(VALU_DEP_2) | instskip(NEXT) | instid1(VALU_DEP_2)
	v_and_b32_e32 v66, 0x80, v14
	v_cmpx_gt_u64_e32 0x43e00001, v[2:3]
	s_xor_b32 s74, exec_lo, s13
	s_cbranch_execz .LBB6_11011
; %bb.10998:                            ;   in Loop: Header=BB6_10440 Depth=3
	v_mov_b32_e32 v92, 0
	s_mov_b32 s75, exec_lo
	v_cmpx_ne_u32_e32 0, v0
	s_cbranch_execz .LBB6_11010
; %bb.10999:                            ;   in Loop: Header=BB6_10440 Depth=3
	v_bfe_u32 v67, v0, 23, 8
	v_and_b32_e32 v2, 0x7fffff, v0
	s_delay_alu instid0(VALU_DEP_2) | instskip(SKIP_2) | instid1(VALU_DEP_4)
	v_cmp_gt_u32_e64 s13, 0x7a, v67
	v_sub_nc_u32_e32 v0, 0x79, v67
	v_cmp_eq_u32_e32 vcc_lo, 0, v67
	v_or_b32_e32 v14, 0x800000, v2
	s_delay_alu instid0(VALU_DEP_1) | instskip(NEXT) | instid1(VALU_DEP_1)
	v_dual_cndmask_b32 v0, 0, v0, s13 :: v_dual_cndmask_b32 v2, v14, v2, vcc_lo
	v_cndmask_b32_e64 v0, v0, 0x78, vcc_lo
	s_delay_alu instid0(VALU_DEP_1) | instskip(NEXT) | instid1(VALU_DEP_1)
	v_dual_add_nc_u32 v14, 20, v0 :: v_dual_add_nc_u32 v16, 19, v0
	v_lshlrev_b64_e64 v[14:15], v14, -1
	s_delay_alu instid0(VALU_DEP_2) | instskip(NEXT) | instid1(VALU_DEP_2)
	v_lshlrev_b64_e64 v[16:17], v16, 1
	v_bfi_b32 v15, v15, 0, 0
	s_delay_alu instid0(VALU_DEP_3) | instskip(NEXT) | instid1(VALU_DEP_1)
	v_bfi_b32 v14, v14, 0, v2
	v_cmp_eq_u64_e64 s13, v[14:15], v[16:17]
	v_lshrrev_b64 v[14:15], v0, v[2:3]
	s_delay_alu instid0(VALU_DEP_1)
	v_mov_b64_e32 v[16:17], v[14:15]
	s_and_saveexec_b32 s76, s13
; %bb.11000:                            ;   in Loop: Header=BB6_10440 Depth=3
	v_bfe_u32 v2, v14, 20, 1
	s_delay_alu instid0(VALU_DEP_1) | instskip(NEXT) | instid1(VALU_DEP_1)
	v_add_nc_u64_e32 v[16:17], v[14:15], v[2:3]
	v_add_nc_u64_e32 v[16:17], -1, v[16:17]
; %bb.11001:                            ;   in Loop: Header=BB6_10440 Depth=3
	s_or_b32 exec_lo, exec_lo, s76
	v_add_nc_u32_e32 v2, 0xffffff81, v67
	v_lshrrev_b32_e32 v15, 23, v14
	s_mov_b32 s13, exec_lo
	s_delay_alu instid0(VALU_DEP_2) | instskip(NEXT) | instid1(VALU_DEP_1)
	v_cndmask_b32_e64 v2, v2, 0xffffff82, vcc_lo
	v_add3_u32 v17, v0, v2, v15
	v_and_b32_e32 v0, 0xfffff, v16
	s_delay_alu instid0(VALU_DEP_1) | instskip(NEXT) | instid1(VALU_DEP_1)
	v_dual_add_nc_u32 v16, 6, v17 :: v_dual_add_nc_u32 v2, v0, v14
                                        ; implicit-def: $vgpr14_vgpr15
                                        ; implicit-def: $vgpr0
	v_cmpx_ne_u32_e32 0, v16
	s_xor_b32 s13, exec_lo, s13
; %bb.11002:                            ;   in Loop: Header=BB6_10440 Depth=3
	s_delay_alu instid0(VALU_DEP_2) | instskip(SKIP_2) | instid1(VALU_DEP_2)
	v_cmp_lt_u64_e32 vcc_lo, 0xffffff, v[2:3]
	v_add_nc_u32_e32 v0, 7, v17
	v_cndmask_b32_e64 v14, 0, 1, vcc_lo
	v_cndmask_b32_e32 v0, v16, v0, vcc_lo
	s_delay_alu instid0(VALU_DEP_2)
	v_lshrrev_b64 v[14:15], v14, v[2:3]
; %bb.11003:                            ;   in Loop: Header=BB6_10440 Depth=3
	s_and_not1_saveexec_b32 s13, s13
; %bb.11004:                            ;   in Loop: Header=BB6_10440 Depth=3
	v_mov_b64_e32 v[14:15], v[2:3]
	v_bfe_u32 v0, v2, 23, 1
; %bb.11005:                            ;   in Loop: Header=BB6_10440 Depth=3
	s_or_b32 exec_lo, exec_lo, s13
	s_delay_alu instid0(VALU_DEP_2) | instskip(NEXT) | instid1(VALU_DEP_2)
	v_lshrrev_b64 v[14:15], 20, v[14:15]
	v_cmp_gt_i32_e32 vcc_lo, 16, v0
	v_cmp_ne_u32_e64 s13, 0, v0
                                        ; implicit-def: $vgpr92
	s_delay_alu instid0(VALU_DEP_3) | instskip(NEXT) | instid1(VALU_DEP_1)
	v_dual_cndmask_b32 v15, 0, v15 :: v_dual_cndmask_b32 v14, 7, v14
	v_cmp_ne_u64_e32 vcc_lo, 0, v[14:15]
	s_or_b32 s13, s13, vcc_lo
	s_delay_alu instid0(SALU_CYCLE_1) | instskip(NEXT) | instid1(SALU_CYCLE_1)
	s_and_saveexec_b32 s76, s13
	s_xor_b32 s13, exec_lo, s76
; %bb.11006:                            ;   in Loop: Header=BB6_10440 Depth=3
	v_min_i32_e32 v0, 15, v0
	s_delay_alu instid0(VALU_DEP_1) | instskip(NEXT) | instid1(VALU_DEP_1)
	v_lshl_or_b32 v0, v0, 3, v66
                                        ; implicit-def: $vgpr66
	v_and_or_b32 v92, v14, 7, v0
; %bb.11007:                            ;   in Loop: Header=BB6_10440 Depth=3
	s_and_not1_saveexec_b32 s13, s13
; %bb.11008:                            ;   in Loop: Header=BB6_10440 Depth=3
	v_mov_b32_e32 v92, v66
; %bb.11009:                            ;   in Loop: Header=BB6_10440 Depth=3
	s_or_b32 exec_lo, exec_lo, s13
.LBB6_11010:                            ;   in Loop: Header=BB6_10440 Depth=3
	s_delay_alu instid0(SALU_CYCLE_1)
	s_or_b32 exec_lo, exec_lo, s75
                                        ; implicit-def: $vgpr66
.LBB6_11011:                            ;   in Loop: Header=BB6_10440 Depth=3
	s_and_not1_saveexec_b32 s13, s74
; %bb.11012:                            ;   in Loop: Header=BB6_10440 Depth=3
	v_or_b32_e32 v92, 0x7e, v66
; %bb.11013:                            ;   in Loop: Header=BB6_10440 Depth=3
	s_or_b32 exec_lo, exec_lo, s13
                                        ; implicit-def: $vgpr0
.LBB6_11014:                            ;   in Loop: Header=BB6_10440 Depth=3
	s_and_not1_saveexec_b32 s13, s45
; %bb.11015:                            ;   in Loop: Header=BB6_10440 Depth=3
	v_lshrrev_b32_e32 v0, 24, v0
	s_delay_alu instid0(VALU_DEP_1)
	v_or_b32_e32 v92, 0x7f, v0
; %bb.11016:                            ;   in Loop: Header=BB6_10440 Depth=3
	s_or_b32 exec_lo, exec_lo, s13
	v_and_b32_e32 v0, 0xff, v91
	v_dual_mov_b32 v16, 0 :: v_dual_mov_b32 v17, 0
	s_mov_b32 s13, exec_lo
	s_delay_alu instid0(VALU_DEP_2)
	v_cmpx_ne_u16_e32 0, v0
	s_cbranch_execz .LBB6_11024
; %bb.11017:                            ;   in Loop: Header=BB6_10440 Depth=3
	v_bfrev_b32_e32 v17, 1
	s_mov_b32 s45, exec_lo
	v_cmpx_ne_u16_e32 0x80, v0
	s_cbranch_execz .LBB6_11023
; %bb.11018:                            ;   in Loop: Header=BB6_10440 Depth=3
	v_and_b32_e32 v14, 0x7f, v91
	v_mov_b32_e32 v17, 0x7f800001
	s_mov_b32 s74, exec_lo
	s_delay_alu instid0(VALU_DEP_2)
	v_cmpx_ne_u32_e32 0x7f, v14
	s_cbranch_execz .LBB6_11022
; %bb.11019:                            ;   in Loop: Header=BB6_10440 Depth=3
	v_dual_lshrrev_b32 v0, 3, v14 :: v_dual_bitop2_b32 v2, 7, v0 bitop3:0x40
	v_cmp_gt_u32_e32 vcc_lo, 8, v14
	s_delay_alu instid0(VALU_DEP_2)
	v_mov_b64_e32 v[14:15], v[2:3]
	s_and_saveexec_b32 s75, vcc_lo
; %bb.11020:                            ;   in Loop: Header=BB6_10440 Depth=3
	v_clz_i32_u32_e32 v0, v2
	s_delay_alu instid0(VALU_DEP_1) | instskip(NEXT) | instid1(VALU_DEP_1)
	v_min_u32_e32 v0, 32, v0
	v_subrev_nc_u32_e32 v14, 28, v0
	s_delay_alu instid0(VALU_DEP_1) | instskip(NEXT) | instid1(VALU_DEP_1)
	v_lshlrev_b64_e32 v[14:15], v14, v[2:3]
	v_dual_sub_nc_u32 v0, 29, v0 :: v_dual_bitop2_b32 v14, 7, v14 bitop3:0x40
; %bb.11021:                            ;   in Loop: Header=BB6_10440 Depth=3
	s_or_b32 exec_lo, exec_lo, s75
	s_delay_alu instid0(VALU_DEP_1) | instskip(NEXT) | instid1(VALU_DEP_2)
	v_dual_lshlrev_b32 v2, 24, v91 :: v_dual_lshlrev_b32 v14, 20, v14
	v_lshl_add_u32 v0, v0, 23, 0x3c000000
	s_delay_alu instid0(VALU_DEP_2) | instskip(NEXT) | instid1(VALU_DEP_1)
	v_and_b32_e32 v2, 0x80000000, v2
	v_or3_b32 v17, v14, v2, v0
.LBB6_11022:                            ;   in Loop: Header=BB6_10440 Depth=3
	s_or_b32 exec_lo, exec_lo, s74
.LBB6_11023:                            ;   in Loop: Header=BB6_10440 Depth=3
	s_delay_alu instid0(SALU_CYCLE_1)
	s_or_b32 exec_lo, exec_lo, s45
.LBB6_11024:                            ;   in Loop: Header=BB6_10440 Depth=3
	s_delay_alu instid0(SALU_CYCLE_1) | instskip(SKIP_3) | instid1(VALU_DEP_1)
	s_or_b32 exec_lo, exec_lo, s13
	s_wait_loadcnt_dscnt 0xf0f
	v_and_b32_e32 v0, 0xff, v90
	s_mov_b32 s13, exec_lo
	v_cmpx_ne_u16_e32 0, v0
	s_cbranch_execz .LBB6_11032
; %bb.11025:                            ;   in Loop: Header=BB6_10440 Depth=3
	v_bfrev_b32_e32 v16, 1
	s_mov_b32 s45, exec_lo
	v_cmpx_ne_u16_e32 0x80, v0
	s_cbranch_execz .LBB6_11031
; %bb.11026:                            ;   in Loop: Header=BB6_10440 Depth=3
	v_and_b32_e32 v14, 0x7f, v90
	v_mov_b32_e32 v16, 0x7f800001
	s_mov_b32 s74, exec_lo
	s_delay_alu instid0(VALU_DEP_2)
	v_cmpx_ne_u32_e32 0x7f, v14
	s_cbranch_execz .LBB6_11030
; %bb.11027:                            ;   in Loop: Header=BB6_10440 Depth=3
	v_dual_lshrrev_b32 v0, 3, v14 :: v_dual_bitop2_b32 v2, 7, v0 bitop3:0x40
	v_cmp_gt_u32_e32 vcc_lo, 8, v14
	s_delay_alu instid0(VALU_DEP_2)
	v_mov_b64_e32 v[14:15], v[2:3]
	s_and_saveexec_b32 s75, vcc_lo
; %bb.11028:                            ;   in Loop: Header=BB6_10440 Depth=3
	v_clz_i32_u32_e32 v0, v2
	s_delay_alu instid0(VALU_DEP_1) | instskip(NEXT) | instid1(VALU_DEP_1)
	v_min_u32_e32 v0, 32, v0
	v_subrev_nc_u32_e32 v14, 28, v0
	s_delay_alu instid0(VALU_DEP_1) | instskip(NEXT) | instid1(VALU_DEP_1)
	v_lshlrev_b64_e32 v[14:15], v14, v[2:3]
	v_dual_sub_nc_u32 v0, 29, v0 :: v_dual_bitop2_b32 v14, 7, v14 bitop3:0x40
; %bb.11029:                            ;   in Loop: Header=BB6_10440 Depth=3
	s_or_b32 exec_lo, exec_lo, s75
	v_lshlrev_b32_e32 v2, 24, v90
	s_delay_alu instid0(VALU_DEP_2) | instskip(NEXT) | instid1(VALU_DEP_3)
	v_lshlrev_b32_e32 v14, 20, v14
	v_lshl_add_u32 v0, v0, 23, 0x3c000000
	s_delay_alu instid0(VALU_DEP_3) | instskip(NEXT) | instid1(VALU_DEP_1)
	v_and_b32_e32 v2, 0x80000000, v2
	v_or3_b32 v16, v14, v2, v0
.LBB6_11030:                            ;   in Loop: Header=BB6_10440 Depth=3
	s_or_b32 exec_lo, exec_lo, s74
.LBB6_11031:                            ;   in Loop: Header=BB6_10440 Depth=3
	s_delay_alu instid0(SALU_CYCLE_1)
	s_or_b32 exec_lo, exec_lo, s45
.LBB6_11032:                            ;   in Loop: Header=BB6_10440 Depth=3
	s_delay_alu instid0(SALU_CYCLE_1) | instskip(NEXT) | instid1(VALU_DEP_1)
	s_or_b32 exec_lo, exec_lo, s13
	v_add_f32_e32 v0, v17, v16
                                        ; implicit-def: $vgpr90
	s_mov_b32 s13, exec_lo
	s_delay_alu instid0(VALU_DEP_1) | instskip(NEXT) | instid1(VALU_DEP_1)
	v_and_b32_e32 v2, 0x7f800000, v0
	v_cmpx_ne_u64_e32 0x7f800000, v[2:3]
	s_xor_b32 s45, exec_lo, s13
	s_cbranch_execz .LBB6_11050
; %bb.11033:                            ;   in Loop: Header=BB6_10440 Depth=3
	v_lshrrev_b32_e32 v14, 24, v0
	v_and_b32_e32 v2, 0x7fffffff, v0
                                        ; implicit-def: $vgpr90
	s_mov_b32 s13, exec_lo
	s_delay_alu instid0(VALU_DEP_2) | instskip(NEXT) | instid1(VALU_DEP_2)
	v_and_b32_e32 v66, 0x80, v14
	v_cmpx_gt_u64_e32 0x43e00001, v[2:3]
	s_xor_b32 s74, exec_lo, s13
	s_cbranch_execz .LBB6_11047
; %bb.11034:                            ;   in Loop: Header=BB6_10440 Depth=3
	v_mov_b32_e32 v90, 0
	s_mov_b32 s75, exec_lo
	v_cmpx_ne_u32_e32 0, v0
	s_cbranch_execz .LBB6_11046
; %bb.11035:                            ;   in Loop: Header=BB6_10440 Depth=3
	v_bfe_u32 v67, v0, 23, 8
	v_and_b32_e32 v2, 0x7fffff, v0
	s_delay_alu instid0(VALU_DEP_2) | instskip(SKIP_2) | instid1(VALU_DEP_4)
	v_cmp_gt_u32_e64 s13, 0x7a, v67
	v_sub_nc_u32_e32 v0, 0x79, v67
	v_cmp_eq_u32_e32 vcc_lo, 0, v67
	v_or_b32_e32 v14, 0x800000, v2
	s_delay_alu instid0(VALU_DEP_1) | instskip(NEXT) | instid1(VALU_DEP_1)
	v_dual_cndmask_b32 v0, 0, v0, s13 :: v_dual_cndmask_b32 v2, v14, v2, vcc_lo
	v_cndmask_b32_e64 v0, v0, 0x78, vcc_lo
	s_delay_alu instid0(VALU_DEP_1) | instskip(NEXT) | instid1(VALU_DEP_1)
	v_dual_add_nc_u32 v14, 20, v0 :: v_dual_add_nc_u32 v16, 19, v0
	v_lshlrev_b64_e64 v[14:15], v14, -1
	s_delay_alu instid0(VALU_DEP_2) | instskip(NEXT) | instid1(VALU_DEP_2)
	v_lshlrev_b64_e64 v[16:17], v16, 1
	v_bfi_b32 v15, v15, 0, 0
	s_delay_alu instid0(VALU_DEP_3) | instskip(NEXT) | instid1(VALU_DEP_1)
	v_bfi_b32 v14, v14, 0, v2
	v_cmp_eq_u64_e64 s13, v[14:15], v[16:17]
	v_lshrrev_b64 v[14:15], v0, v[2:3]
	s_delay_alu instid0(VALU_DEP_1)
	v_mov_b64_e32 v[16:17], v[14:15]
	s_and_saveexec_b32 s76, s13
; %bb.11036:                            ;   in Loop: Header=BB6_10440 Depth=3
	v_bfe_u32 v2, v14, 20, 1
	s_delay_alu instid0(VALU_DEP_1) | instskip(NEXT) | instid1(VALU_DEP_1)
	v_add_nc_u64_e32 v[16:17], v[14:15], v[2:3]
	v_add_nc_u64_e32 v[16:17], -1, v[16:17]
; %bb.11037:                            ;   in Loop: Header=BB6_10440 Depth=3
	s_or_b32 exec_lo, exec_lo, s76
	v_add_nc_u32_e32 v2, 0xffffff81, v67
	v_lshrrev_b32_e32 v15, 23, v14
	s_mov_b32 s13, exec_lo
	s_delay_alu instid0(VALU_DEP_2) | instskip(NEXT) | instid1(VALU_DEP_1)
	v_cndmask_b32_e64 v2, v2, 0xffffff82, vcc_lo
	v_add3_u32 v17, v0, v2, v15
	v_and_b32_e32 v0, 0xfffff, v16
	s_delay_alu instid0(VALU_DEP_1) | instskip(NEXT) | instid1(VALU_DEP_1)
	v_dual_add_nc_u32 v16, 6, v17 :: v_dual_add_nc_u32 v2, v0, v14
                                        ; implicit-def: $vgpr14_vgpr15
                                        ; implicit-def: $vgpr0
	v_cmpx_ne_u32_e32 0, v16
	s_xor_b32 s13, exec_lo, s13
; %bb.11038:                            ;   in Loop: Header=BB6_10440 Depth=3
	s_delay_alu instid0(VALU_DEP_2) | instskip(SKIP_2) | instid1(VALU_DEP_2)
	v_cmp_lt_u64_e32 vcc_lo, 0xffffff, v[2:3]
	v_add_nc_u32_e32 v0, 7, v17
	v_cndmask_b32_e64 v14, 0, 1, vcc_lo
	v_cndmask_b32_e32 v0, v16, v0, vcc_lo
	s_delay_alu instid0(VALU_DEP_2)
	v_lshrrev_b64 v[14:15], v14, v[2:3]
; %bb.11039:                            ;   in Loop: Header=BB6_10440 Depth=3
	s_and_not1_saveexec_b32 s13, s13
; %bb.11040:                            ;   in Loop: Header=BB6_10440 Depth=3
	v_mov_b64_e32 v[14:15], v[2:3]
	v_bfe_u32 v0, v2, 23, 1
; %bb.11041:                            ;   in Loop: Header=BB6_10440 Depth=3
	s_or_b32 exec_lo, exec_lo, s13
	s_delay_alu instid0(VALU_DEP_2) | instskip(NEXT) | instid1(VALU_DEP_2)
	v_lshrrev_b64 v[14:15], 20, v[14:15]
	v_cmp_gt_i32_e32 vcc_lo, 16, v0
	v_cmp_ne_u32_e64 s13, 0, v0
                                        ; implicit-def: $vgpr90
	s_delay_alu instid0(VALU_DEP_3) | instskip(NEXT) | instid1(VALU_DEP_1)
	v_dual_cndmask_b32 v15, 0, v15 :: v_dual_cndmask_b32 v14, 7, v14
	v_cmp_ne_u64_e32 vcc_lo, 0, v[14:15]
	s_or_b32 s13, s13, vcc_lo
	s_delay_alu instid0(SALU_CYCLE_1) | instskip(NEXT) | instid1(SALU_CYCLE_1)
	s_and_saveexec_b32 s76, s13
	s_xor_b32 s13, exec_lo, s76
; %bb.11042:                            ;   in Loop: Header=BB6_10440 Depth=3
	v_min_i32_e32 v0, 15, v0
	s_delay_alu instid0(VALU_DEP_1) | instskip(NEXT) | instid1(VALU_DEP_1)
	v_lshl_or_b32 v0, v0, 3, v66
                                        ; implicit-def: $vgpr66
	v_and_or_b32 v90, v14, 7, v0
; %bb.11043:                            ;   in Loop: Header=BB6_10440 Depth=3
	s_and_not1_saveexec_b32 s13, s13
; %bb.11044:                            ;   in Loop: Header=BB6_10440 Depth=3
	v_mov_b32_e32 v90, v66
; %bb.11045:                            ;   in Loop: Header=BB6_10440 Depth=3
	s_or_b32 exec_lo, exec_lo, s13
.LBB6_11046:                            ;   in Loop: Header=BB6_10440 Depth=3
	s_delay_alu instid0(SALU_CYCLE_1)
	s_or_b32 exec_lo, exec_lo, s75
                                        ; implicit-def: $vgpr66
.LBB6_11047:                            ;   in Loop: Header=BB6_10440 Depth=3
	s_and_not1_saveexec_b32 s13, s74
; %bb.11048:                            ;   in Loop: Header=BB6_10440 Depth=3
	v_or_b32_e32 v90, 0x7e, v66
; %bb.11049:                            ;   in Loop: Header=BB6_10440 Depth=3
	s_or_b32 exec_lo, exec_lo, s13
                                        ; implicit-def: $vgpr0
.LBB6_11050:                            ;   in Loop: Header=BB6_10440 Depth=3
	s_and_not1_saveexec_b32 s13, s45
; %bb.11051:                            ;   in Loop: Header=BB6_10440 Depth=3
	v_lshrrev_b32_e32 v0, 24, v0
	s_delay_alu instid0(VALU_DEP_1)
	v_or_b32_e32 v90, 0x7f, v0
; %bb.11052:                            ;   in Loop: Header=BB6_10440 Depth=3
	s_or_b32 exec_lo, exec_lo, s13
	v_and_b32_e32 v0, 0xff, v88
	v_dual_mov_b32 v16, 0 :: v_dual_mov_b32 v17, 0
	s_mov_b32 s13, exec_lo
	s_delay_alu instid0(VALU_DEP_2)
	v_cmpx_ne_u16_e32 0, v0
	s_cbranch_execz .LBB6_11060
; %bb.11053:                            ;   in Loop: Header=BB6_10440 Depth=3
	v_bfrev_b32_e32 v17, 1
	s_mov_b32 s45, exec_lo
	v_cmpx_ne_u16_e32 0x80, v0
	s_cbranch_execz .LBB6_11059
; %bb.11054:                            ;   in Loop: Header=BB6_10440 Depth=3
	v_and_b32_e32 v14, 0x7f, v88
	v_mov_b32_e32 v17, 0x7f800001
	s_mov_b32 s74, exec_lo
	s_delay_alu instid0(VALU_DEP_2)
	v_cmpx_ne_u32_e32 0x7f, v14
	s_cbranch_execz .LBB6_11058
; %bb.11055:                            ;   in Loop: Header=BB6_10440 Depth=3
	v_dual_lshrrev_b32 v0, 3, v14 :: v_dual_bitop2_b32 v2, 7, v0 bitop3:0x40
	v_cmp_gt_u32_e32 vcc_lo, 8, v14
	s_delay_alu instid0(VALU_DEP_2)
	v_mov_b64_e32 v[14:15], v[2:3]
	s_and_saveexec_b32 s75, vcc_lo
; %bb.11056:                            ;   in Loop: Header=BB6_10440 Depth=3
	v_clz_i32_u32_e32 v0, v2
	s_delay_alu instid0(VALU_DEP_1) | instskip(NEXT) | instid1(VALU_DEP_1)
	v_min_u32_e32 v0, 32, v0
	v_subrev_nc_u32_e32 v14, 28, v0
	s_delay_alu instid0(VALU_DEP_1) | instskip(NEXT) | instid1(VALU_DEP_1)
	v_lshlrev_b64_e32 v[14:15], v14, v[2:3]
	v_dual_sub_nc_u32 v0, 29, v0 :: v_dual_bitop2_b32 v14, 7, v14 bitop3:0x40
; %bb.11057:                            ;   in Loop: Header=BB6_10440 Depth=3
	s_or_b32 exec_lo, exec_lo, s75
	s_delay_alu instid0(VALU_DEP_1) | instskip(NEXT) | instid1(VALU_DEP_2)
	v_dual_lshlrev_b32 v2, 24, v88 :: v_dual_lshlrev_b32 v14, 20, v14
	v_lshl_add_u32 v0, v0, 23, 0x3c000000
	s_delay_alu instid0(VALU_DEP_2) | instskip(NEXT) | instid1(VALU_DEP_1)
	v_and_b32_e32 v2, 0x80000000, v2
	v_or3_b32 v17, v14, v2, v0
.LBB6_11058:                            ;   in Loop: Header=BB6_10440 Depth=3
	s_or_b32 exec_lo, exec_lo, s74
.LBB6_11059:                            ;   in Loop: Header=BB6_10440 Depth=3
	s_delay_alu instid0(SALU_CYCLE_1)
	s_or_b32 exec_lo, exec_lo, s45
.LBB6_11060:                            ;   in Loop: Header=BB6_10440 Depth=3
	s_delay_alu instid0(SALU_CYCLE_1) | instskip(SKIP_3) | instid1(VALU_DEP_1)
	s_or_b32 exec_lo, exec_lo, s13
	s_wait_loadcnt_dscnt 0xe0e
	v_and_b32_e32 v0, 0xff, v79
	s_mov_b32 s13, exec_lo
	v_cmpx_ne_u16_e32 0, v0
	s_cbranch_execz .LBB6_11068
; %bb.11061:                            ;   in Loop: Header=BB6_10440 Depth=3
	v_bfrev_b32_e32 v16, 1
	s_mov_b32 s45, exec_lo
	v_cmpx_ne_u16_e32 0x80, v0
	s_cbranch_execz .LBB6_11067
; %bb.11062:                            ;   in Loop: Header=BB6_10440 Depth=3
	v_and_b32_e32 v14, 0x7f, v79
	v_mov_b32_e32 v16, 0x7f800001
	s_mov_b32 s74, exec_lo
	s_delay_alu instid0(VALU_DEP_2)
	v_cmpx_ne_u32_e32 0x7f, v14
	s_cbranch_execz .LBB6_11066
; %bb.11063:                            ;   in Loop: Header=BB6_10440 Depth=3
	v_dual_lshrrev_b32 v0, 3, v14 :: v_dual_bitop2_b32 v2, 7, v0 bitop3:0x40
	v_cmp_gt_u32_e32 vcc_lo, 8, v14
	s_delay_alu instid0(VALU_DEP_2)
	v_mov_b64_e32 v[14:15], v[2:3]
	s_and_saveexec_b32 s75, vcc_lo
; %bb.11064:                            ;   in Loop: Header=BB6_10440 Depth=3
	v_clz_i32_u32_e32 v0, v2
	s_delay_alu instid0(VALU_DEP_1) | instskip(NEXT) | instid1(VALU_DEP_1)
	v_min_u32_e32 v0, 32, v0
	v_subrev_nc_u32_e32 v14, 28, v0
	s_delay_alu instid0(VALU_DEP_1) | instskip(NEXT) | instid1(VALU_DEP_1)
	v_lshlrev_b64_e32 v[14:15], v14, v[2:3]
	v_dual_sub_nc_u32 v0, 29, v0 :: v_dual_bitop2_b32 v14, 7, v14 bitop3:0x40
; %bb.11065:                            ;   in Loop: Header=BB6_10440 Depth=3
	s_or_b32 exec_lo, exec_lo, s75
	s_delay_alu instid0(VALU_DEP_1) | instskip(NEXT) | instid1(VALU_DEP_2)
	v_dual_lshlrev_b32 v2, 24, v79 :: v_dual_lshlrev_b32 v14, 20, v14
	v_lshl_add_u32 v0, v0, 23, 0x3c000000
	s_delay_alu instid0(VALU_DEP_2) | instskip(NEXT) | instid1(VALU_DEP_1)
	v_and_b32_e32 v2, 0x80000000, v2
	v_or3_b32 v16, v14, v2, v0
.LBB6_11066:                            ;   in Loop: Header=BB6_10440 Depth=3
	s_or_b32 exec_lo, exec_lo, s74
.LBB6_11067:                            ;   in Loop: Header=BB6_10440 Depth=3
	s_delay_alu instid0(SALU_CYCLE_1)
	s_or_b32 exec_lo, exec_lo, s45
.LBB6_11068:                            ;   in Loop: Header=BB6_10440 Depth=3
	s_delay_alu instid0(SALU_CYCLE_1) | instskip(NEXT) | instid1(VALU_DEP_1)
	s_or_b32 exec_lo, exec_lo, s13
	v_add_f32_e32 v0, v17, v16
                                        ; implicit-def: $vgpr79
	s_mov_b32 s13, exec_lo
	s_delay_alu instid0(VALU_DEP_1) | instskip(NEXT) | instid1(VALU_DEP_1)
	v_and_b32_e32 v2, 0x7f800000, v0
	v_cmpx_ne_u64_e32 0x7f800000, v[2:3]
	s_xor_b32 s45, exec_lo, s13
	s_cbranch_execz .LBB6_11086
; %bb.11069:                            ;   in Loop: Header=BB6_10440 Depth=3
	v_lshrrev_b32_e32 v14, 24, v0
	v_and_b32_e32 v2, 0x7fffffff, v0
                                        ; implicit-def: $vgpr79
	s_mov_b32 s13, exec_lo
	s_delay_alu instid0(VALU_DEP_2) | instskip(NEXT) | instid1(VALU_DEP_2)
	v_and_b32_e32 v66, 0x80, v14
	v_cmpx_gt_u64_e32 0x43e00001, v[2:3]
	s_xor_b32 s74, exec_lo, s13
	s_cbranch_execz .LBB6_11083
; %bb.11070:                            ;   in Loop: Header=BB6_10440 Depth=3
	v_mov_b32_e32 v79, 0
	s_mov_b32 s75, exec_lo
	v_cmpx_ne_u32_e32 0, v0
	s_cbranch_execz .LBB6_11082
; %bb.11071:                            ;   in Loop: Header=BB6_10440 Depth=3
	v_bfe_u32 v67, v0, 23, 8
	v_and_b32_e32 v2, 0x7fffff, v0
	s_delay_alu instid0(VALU_DEP_2) | instskip(SKIP_2) | instid1(VALU_DEP_4)
	v_cmp_gt_u32_e64 s13, 0x7a, v67
	v_sub_nc_u32_e32 v0, 0x79, v67
	v_cmp_eq_u32_e32 vcc_lo, 0, v67
	v_or_b32_e32 v14, 0x800000, v2
	s_delay_alu instid0(VALU_DEP_1) | instskip(NEXT) | instid1(VALU_DEP_1)
	v_dual_cndmask_b32 v0, 0, v0, s13 :: v_dual_cndmask_b32 v2, v14, v2, vcc_lo
	v_cndmask_b32_e64 v0, v0, 0x78, vcc_lo
	s_delay_alu instid0(VALU_DEP_1) | instskip(NEXT) | instid1(VALU_DEP_1)
	v_dual_add_nc_u32 v14, 20, v0 :: v_dual_add_nc_u32 v16, 19, v0
	v_lshlrev_b64_e64 v[14:15], v14, -1
	s_delay_alu instid0(VALU_DEP_2) | instskip(NEXT) | instid1(VALU_DEP_2)
	v_lshlrev_b64_e64 v[16:17], v16, 1
	v_bfi_b32 v15, v15, 0, 0
	s_delay_alu instid0(VALU_DEP_3) | instskip(NEXT) | instid1(VALU_DEP_1)
	v_bfi_b32 v14, v14, 0, v2
	v_cmp_eq_u64_e64 s13, v[14:15], v[16:17]
	v_lshrrev_b64 v[14:15], v0, v[2:3]
	s_delay_alu instid0(VALU_DEP_1)
	v_mov_b64_e32 v[16:17], v[14:15]
	s_and_saveexec_b32 s76, s13
; %bb.11072:                            ;   in Loop: Header=BB6_10440 Depth=3
	v_bfe_u32 v2, v14, 20, 1
	s_delay_alu instid0(VALU_DEP_1) | instskip(NEXT) | instid1(VALU_DEP_1)
	v_add_nc_u64_e32 v[16:17], v[14:15], v[2:3]
	v_add_nc_u64_e32 v[16:17], -1, v[16:17]
; %bb.11073:                            ;   in Loop: Header=BB6_10440 Depth=3
	s_or_b32 exec_lo, exec_lo, s76
	v_add_nc_u32_e32 v2, 0xffffff81, v67
	v_lshrrev_b32_e32 v15, 23, v14
	s_mov_b32 s13, exec_lo
	s_delay_alu instid0(VALU_DEP_2) | instskip(NEXT) | instid1(VALU_DEP_1)
	v_cndmask_b32_e64 v2, v2, 0xffffff82, vcc_lo
	v_add3_u32 v17, v0, v2, v15
	v_and_b32_e32 v0, 0xfffff, v16
	s_delay_alu instid0(VALU_DEP_1) | instskip(NEXT) | instid1(VALU_DEP_1)
	v_dual_add_nc_u32 v16, 6, v17 :: v_dual_add_nc_u32 v2, v0, v14
                                        ; implicit-def: $vgpr14_vgpr15
                                        ; implicit-def: $vgpr0
	v_cmpx_ne_u32_e32 0, v16
	s_xor_b32 s13, exec_lo, s13
; %bb.11074:                            ;   in Loop: Header=BB6_10440 Depth=3
	s_delay_alu instid0(VALU_DEP_2) | instskip(SKIP_2) | instid1(VALU_DEP_2)
	v_cmp_lt_u64_e32 vcc_lo, 0xffffff, v[2:3]
	v_add_nc_u32_e32 v0, 7, v17
	v_cndmask_b32_e64 v14, 0, 1, vcc_lo
	v_cndmask_b32_e32 v0, v16, v0, vcc_lo
	s_delay_alu instid0(VALU_DEP_2)
	v_lshrrev_b64 v[14:15], v14, v[2:3]
; %bb.11075:                            ;   in Loop: Header=BB6_10440 Depth=3
	s_and_not1_saveexec_b32 s13, s13
; %bb.11076:                            ;   in Loop: Header=BB6_10440 Depth=3
	v_mov_b64_e32 v[14:15], v[2:3]
	v_bfe_u32 v0, v2, 23, 1
; %bb.11077:                            ;   in Loop: Header=BB6_10440 Depth=3
	s_or_b32 exec_lo, exec_lo, s13
	s_delay_alu instid0(VALU_DEP_2) | instskip(NEXT) | instid1(VALU_DEP_2)
	v_lshrrev_b64 v[14:15], 20, v[14:15]
	v_cmp_gt_i32_e32 vcc_lo, 16, v0
	v_cmp_ne_u32_e64 s13, 0, v0
                                        ; implicit-def: $vgpr79
	s_delay_alu instid0(VALU_DEP_3) | instskip(NEXT) | instid1(VALU_DEP_1)
	v_dual_cndmask_b32 v15, 0, v15 :: v_dual_cndmask_b32 v14, 7, v14
	v_cmp_ne_u64_e32 vcc_lo, 0, v[14:15]
	s_or_b32 s13, s13, vcc_lo
	s_delay_alu instid0(SALU_CYCLE_1) | instskip(NEXT) | instid1(SALU_CYCLE_1)
	s_and_saveexec_b32 s76, s13
	s_xor_b32 s13, exec_lo, s76
; %bb.11078:                            ;   in Loop: Header=BB6_10440 Depth=3
	v_min_i32_e32 v0, 15, v0
	s_delay_alu instid0(VALU_DEP_1) | instskip(NEXT) | instid1(VALU_DEP_1)
	v_lshl_or_b32 v0, v0, 3, v66
                                        ; implicit-def: $vgpr66
	v_and_or_b32 v79, v14, 7, v0
; %bb.11079:                            ;   in Loop: Header=BB6_10440 Depth=3
	s_and_not1_saveexec_b32 s13, s13
; %bb.11080:                            ;   in Loop: Header=BB6_10440 Depth=3
	v_mov_b32_e32 v79, v66
; %bb.11081:                            ;   in Loop: Header=BB6_10440 Depth=3
	s_or_b32 exec_lo, exec_lo, s13
.LBB6_11082:                            ;   in Loop: Header=BB6_10440 Depth=3
	s_delay_alu instid0(SALU_CYCLE_1)
	s_or_b32 exec_lo, exec_lo, s75
                                        ; implicit-def: $vgpr66
.LBB6_11083:                            ;   in Loop: Header=BB6_10440 Depth=3
	s_and_not1_saveexec_b32 s13, s74
; %bb.11084:                            ;   in Loop: Header=BB6_10440 Depth=3
	v_or_b32_e32 v79, 0x7e, v66
; %bb.11085:                            ;   in Loop: Header=BB6_10440 Depth=3
	s_or_b32 exec_lo, exec_lo, s13
                                        ; implicit-def: $vgpr0
.LBB6_11086:                            ;   in Loop: Header=BB6_10440 Depth=3
	s_and_not1_saveexec_b32 s13, s45
; %bb.11087:                            ;   in Loop: Header=BB6_10440 Depth=3
	v_lshrrev_b32_e32 v0, 24, v0
	s_delay_alu instid0(VALU_DEP_1)
	v_or_b32_e32 v79, 0x7f, v0
; %bb.11088:                            ;   in Loop: Header=BB6_10440 Depth=3
	s_or_b32 exec_lo, exec_lo, s13
	v_and_b32_e32 v0, 0xff, v57
	v_dual_mov_b32 v16, 0 :: v_dual_mov_b32 v17, 0
	s_mov_b32 s13, exec_lo
	s_delay_alu instid0(VALU_DEP_2)
	v_cmpx_ne_u16_e32 0, v0
	s_cbranch_execz .LBB6_11096
; %bb.11089:                            ;   in Loop: Header=BB6_10440 Depth=3
	v_bfrev_b32_e32 v17, 1
	s_mov_b32 s45, exec_lo
	v_cmpx_ne_u16_e32 0x80, v0
	s_cbranch_execz .LBB6_11095
; %bb.11090:                            ;   in Loop: Header=BB6_10440 Depth=3
	v_and_b32_e32 v14, 0x7f, v57
	v_mov_b32_e32 v17, 0x7f800001
	s_mov_b32 s74, exec_lo
	s_delay_alu instid0(VALU_DEP_2)
	v_cmpx_ne_u32_e32 0x7f, v14
	s_cbranch_execz .LBB6_11094
; %bb.11091:                            ;   in Loop: Header=BB6_10440 Depth=3
	v_dual_lshrrev_b32 v0, 3, v14 :: v_dual_bitop2_b32 v2, 7, v0 bitop3:0x40
	v_cmp_gt_u32_e32 vcc_lo, 8, v14
	s_delay_alu instid0(VALU_DEP_2)
	v_mov_b64_e32 v[14:15], v[2:3]
	s_and_saveexec_b32 s75, vcc_lo
; %bb.11092:                            ;   in Loop: Header=BB6_10440 Depth=3
	v_clz_i32_u32_e32 v0, v2
	s_delay_alu instid0(VALU_DEP_1) | instskip(NEXT) | instid1(VALU_DEP_1)
	v_min_u32_e32 v0, 32, v0
	v_subrev_nc_u32_e32 v14, 28, v0
	s_delay_alu instid0(VALU_DEP_1) | instskip(NEXT) | instid1(VALU_DEP_1)
	v_lshlrev_b64_e32 v[14:15], v14, v[2:3]
	v_dual_sub_nc_u32 v0, 29, v0 :: v_dual_bitop2_b32 v14, 7, v14 bitop3:0x40
; %bb.11093:                            ;   in Loop: Header=BB6_10440 Depth=3
	s_or_b32 exec_lo, exec_lo, s75
	s_delay_alu instid0(VALU_DEP_1) | instskip(NEXT) | instid1(VALU_DEP_2)
	v_dual_lshlrev_b32 v2, 24, v57 :: v_dual_lshlrev_b32 v14, 20, v14
	v_lshl_add_u32 v0, v0, 23, 0x3c000000
	s_delay_alu instid0(VALU_DEP_2) | instskip(NEXT) | instid1(VALU_DEP_1)
	v_and_b32_e32 v2, 0x80000000, v2
	v_or3_b32 v17, v14, v2, v0
.LBB6_11094:                            ;   in Loop: Header=BB6_10440 Depth=3
	s_or_b32 exec_lo, exec_lo, s74
.LBB6_11095:                            ;   in Loop: Header=BB6_10440 Depth=3
	s_delay_alu instid0(SALU_CYCLE_1)
	s_or_b32 exec_lo, exec_lo, s45
.LBB6_11096:                            ;   in Loop: Header=BB6_10440 Depth=3
	s_delay_alu instid0(SALU_CYCLE_1) | instskip(SKIP_3) | instid1(VALU_DEP_1)
	s_or_b32 exec_lo, exec_lo, s13
	s_wait_loadcnt_dscnt 0xd0d
	v_and_b32_e32 v0, 0xff, v56
	s_mov_b32 s13, exec_lo
	v_cmpx_ne_u16_e32 0, v0
	s_cbranch_execz .LBB6_11104
; %bb.11097:                            ;   in Loop: Header=BB6_10440 Depth=3
	v_bfrev_b32_e32 v16, 1
	s_mov_b32 s45, exec_lo
	v_cmpx_ne_u16_e32 0x80, v0
	s_cbranch_execz .LBB6_11103
; %bb.11098:                            ;   in Loop: Header=BB6_10440 Depth=3
	v_and_b32_e32 v14, 0x7f, v56
	v_mov_b32_e32 v16, 0x7f800001
	s_mov_b32 s74, exec_lo
	s_delay_alu instid0(VALU_DEP_2)
	v_cmpx_ne_u32_e32 0x7f, v14
	s_cbranch_execz .LBB6_11102
; %bb.11099:                            ;   in Loop: Header=BB6_10440 Depth=3
	v_dual_lshrrev_b32 v0, 3, v14 :: v_dual_bitop2_b32 v2, 7, v0 bitop3:0x40
	v_cmp_gt_u32_e32 vcc_lo, 8, v14
	s_delay_alu instid0(VALU_DEP_2)
	v_mov_b64_e32 v[14:15], v[2:3]
	s_and_saveexec_b32 s75, vcc_lo
; %bb.11100:                            ;   in Loop: Header=BB6_10440 Depth=3
	v_clz_i32_u32_e32 v0, v2
	s_delay_alu instid0(VALU_DEP_1) | instskip(NEXT) | instid1(VALU_DEP_1)
	v_min_u32_e32 v0, 32, v0
	v_subrev_nc_u32_e32 v14, 28, v0
	s_delay_alu instid0(VALU_DEP_1) | instskip(NEXT) | instid1(VALU_DEP_1)
	v_lshlrev_b64_e32 v[14:15], v14, v[2:3]
	v_dual_sub_nc_u32 v0, 29, v0 :: v_dual_bitop2_b32 v14, 7, v14 bitop3:0x40
; %bb.11101:                            ;   in Loop: Header=BB6_10440 Depth=3
	s_or_b32 exec_lo, exec_lo, s75
	s_delay_alu instid0(VALU_DEP_1) | instskip(NEXT) | instid1(VALU_DEP_2)
	v_dual_lshlrev_b32 v2, 24, v56 :: v_dual_lshlrev_b32 v14, 20, v14
	v_lshl_add_u32 v0, v0, 23, 0x3c000000
	s_delay_alu instid0(VALU_DEP_2) | instskip(NEXT) | instid1(VALU_DEP_1)
	v_and_b32_e32 v2, 0x80000000, v2
	v_or3_b32 v16, v14, v2, v0
.LBB6_11102:                            ;   in Loop: Header=BB6_10440 Depth=3
	s_or_b32 exec_lo, exec_lo, s74
.LBB6_11103:                            ;   in Loop: Header=BB6_10440 Depth=3
	s_delay_alu instid0(SALU_CYCLE_1)
	s_or_b32 exec_lo, exec_lo, s45
.LBB6_11104:                            ;   in Loop: Header=BB6_10440 Depth=3
	s_delay_alu instid0(SALU_CYCLE_1) | instskip(NEXT) | instid1(VALU_DEP_1)
	s_or_b32 exec_lo, exec_lo, s13
	v_add_f32_e32 v0, v17, v16
                                        ; implicit-def: $vgpr56
	s_mov_b32 s13, exec_lo
	s_delay_alu instid0(VALU_DEP_1) | instskip(NEXT) | instid1(VALU_DEP_1)
	v_and_b32_e32 v2, 0x7f800000, v0
	v_cmpx_ne_u64_e32 0x7f800000, v[2:3]
	s_xor_b32 s45, exec_lo, s13
	s_cbranch_execz .LBB6_11122
; %bb.11105:                            ;   in Loop: Header=BB6_10440 Depth=3
	v_lshrrev_b32_e32 v14, 24, v0
	v_and_b32_e32 v2, 0x7fffffff, v0
                                        ; implicit-def: $vgpr56
	s_mov_b32 s13, exec_lo
	s_delay_alu instid0(VALU_DEP_2) | instskip(NEXT) | instid1(VALU_DEP_2)
	v_and_b32_e32 v66, 0x80, v14
	v_cmpx_gt_u64_e32 0x43e00001, v[2:3]
	s_xor_b32 s74, exec_lo, s13
	s_cbranch_execz .LBB6_11119
; %bb.11106:                            ;   in Loop: Header=BB6_10440 Depth=3
	v_mov_b32_e32 v56, 0
	s_mov_b32 s75, exec_lo
	v_cmpx_ne_u32_e32 0, v0
	s_cbranch_execz .LBB6_11118
; %bb.11107:                            ;   in Loop: Header=BB6_10440 Depth=3
	v_bfe_u32 v67, v0, 23, 8
	v_and_b32_e32 v2, 0x7fffff, v0
	s_delay_alu instid0(VALU_DEP_2) | instskip(SKIP_2) | instid1(VALU_DEP_4)
	v_cmp_gt_u32_e64 s13, 0x7a, v67
	v_sub_nc_u32_e32 v0, 0x79, v67
	v_cmp_eq_u32_e32 vcc_lo, 0, v67
	v_or_b32_e32 v14, 0x800000, v2
	s_delay_alu instid0(VALU_DEP_1) | instskip(NEXT) | instid1(VALU_DEP_1)
	v_dual_cndmask_b32 v0, 0, v0, s13 :: v_dual_cndmask_b32 v2, v14, v2, vcc_lo
	v_cndmask_b32_e64 v0, v0, 0x78, vcc_lo
	s_delay_alu instid0(VALU_DEP_1) | instskip(NEXT) | instid1(VALU_DEP_1)
	v_dual_add_nc_u32 v14, 20, v0 :: v_dual_add_nc_u32 v16, 19, v0
	v_lshlrev_b64_e64 v[14:15], v14, -1
	s_delay_alu instid0(VALU_DEP_2) | instskip(NEXT) | instid1(VALU_DEP_2)
	v_lshlrev_b64_e64 v[16:17], v16, 1
	v_bfi_b32 v15, v15, 0, 0
	s_delay_alu instid0(VALU_DEP_3) | instskip(NEXT) | instid1(VALU_DEP_1)
	v_bfi_b32 v14, v14, 0, v2
	v_cmp_eq_u64_e64 s13, v[14:15], v[16:17]
	v_lshrrev_b64 v[14:15], v0, v[2:3]
	s_delay_alu instid0(VALU_DEP_1)
	v_mov_b64_e32 v[16:17], v[14:15]
	s_and_saveexec_b32 s76, s13
; %bb.11108:                            ;   in Loop: Header=BB6_10440 Depth=3
	v_bfe_u32 v2, v14, 20, 1
	s_delay_alu instid0(VALU_DEP_1) | instskip(NEXT) | instid1(VALU_DEP_1)
	v_add_nc_u64_e32 v[16:17], v[14:15], v[2:3]
	v_add_nc_u64_e32 v[16:17], -1, v[16:17]
; %bb.11109:                            ;   in Loop: Header=BB6_10440 Depth=3
	s_or_b32 exec_lo, exec_lo, s76
	v_add_nc_u32_e32 v2, 0xffffff81, v67
	v_lshrrev_b32_e32 v15, 23, v14
	s_mov_b32 s13, exec_lo
	s_delay_alu instid0(VALU_DEP_2) | instskip(NEXT) | instid1(VALU_DEP_1)
	v_cndmask_b32_e64 v2, v2, 0xffffff82, vcc_lo
	v_add3_u32 v17, v0, v2, v15
	v_and_b32_e32 v0, 0xfffff, v16
	s_delay_alu instid0(VALU_DEP_1) | instskip(NEXT) | instid1(VALU_DEP_1)
	v_dual_add_nc_u32 v16, 6, v17 :: v_dual_add_nc_u32 v2, v0, v14
                                        ; implicit-def: $vgpr14_vgpr15
                                        ; implicit-def: $vgpr0
	v_cmpx_ne_u32_e32 0, v16
	s_xor_b32 s13, exec_lo, s13
; %bb.11110:                            ;   in Loop: Header=BB6_10440 Depth=3
	s_delay_alu instid0(VALU_DEP_2) | instskip(SKIP_2) | instid1(VALU_DEP_2)
	v_cmp_lt_u64_e32 vcc_lo, 0xffffff, v[2:3]
	v_add_nc_u32_e32 v0, 7, v17
	v_cndmask_b32_e64 v14, 0, 1, vcc_lo
	v_cndmask_b32_e32 v0, v16, v0, vcc_lo
	s_delay_alu instid0(VALU_DEP_2)
	v_lshrrev_b64 v[14:15], v14, v[2:3]
; %bb.11111:                            ;   in Loop: Header=BB6_10440 Depth=3
	s_and_not1_saveexec_b32 s13, s13
; %bb.11112:                            ;   in Loop: Header=BB6_10440 Depth=3
	v_mov_b64_e32 v[14:15], v[2:3]
	v_bfe_u32 v0, v2, 23, 1
; %bb.11113:                            ;   in Loop: Header=BB6_10440 Depth=3
	s_or_b32 exec_lo, exec_lo, s13
	s_delay_alu instid0(VALU_DEP_2) | instskip(NEXT) | instid1(VALU_DEP_2)
	v_lshrrev_b64 v[14:15], 20, v[14:15]
	v_cmp_gt_i32_e32 vcc_lo, 16, v0
	v_cmp_ne_u32_e64 s13, 0, v0
                                        ; implicit-def: $vgpr56
	s_delay_alu instid0(VALU_DEP_3) | instskip(NEXT) | instid1(VALU_DEP_1)
	v_dual_cndmask_b32 v15, 0, v15 :: v_dual_cndmask_b32 v14, 7, v14
	v_cmp_ne_u64_e32 vcc_lo, 0, v[14:15]
	s_or_b32 s13, s13, vcc_lo
	s_delay_alu instid0(SALU_CYCLE_1) | instskip(NEXT) | instid1(SALU_CYCLE_1)
	s_and_saveexec_b32 s76, s13
	s_xor_b32 s13, exec_lo, s76
; %bb.11114:                            ;   in Loop: Header=BB6_10440 Depth=3
	v_min_i32_e32 v0, 15, v0
	s_delay_alu instid0(VALU_DEP_1) | instskip(NEXT) | instid1(VALU_DEP_1)
	v_lshl_or_b32 v0, v0, 3, v66
                                        ; implicit-def: $vgpr66
	v_and_or_b32 v56, v14, 7, v0
; %bb.11115:                            ;   in Loop: Header=BB6_10440 Depth=3
	s_and_not1_saveexec_b32 s13, s13
; %bb.11116:                            ;   in Loop: Header=BB6_10440 Depth=3
	v_mov_b32_e32 v56, v66
; %bb.11117:                            ;   in Loop: Header=BB6_10440 Depth=3
	s_or_b32 exec_lo, exec_lo, s13
.LBB6_11118:                            ;   in Loop: Header=BB6_10440 Depth=3
	s_delay_alu instid0(SALU_CYCLE_1)
	s_or_b32 exec_lo, exec_lo, s75
                                        ; implicit-def: $vgpr66
.LBB6_11119:                            ;   in Loop: Header=BB6_10440 Depth=3
	s_and_not1_saveexec_b32 s13, s74
; %bb.11120:                            ;   in Loop: Header=BB6_10440 Depth=3
	v_or_b32_e32 v56, 0x7e, v66
; %bb.11121:                            ;   in Loop: Header=BB6_10440 Depth=3
	s_or_b32 exec_lo, exec_lo, s13
                                        ; implicit-def: $vgpr0
.LBB6_11122:                            ;   in Loop: Header=BB6_10440 Depth=3
	s_and_not1_saveexec_b32 s13, s45
; %bb.11123:                            ;   in Loop: Header=BB6_10440 Depth=3
	v_lshrrev_b32_e32 v0, 24, v0
	s_delay_alu instid0(VALU_DEP_1)
	v_or_b32_e32 v56, 0x7f, v0
; %bb.11124:                            ;   in Loop: Header=BB6_10440 Depth=3
	s_or_b32 exec_lo, exec_lo, s13
	v_and_b32_e32 v0, 0xff, v73
	v_dual_mov_b32 v16, 0 :: v_dual_mov_b32 v17, 0
	s_mov_b32 s13, exec_lo
	s_delay_alu instid0(VALU_DEP_2)
	v_cmpx_ne_u16_e32 0, v0
	s_cbranch_execz .LBB6_11132
; %bb.11125:                            ;   in Loop: Header=BB6_10440 Depth=3
	v_bfrev_b32_e32 v17, 1
	s_mov_b32 s45, exec_lo
	v_cmpx_ne_u16_e32 0x80, v0
	s_cbranch_execz .LBB6_11131
; %bb.11126:                            ;   in Loop: Header=BB6_10440 Depth=3
	v_and_b32_e32 v14, 0x7f, v73
	v_mov_b32_e32 v17, 0x7f800001
	s_mov_b32 s74, exec_lo
	s_delay_alu instid0(VALU_DEP_2)
	v_cmpx_ne_u32_e32 0x7f, v14
	s_cbranch_execz .LBB6_11130
; %bb.11127:                            ;   in Loop: Header=BB6_10440 Depth=3
	v_dual_lshrrev_b32 v0, 3, v14 :: v_dual_bitop2_b32 v2, 7, v0 bitop3:0x40
	v_cmp_gt_u32_e32 vcc_lo, 8, v14
	s_delay_alu instid0(VALU_DEP_2)
	v_mov_b64_e32 v[14:15], v[2:3]
	s_and_saveexec_b32 s75, vcc_lo
; %bb.11128:                            ;   in Loop: Header=BB6_10440 Depth=3
	v_clz_i32_u32_e32 v0, v2
	s_delay_alu instid0(VALU_DEP_1) | instskip(NEXT) | instid1(VALU_DEP_1)
	v_min_u32_e32 v0, 32, v0
	v_subrev_nc_u32_e32 v14, 28, v0
	s_delay_alu instid0(VALU_DEP_1) | instskip(NEXT) | instid1(VALU_DEP_1)
	v_lshlrev_b64_e32 v[14:15], v14, v[2:3]
	v_dual_sub_nc_u32 v0, 29, v0 :: v_dual_bitop2_b32 v14, 7, v14 bitop3:0x40
; %bb.11129:                            ;   in Loop: Header=BB6_10440 Depth=3
	s_or_b32 exec_lo, exec_lo, s75
	s_delay_alu instid0(VALU_DEP_1) | instskip(NEXT) | instid1(VALU_DEP_2)
	v_dual_lshlrev_b32 v2, 24, v73 :: v_dual_lshlrev_b32 v14, 20, v14
	v_lshl_add_u32 v0, v0, 23, 0x3c000000
	s_delay_alu instid0(VALU_DEP_2) | instskip(NEXT) | instid1(VALU_DEP_1)
	v_and_b32_e32 v2, 0x80000000, v2
	v_or3_b32 v17, v14, v2, v0
.LBB6_11130:                            ;   in Loop: Header=BB6_10440 Depth=3
	s_or_b32 exec_lo, exec_lo, s74
.LBB6_11131:                            ;   in Loop: Header=BB6_10440 Depth=3
	s_delay_alu instid0(SALU_CYCLE_1)
	s_or_b32 exec_lo, exec_lo, s45
.LBB6_11132:                            ;   in Loop: Header=BB6_10440 Depth=3
	s_delay_alu instid0(SALU_CYCLE_1) | instskip(SKIP_3) | instid1(VALU_DEP_1)
	s_or_b32 exec_lo, exec_lo, s13
	s_wait_loadcnt_dscnt 0xc0c
	v_and_b32_e32 v0, 0xff, v72
	s_mov_b32 s13, exec_lo
	v_cmpx_ne_u16_e32 0, v0
	s_cbranch_execz .LBB6_11140
; %bb.11133:                            ;   in Loop: Header=BB6_10440 Depth=3
	v_bfrev_b32_e32 v16, 1
	s_mov_b32 s45, exec_lo
	v_cmpx_ne_u16_e32 0x80, v0
	s_cbranch_execz .LBB6_11139
; %bb.11134:                            ;   in Loop: Header=BB6_10440 Depth=3
	v_and_b32_e32 v14, 0x7f, v72
	v_mov_b32_e32 v16, 0x7f800001
	s_mov_b32 s74, exec_lo
	s_delay_alu instid0(VALU_DEP_2)
	v_cmpx_ne_u32_e32 0x7f, v14
	s_cbranch_execz .LBB6_11138
; %bb.11135:                            ;   in Loop: Header=BB6_10440 Depth=3
	v_dual_lshrrev_b32 v0, 3, v14 :: v_dual_bitop2_b32 v2, 7, v0 bitop3:0x40
	v_cmp_gt_u32_e32 vcc_lo, 8, v14
	s_delay_alu instid0(VALU_DEP_2)
	v_mov_b64_e32 v[14:15], v[2:3]
	s_and_saveexec_b32 s75, vcc_lo
; %bb.11136:                            ;   in Loop: Header=BB6_10440 Depth=3
	v_clz_i32_u32_e32 v0, v2
	s_delay_alu instid0(VALU_DEP_1) | instskip(NEXT) | instid1(VALU_DEP_1)
	v_min_u32_e32 v0, 32, v0
	v_subrev_nc_u32_e32 v14, 28, v0
	s_delay_alu instid0(VALU_DEP_1) | instskip(NEXT) | instid1(VALU_DEP_1)
	v_lshlrev_b64_e32 v[14:15], v14, v[2:3]
	v_dual_sub_nc_u32 v0, 29, v0 :: v_dual_bitop2_b32 v14, 7, v14 bitop3:0x40
; %bb.11137:                            ;   in Loop: Header=BB6_10440 Depth=3
	s_or_b32 exec_lo, exec_lo, s75
	s_delay_alu instid0(VALU_DEP_1) | instskip(NEXT) | instid1(VALU_DEP_2)
	v_dual_lshlrev_b32 v2, 24, v72 :: v_dual_lshlrev_b32 v14, 20, v14
	v_lshl_add_u32 v0, v0, 23, 0x3c000000
	s_delay_alu instid0(VALU_DEP_2) | instskip(NEXT) | instid1(VALU_DEP_1)
	v_and_b32_e32 v2, 0x80000000, v2
	v_or3_b32 v16, v14, v2, v0
.LBB6_11138:                            ;   in Loop: Header=BB6_10440 Depth=3
	s_or_b32 exec_lo, exec_lo, s74
.LBB6_11139:                            ;   in Loop: Header=BB6_10440 Depth=3
	s_delay_alu instid0(SALU_CYCLE_1)
	s_or_b32 exec_lo, exec_lo, s45
.LBB6_11140:                            ;   in Loop: Header=BB6_10440 Depth=3
	s_delay_alu instid0(SALU_CYCLE_1) | instskip(NEXT) | instid1(VALU_DEP_1)
	s_or_b32 exec_lo, exec_lo, s13
	v_add_f32_e32 v0, v17, v16
                                        ; implicit-def: $vgpr46
	s_mov_b32 s13, exec_lo
	s_delay_alu instid0(VALU_DEP_1) | instskip(NEXT) | instid1(VALU_DEP_1)
	v_and_b32_e32 v2, 0x7f800000, v0
	v_cmpx_ne_u64_e32 0x7f800000, v[2:3]
	s_xor_b32 s45, exec_lo, s13
	s_cbranch_execz .LBB6_11158
; %bb.11141:                            ;   in Loop: Header=BB6_10440 Depth=3
	v_lshrrev_b32_e32 v14, 24, v0
	v_and_b32_e32 v2, 0x7fffffff, v0
                                        ; implicit-def: $vgpr46
	s_mov_b32 s13, exec_lo
	s_delay_alu instid0(VALU_DEP_2) | instskip(NEXT) | instid1(VALU_DEP_2)
	v_and_b32_e32 v66, 0x80, v14
	v_cmpx_gt_u64_e32 0x43e00001, v[2:3]
	s_xor_b32 s74, exec_lo, s13
	s_cbranch_execz .LBB6_11155
; %bb.11142:                            ;   in Loop: Header=BB6_10440 Depth=3
	v_mov_b32_e32 v46, 0
	s_mov_b32 s75, exec_lo
	v_cmpx_ne_u32_e32 0, v0
	s_cbranch_execz .LBB6_11154
; %bb.11143:                            ;   in Loop: Header=BB6_10440 Depth=3
	v_bfe_u32 v67, v0, 23, 8
	v_and_b32_e32 v2, 0x7fffff, v0
	s_delay_alu instid0(VALU_DEP_2) | instskip(SKIP_2) | instid1(VALU_DEP_4)
	v_cmp_gt_u32_e64 s13, 0x7a, v67
	v_sub_nc_u32_e32 v0, 0x79, v67
	v_cmp_eq_u32_e32 vcc_lo, 0, v67
	v_or_b32_e32 v14, 0x800000, v2
	s_delay_alu instid0(VALU_DEP_1) | instskip(NEXT) | instid1(VALU_DEP_1)
	v_dual_cndmask_b32 v0, 0, v0, s13 :: v_dual_cndmask_b32 v2, v14, v2, vcc_lo
	v_cndmask_b32_e64 v0, v0, 0x78, vcc_lo
	s_delay_alu instid0(VALU_DEP_1) | instskip(NEXT) | instid1(VALU_DEP_1)
	v_dual_add_nc_u32 v14, 20, v0 :: v_dual_add_nc_u32 v16, 19, v0
	v_lshlrev_b64_e64 v[14:15], v14, -1
	s_delay_alu instid0(VALU_DEP_2) | instskip(NEXT) | instid1(VALU_DEP_2)
	v_lshlrev_b64_e64 v[16:17], v16, 1
	v_bfi_b32 v15, v15, 0, 0
	s_delay_alu instid0(VALU_DEP_3) | instskip(NEXT) | instid1(VALU_DEP_1)
	v_bfi_b32 v14, v14, 0, v2
	v_cmp_eq_u64_e64 s13, v[14:15], v[16:17]
	v_lshrrev_b64 v[14:15], v0, v[2:3]
	s_delay_alu instid0(VALU_DEP_1)
	v_mov_b64_e32 v[16:17], v[14:15]
	s_and_saveexec_b32 s76, s13
; %bb.11144:                            ;   in Loop: Header=BB6_10440 Depth=3
	v_bfe_u32 v2, v14, 20, 1
	s_delay_alu instid0(VALU_DEP_1) | instskip(NEXT) | instid1(VALU_DEP_1)
	v_add_nc_u64_e32 v[16:17], v[14:15], v[2:3]
	v_add_nc_u64_e32 v[16:17], -1, v[16:17]
; %bb.11145:                            ;   in Loop: Header=BB6_10440 Depth=3
	s_or_b32 exec_lo, exec_lo, s76
	v_add_nc_u32_e32 v2, 0xffffff81, v67
	v_lshrrev_b32_e32 v15, 23, v14
	s_mov_b32 s13, exec_lo
	s_delay_alu instid0(VALU_DEP_2) | instskip(NEXT) | instid1(VALU_DEP_1)
	v_cndmask_b32_e64 v2, v2, 0xffffff82, vcc_lo
	v_add3_u32 v17, v0, v2, v15
	v_and_b32_e32 v0, 0xfffff, v16
	s_delay_alu instid0(VALU_DEP_1) | instskip(NEXT) | instid1(VALU_DEP_1)
	v_dual_add_nc_u32 v16, 6, v17 :: v_dual_add_nc_u32 v2, v0, v14
                                        ; implicit-def: $vgpr14_vgpr15
                                        ; implicit-def: $vgpr0
	v_cmpx_ne_u32_e32 0, v16
	s_xor_b32 s13, exec_lo, s13
; %bb.11146:                            ;   in Loop: Header=BB6_10440 Depth=3
	s_delay_alu instid0(VALU_DEP_2) | instskip(SKIP_2) | instid1(VALU_DEP_2)
	v_cmp_lt_u64_e32 vcc_lo, 0xffffff, v[2:3]
	v_add_nc_u32_e32 v0, 7, v17
	v_cndmask_b32_e64 v14, 0, 1, vcc_lo
	v_cndmask_b32_e32 v0, v16, v0, vcc_lo
	s_delay_alu instid0(VALU_DEP_2)
	v_lshrrev_b64 v[14:15], v14, v[2:3]
; %bb.11147:                            ;   in Loop: Header=BB6_10440 Depth=3
	s_and_not1_saveexec_b32 s13, s13
; %bb.11148:                            ;   in Loop: Header=BB6_10440 Depth=3
	v_mov_b64_e32 v[14:15], v[2:3]
	v_bfe_u32 v0, v2, 23, 1
; %bb.11149:                            ;   in Loop: Header=BB6_10440 Depth=3
	s_or_b32 exec_lo, exec_lo, s13
	s_delay_alu instid0(VALU_DEP_2) | instskip(NEXT) | instid1(VALU_DEP_2)
	v_lshrrev_b64 v[14:15], 20, v[14:15]
	v_cmp_gt_i32_e32 vcc_lo, 16, v0
	v_cmp_ne_u32_e64 s13, 0, v0
                                        ; implicit-def: $vgpr46
	s_delay_alu instid0(VALU_DEP_3) | instskip(NEXT) | instid1(VALU_DEP_1)
	v_dual_cndmask_b32 v15, 0, v15 :: v_dual_cndmask_b32 v14, 7, v14
	v_cmp_ne_u64_e32 vcc_lo, 0, v[14:15]
	s_or_b32 s13, s13, vcc_lo
	s_delay_alu instid0(SALU_CYCLE_1) | instskip(NEXT) | instid1(SALU_CYCLE_1)
	s_and_saveexec_b32 s76, s13
	s_xor_b32 s13, exec_lo, s76
; %bb.11150:                            ;   in Loop: Header=BB6_10440 Depth=3
	v_min_i32_e32 v0, 15, v0
	s_delay_alu instid0(VALU_DEP_1) | instskip(NEXT) | instid1(VALU_DEP_1)
	v_lshl_or_b32 v0, v0, 3, v66
                                        ; implicit-def: $vgpr66
	v_and_or_b32 v46, v14, 7, v0
; %bb.11151:                            ;   in Loop: Header=BB6_10440 Depth=3
	s_and_not1_saveexec_b32 s13, s13
; %bb.11152:                            ;   in Loop: Header=BB6_10440 Depth=3
	v_mov_b32_e32 v46, v66
; %bb.11153:                            ;   in Loop: Header=BB6_10440 Depth=3
	s_or_b32 exec_lo, exec_lo, s13
.LBB6_11154:                            ;   in Loop: Header=BB6_10440 Depth=3
	s_delay_alu instid0(SALU_CYCLE_1)
	s_or_b32 exec_lo, exec_lo, s75
                                        ; implicit-def: $vgpr66
.LBB6_11155:                            ;   in Loop: Header=BB6_10440 Depth=3
	s_and_not1_saveexec_b32 s13, s74
; %bb.11156:                            ;   in Loop: Header=BB6_10440 Depth=3
	v_or_b32_e32 v46, 0x7e, v66
; %bb.11157:                            ;   in Loop: Header=BB6_10440 Depth=3
	s_or_b32 exec_lo, exec_lo, s13
                                        ; implicit-def: $vgpr0
.LBB6_11158:                            ;   in Loop: Header=BB6_10440 Depth=3
	s_and_not1_saveexec_b32 s13, s45
; %bb.11159:                            ;   in Loop: Header=BB6_10440 Depth=3
	v_lshrrev_b32_e32 v0, 24, v0
	s_delay_alu instid0(VALU_DEP_1)
	v_or_b32_e32 v46, 0x7f, v0
; %bb.11160:                            ;   in Loop: Header=BB6_10440 Depth=3
	s_or_b32 exec_lo, exec_lo, s13
	v_and_b32_e32 v0, 0xff, v62
	v_dual_mov_b32 v16, 0 :: v_dual_mov_b32 v17, 0
	s_mov_b32 s13, exec_lo
	s_delay_alu instid0(VALU_DEP_2)
	v_cmpx_ne_u16_e32 0, v0
	s_cbranch_execz .LBB6_11168
; %bb.11161:                            ;   in Loop: Header=BB6_10440 Depth=3
	v_bfrev_b32_e32 v17, 1
	s_mov_b32 s45, exec_lo
	v_cmpx_ne_u16_e32 0x80, v0
	s_cbranch_execz .LBB6_11167
; %bb.11162:                            ;   in Loop: Header=BB6_10440 Depth=3
	v_and_b32_e32 v14, 0x7f, v62
	v_mov_b32_e32 v17, 0x7f800001
	s_mov_b32 s74, exec_lo
	s_delay_alu instid0(VALU_DEP_2)
	v_cmpx_ne_u32_e32 0x7f, v14
	s_cbranch_execz .LBB6_11166
; %bb.11163:                            ;   in Loop: Header=BB6_10440 Depth=3
	v_dual_lshrrev_b32 v0, 3, v14 :: v_dual_bitop2_b32 v2, 7, v0 bitop3:0x40
	v_cmp_gt_u32_e32 vcc_lo, 8, v14
	s_delay_alu instid0(VALU_DEP_2)
	v_mov_b64_e32 v[14:15], v[2:3]
	s_and_saveexec_b32 s75, vcc_lo
; %bb.11164:                            ;   in Loop: Header=BB6_10440 Depth=3
	v_clz_i32_u32_e32 v0, v2
	s_delay_alu instid0(VALU_DEP_1) | instskip(NEXT) | instid1(VALU_DEP_1)
	v_min_u32_e32 v0, 32, v0
	v_subrev_nc_u32_e32 v14, 28, v0
	s_delay_alu instid0(VALU_DEP_1) | instskip(NEXT) | instid1(VALU_DEP_1)
	v_lshlrev_b64_e32 v[14:15], v14, v[2:3]
	v_dual_sub_nc_u32 v0, 29, v0 :: v_dual_bitop2_b32 v14, 7, v14 bitop3:0x40
; %bb.11165:                            ;   in Loop: Header=BB6_10440 Depth=3
	s_or_b32 exec_lo, exec_lo, s75
	v_lshlrev_b32_e32 v2, 24, v62
	s_delay_alu instid0(VALU_DEP_2) | instskip(NEXT) | instid1(VALU_DEP_3)
	v_lshlrev_b32_e32 v14, 20, v14
	v_lshl_add_u32 v0, v0, 23, 0x3c000000
	s_delay_alu instid0(VALU_DEP_3) | instskip(NEXT) | instid1(VALU_DEP_1)
	v_and_b32_e32 v2, 0x80000000, v2
	v_or3_b32 v17, v14, v2, v0
.LBB6_11166:                            ;   in Loop: Header=BB6_10440 Depth=3
	s_or_b32 exec_lo, exec_lo, s74
.LBB6_11167:                            ;   in Loop: Header=BB6_10440 Depth=3
	s_delay_alu instid0(SALU_CYCLE_1)
	s_or_b32 exec_lo, exec_lo, s45
.LBB6_11168:                            ;   in Loop: Header=BB6_10440 Depth=3
	s_delay_alu instid0(SALU_CYCLE_1) | instskip(SKIP_3) | instid1(VALU_DEP_1)
	s_or_b32 exec_lo, exec_lo, s13
	s_wait_loadcnt_dscnt 0xb0b
	v_and_b32_e32 v0, 0xff, v59
	s_mov_b32 s13, exec_lo
	v_cmpx_ne_u16_e32 0, v0
	s_cbranch_execz .LBB6_11176
; %bb.11169:                            ;   in Loop: Header=BB6_10440 Depth=3
	v_bfrev_b32_e32 v16, 1
	s_mov_b32 s45, exec_lo
	v_cmpx_ne_u16_e32 0x80, v0
	s_cbranch_execz .LBB6_11175
; %bb.11170:                            ;   in Loop: Header=BB6_10440 Depth=3
	v_and_b32_e32 v14, 0x7f, v59
	v_mov_b32_e32 v16, 0x7f800001
	s_mov_b32 s74, exec_lo
	s_delay_alu instid0(VALU_DEP_2)
	v_cmpx_ne_u32_e32 0x7f, v14
	s_cbranch_execz .LBB6_11174
; %bb.11171:                            ;   in Loop: Header=BB6_10440 Depth=3
	v_dual_lshrrev_b32 v0, 3, v14 :: v_dual_bitop2_b32 v2, 7, v0 bitop3:0x40
	v_cmp_gt_u32_e32 vcc_lo, 8, v14
	s_delay_alu instid0(VALU_DEP_2)
	v_mov_b64_e32 v[14:15], v[2:3]
	s_and_saveexec_b32 s75, vcc_lo
; %bb.11172:                            ;   in Loop: Header=BB6_10440 Depth=3
	v_clz_i32_u32_e32 v0, v2
	s_delay_alu instid0(VALU_DEP_1) | instskip(NEXT) | instid1(VALU_DEP_1)
	v_min_u32_e32 v0, 32, v0
	v_subrev_nc_u32_e32 v14, 28, v0
	s_delay_alu instid0(VALU_DEP_1) | instskip(NEXT) | instid1(VALU_DEP_1)
	v_lshlrev_b64_e32 v[14:15], v14, v[2:3]
	v_dual_sub_nc_u32 v0, 29, v0 :: v_dual_bitop2_b32 v14, 7, v14 bitop3:0x40
; %bb.11173:                            ;   in Loop: Header=BB6_10440 Depth=3
	s_or_b32 exec_lo, exec_lo, s75
	s_delay_alu instid0(VALU_DEP_1) | instskip(NEXT) | instid1(VALU_DEP_2)
	v_dual_lshlrev_b32 v2, 24, v59 :: v_dual_lshlrev_b32 v14, 20, v14
	v_lshl_add_u32 v0, v0, 23, 0x3c000000
	s_delay_alu instid0(VALU_DEP_2) | instskip(NEXT) | instid1(VALU_DEP_1)
	v_and_b32_e32 v2, 0x80000000, v2
	v_or3_b32 v16, v14, v2, v0
.LBB6_11174:                            ;   in Loop: Header=BB6_10440 Depth=3
	s_or_b32 exec_lo, exec_lo, s74
.LBB6_11175:                            ;   in Loop: Header=BB6_10440 Depth=3
	s_delay_alu instid0(SALU_CYCLE_1)
	s_or_b32 exec_lo, exec_lo, s45
.LBB6_11176:                            ;   in Loop: Header=BB6_10440 Depth=3
	s_delay_alu instid0(SALU_CYCLE_1) | instskip(NEXT) | instid1(VALU_DEP_1)
	s_or_b32 exec_lo, exec_lo, s13
	v_add_f32_e32 v0, v17, v16
                                        ; implicit-def: $vgpr47
	s_mov_b32 s13, exec_lo
	s_delay_alu instid0(VALU_DEP_1) | instskip(NEXT) | instid1(VALU_DEP_1)
	v_and_b32_e32 v2, 0x7f800000, v0
	v_cmpx_ne_u64_e32 0x7f800000, v[2:3]
	s_xor_b32 s45, exec_lo, s13
	s_cbranch_execz .LBB6_11194
; %bb.11177:                            ;   in Loop: Header=BB6_10440 Depth=3
	v_lshrrev_b32_e32 v14, 24, v0
	v_and_b32_e32 v2, 0x7fffffff, v0
                                        ; implicit-def: $vgpr47
	s_mov_b32 s13, exec_lo
	s_delay_alu instid0(VALU_DEP_2) | instskip(NEXT) | instid1(VALU_DEP_2)
	v_and_b32_e32 v66, 0x80, v14
	v_cmpx_gt_u64_e32 0x43e00001, v[2:3]
	s_xor_b32 s74, exec_lo, s13
	s_cbranch_execz .LBB6_11191
; %bb.11178:                            ;   in Loop: Header=BB6_10440 Depth=3
	v_mov_b32_e32 v47, 0
	s_mov_b32 s75, exec_lo
	v_cmpx_ne_u32_e32 0, v0
	s_cbranch_execz .LBB6_11190
; %bb.11179:                            ;   in Loop: Header=BB6_10440 Depth=3
	v_bfe_u32 v67, v0, 23, 8
	v_and_b32_e32 v2, 0x7fffff, v0
	s_delay_alu instid0(VALU_DEP_2) | instskip(SKIP_2) | instid1(VALU_DEP_4)
	v_cmp_gt_u32_e64 s13, 0x7a, v67
	v_sub_nc_u32_e32 v0, 0x79, v67
	v_cmp_eq_u32_e32 vcc_lo, 0, v67
	v_or_b32_e32 v14, 0x800000, v2
	s_delay_alu instid0(VALU_DEP_1) | instskip(NEXT) | instid1(VALU_DEP_1)
	v_dual_cndmask_b32 v0, 0, v0, s13 :: v_dual_cndmask_b32 v2, v14, v2, vcc_lo
	v_cndmask_b32_e64 v0, v0, 0x78, vcc_lo
	s_delay_alu instid0(VALU_DEP_1) | instskip(NEXT) | instid1(VALU_DEP_1)
	v_dual_add_nc_u32 v14, 20, v0 :: v_dual_add_nc_u32 v16, 19, v0
	v_lshlrev_b64_e64 v[14:15], v14, -1
	s_delay_alu instid0(VALU_DEP_2) | instskip(NEXT) | instid1(VALU_DEP_2)
	v_lshlrev_b64_e64 v[16:17], v16, 1
	v_bfi_b32 v15, v15, 0, 0
	s_delay_alu instid0(VALU_DEP_3) | instskip(NEXT) | instid1(VALU_DEP_1)
	v_bfi_b32 v14, v14, 0, v2
	v_cmp_eq_u64_e64 s13, v[14:15], v[16:17]
	v_lshrrev_b64 v[14:15], v0, v[2:3]
	s_delay_alu instid0(VALU_DEP_1)
	v_mov_b64_e32 v[16:17], v[14:15]
	s_and_saveexec_b32 s76, s13
; %bb.11180:                            ;   in Loop: Header=BB6_10440 Depth=3
	v_bfe_u32 v2, v14, 20, 1
	s_delay_alu instid0(VALU_DEP_1) | instskip(NEXT) | instid1(VALU_DEP_1)
	v_add_nc_u64_e32 v[16:17], v[14:15], v[2:3]
	v_add_nc_u64_e32 v[16:17], -1, v[16:17]
; %bb.11181:                            ;   in Loop: Header=BB6_10440 Depth=3
	s_or_b32 exec_lo, exec_lo, s76
	v_add_nc_u32_e32 v2, 0xffffff81, v67
	v_lshrrev_b32_e32 v15, 23, v14
	s_mov_b32 s13, exec_lo
	s_delay_alu instid0(VALU_DEP_2) | instskip(NEXT) | instid1(VALU_DEP_1)
	v_cndmask_b32_e64 v2, v2, 0xffffff82, vcc_lo
	v_add3_u32 v17, v0, v2, v15
	v_and_b32_e32 v0, 0xfffff, v16
	s_delay_alu instid0(VALU_DEP_1) | instskip(NEXT) | instid1(VALU_DEP_1)
	v_dual_add_nc_u32 v16, 6, v17 :: v_dual_add_nc_u32 v2, v0, v14
                                        ; implicit-def: $vgpr14_vgpr15
                                        ; implicit-def: $vgpr0
	v_cmpx_ne_u32_e32 0, v16
	s_xor_b32 s13, exec_lo, s13
; %bb.11182:                            ;   in Loop: Header=BB6_10440 Depth=3
	s_delay_alu instid0(VALU_DEP_2) | instskip(SKIP_2) | instid1(VALU_DEP_2)
	v_cmp_lt_u64_e32 vcc_lo, 0xffffff, v[2:3]
	v_add_nc_u32_e32 v0, 7, v17
	v_cndmask_b32_e64 v14, 0, 1, vcc_lo
	v_cndmask_b32_e32 v0, v16, v0, vcc_lo
	s_delay_alu instid0(VALU_DEP_2)
	v_lshrrev_b64 v[14:15], v14, v[2:3]
; %bb.11183:                            ;   in Loop: Header=BB6_10440 Depth=3
	s_and_not1_saveexec_b32 s13, s13
; %bb.11184:                            ;   in Loop: Header=BB6_10440 Depth=3
	v_mov_b64_e32 v[14:15], v[2:3]
	v_bfe_u32 v0, v2, 23, 1
; %bb.11185:                            ;   in Loop: Header=BB6_10440 Depth=3
	s_or_b32 exec_lo, exec_lo, s13
	s_delay_alu instid0(VALU_DEP_2) | instskip(NEXT) | instid1(VALU_DEP_2)
	v_lshrrev_b64 v[14:15], 20, v[14:15]
	v_cmp_gt_i32_e32 vcc_lo, 16, v0
	v_cmp_ne_u32_e64 s13, 0, v0
                                        ; implicit-def: $vgpr47
	s_delay_alu instid0(VALU_DEP_3) | instskip(NEXT) | instid1(VALU_DEP_1)
	v_dual_cndmask_b32 v15, 0, v15 :: v_dual_cndmask_b32 v14, 7, v14
	v_cmp_ne_u64_e32 vcc_lo, 0, v[14:15]
	s_or_b32 s13, s13, vcc_lo
	s_delay_alu instid0(SALU_CYCLE_1) | instskip(NEXT) | instid1(SALU_CYCLE_1)
	s_and_saveexec_b32 s76, s13
	s_xor_b32 s13, exec_lo, s76
; %bb.11186:                            ;   in Loop: Header=BB6_10440 Depth=3
	v_min_i32_e32 v0, 15, v0
	s_delay_alu instid0(VALU_DEP_1) | instskip(NEXT) | instid1(VALU_DEP_1)
	v_lshl_or_b32 v0, v0, 3, v66
                                        ; implicit-def: $vgpr66
	v_and_or_b32 v47, v14, 7, v0
; %bb.11187:                            ;   in Loop: Header=BB6_10440 Depth=3
	s_and_not1_saveexec_b32 s13, s13
; %bb.11188:                            ;   in Loop: Header=BB6_10440 Depth=3
	v_mov_b32_e32 v47, v66
; %bb.11189:                            ;   in Loop: Header=BB6_10440 Depth=3
	s_or_b32 exec_lo, exec_lo, s13
.LBB6_11190:                            ;   in Loop: Header=BB6_10440 Depth=3
	s_delay_alu instid0(SALU_CYCLE_1)
	s_or_b32 exec_lo, exec_lo, s75
                                        ; implicit-def: $vgpr66
.LBB6_11191:                            ;   in Loop: Header=BB6_10440 Depth=3
	s_and_not1_saveexec_b32 s13, s74
; %bb.11192:                            ;   in Loop: Header=BB6_10440 Depth=3
	v_or_b32_e32 v47, 0x7e, v66
; %bb.11193:                            ;   in Loop: Header=BB6_10440 Depth=3
	s_or_b32 exec_lo, exec_lo, s13
                                        ; implicit-def: $vgpr0
.LBB6_11194:                            ;   in Loop: Header=BB6_10440 Depth=3
	s_and_not1_saveexec_b32 s13, s45
; %bb.11195:                            ;   in Loop: Header=BB6_10440 Depth=3
	v_lshrrev_b32_e32 v0, 24, v0
	s_delay_alu instid0(VALU_DEP_1)
	v_or_b32_e32 v47, 0x7f, v0
; %bb.11196:                            ;   in Loop: Header=BB6_10440 Depth=3
	s_or_b32 exec_lo, exec_lo, s13
	v_and_b32_e32 v0, 0xff, v101
	v_dual_mov_b32 v16, 0 :: v_dual_mov_b32 v17, 0
	s_mov_b32 s13, exec_lo
	s_delay_alu instid0(VALU_DEP_2)
	v_cmpx_ne_u16_e32 0, v0
	s_cbranch_execz .LBB6_11204
; %bb.11197:                            ;   in Loop: Header=BB6_10440 Depth=3
	v_bfrev_b32_e32 v17, 1
	s_mov_b32 s45, exec_lo
	v_cmpx_ne_u16_e32 0x80, v0
	s_cbranch_execz .LBB6_11203
; %bb.11198:                            ;   in Loop: Header=BB6_10440 Depth=3
	v_and_b32_e32 v14, 0x7f, v101
	v_mov_b32_e32 v17, 0x7f800001
	s_mov_b32 s74, exec_lo
	s_delay_alu instid0(VALU_DEP_2)
	v_cmpx_ne_u32_e32 0x7f, v14
	s_cbranch_execz .LBB6_11202
; %bb.11199:                            ;   in Loop: Header=BB6_10440 Depth=3
	v_dual_lshrrev_b32 v0, 3, v14 :: v_dual_bitop2_b32 v2, 7, v0 bitop3:0x40
	v_cmp_gt_u32_e32 vcc_lo, 8, v14
	s_delay_alu instid0(VALU_DEP_2)
	v_mov_b64_e32 v[14:15], v[2:3]
	s_and_saveexec_b32 s75, vcc_lo
; %bb.11200:                            ;   in Loop: Header=BB6_10440 Depth=3
	v_clz_i32_u32_e32 v0, v2
	s_delay_alu instid0(VALU_DEP_1) | instskip(NEXT) | instid1(VALU_DEP_1)
	v_min_u32_e32 v0, 32, v0
	v_subrev_nc_u32_e32 v14, 28, v0
	s_delay_alu instid0(VALU_DEP_1) | instskip(NEXT) | instid1(VALU_DEP_1)
	v_lshlrev_b64_e32 v[14:15], v14, v[2:3]
	v_dual_sub_nc_u32 v0, 29, v0 :: v_dual_bitop2_b32 v14, 7, v14 bitop3:0x40
; %bb.11201:                            ;   in Loop: Header=BB6_10440 Depth=3
	s_or_b32 exec_lo, exec_lo, s75
	s_delay_alu instid0(VALU_DEP_1) | instskip(NEXT) | instid1(VALU_DEP_2)
	v_dual_lshlrev_b32 v2, 24, v101 :: v_dual_lshlrev_b32 v14, 20, v14
	v_lshl_add_u32 v0, v0, 23, 0x3c000000
	s_delay_alu instid0(VALU_DEP_2) | instskip(NEXT) | instid1(VALU_DEP_1)
	v_and_b32_e32 v2, 0x80000000, v2
	v_or3_b32 v17, v14, v2, v0
.LBB6_11202:                            ;   in Loop: Header=BB6_10440 Depth=3
	s_or_b32 exec_lo, exec_lo, s74
.LBB6_11203:                            ;   in Loop: Header=BB6_10440 Depth=3
	s_delay_alu instid0(SALU_CYCLE_1)
	s_or_b32 exec_lo, exec_lo, s45
.LBB6_11204:                            ;   in Loop: Header=BB6_10440 Depth=3
	s_delay_alu instid0(SALU_CYCLE_1) | instskip(SKIP_3) | instid1(VALU_DEP_1)
	s_or_b32 exec_lo, exec_lo, s13
	s_wait_loadcnt_dscnt 0xa0a
	v_and_b32_e32 v0, 0xff, v100
	s_mov_b32 s13, exec_lo
	v_cmpx_ne_u16_e32 0, v0
	s_cbranch_execz .LBB6_11212
; %bb.11205:                            ;   in Loop: Header=BB6_10440 Depth=3
	v_bfrev_b32_e32 v16, 1
	s_mov_b32 s45, exec_lo
	v_cmpx_ne_u16_e32 0x80, v0
	s_cbranch_execz .LBB6_11211
; %bb.11206:                            ;   in Loop: Header=BB6_10440 Depth=3
	v_and_b32_e32 v14, 0x7f, v100
	v_mov_b32_e32 v16, 0x7f800001
	s_mov_b32 s74, exec_lo
	s_delay_alu instid0(VALU_DEP_2)
	v_cmpx_ne_u32_e32 0x7f, v14
	s_cbranch_execz .LBB6_11210
; %bb.11207:                            ;   in Loop: Header=BB6_10440 Depth=3
	v_dual_lshrrev_b32 v0, 3, v14 :: v_dual_bitop2_b32 v2, 7, v0 bitop3:0x40
	v_cmp_gt_u32_e32 vcc_lo, 8, v14
	s_delay_alu instid0(VALU_DEP_2)
	v_mov_b64_e32 v[14:15], v[2:3]
	s_and_saveexec_b32 s75, vcc_lo
; %bb.11208:                            ;   in Loop: Header=BB6_10440 Depth=3
	v_clz_i32_u32_e32 v0, v2
	s_delay_alu instid0(VALU_DEP_1) | instskip(NEXT) | instid1(VALU_DEP_1)
	v_min_u32_e32 v0, 32, v0
	v_subrev_nc_u32_e32 v14, 28, v0
	s_delay_alu instid0(VALU_DEP_1) | instskip(NEXT) | instid1(VALU_DEP_1)
	v_lshlrev_b64_e32 v[14:15], v14, v[2:3]
	v_dual_sub_nc_u32 v0, 29, v0 :: v_dual_bitop2_b32 v14, 7, v14 bitop3:0x40
; %bb.11209:                            ;   in Loop: Header=BB6_10440 Depth=3
	s_or_b32 exec_lo, exec_lo, s75
	s_delay_alu instid0(VALU_DEP_1) | instskip(NEXT) | instid1(VALU_DEP_2)
	v_dual_lshlrev_b32 v2, 24, v100 :: v_dual_lshlrev_b32 v14, 20, v14
	v_lshl_add_u32 v0, v0, 23, 0x3c000000
	s_delay_alu instid0(VALU_DEP_2) | instskip(NEXT) | instid1(VALU_DEP_1)
	v_and_b32_e32 v2, 0x80000000, v2
	v_or3_b32 v16, v14, v2, v0
.LBB6_11210:                            ;   in Loop: Header=BB6_10440 Depth=3
	s_or_b32 exec_lo, exec_lo, s74
.LBB6_11211:                            ;   in Loop: Header=BB6_10440 Depth=3
	s_delay_alu instid0(SALU_CYCLE_1)
	s_or_b32 exec_lo, exec_lo, s45
.LBB6_11212:                            ;   in Loop: Header=BB6_10440 Depth=3
	s_delay_alu instid0(SALU_CYCLE_1) | instskip(NEXT) | instid1(VALU_DEP_1)
	s_or_b32 exec_lo, exec_lo, s13
	v_add_f32_e32 v0, v17, v16
                                        ; implicit-def: $vgpr100
	s_mov_b32 s13, exec_lo
	s_delay_alu instid0(VALU_DEP_1) | instskip(NEXT) | instid1(VALU_DEP_1)
	v_and_b32_e32 v2, 0x7f800000, v0
	v_cmpx_ne_u64_e32 0x7f800000, v[2:3]
	s_xor_b32 s45, exec_lo, s13
	s_cbranch_execz .LBB6_11230
; %bb.11213:                            ;   in Loop: Header=BB6_10440 Depth=3
	v_lshrrev_b32_e32 v14, 24, v0
	v_and_b32_e32 v2, 0x7fffffff, v0
                                        ; implicit-def: $vgpr100
	s_mov_b32 s13, exec_lo
	s_delay_alu instid0(VALU_DEP_2) | instskip(NEXT) | instid1(VALU_DEP_2)
	v_and_b32_e32 v66, 0x80, v14
	v_cmpx_gt_u64_e32 0x43e00001, v[2:3]
	s_xor_b32 s74, exec_lo, s13
	s_cbranch_execz .LBB6_11227
; %bb.11214:                            ;   in Loop: Header=BB6_10440 Depth=3
	v_mov_b32_e32 v100, 0
	s_mov_b32 s75, exec_lo
	v_cmpx_ne_u32_e32 0, v0
	s_cbranch_execz .LBB6_11226
; %bb.11215:                            ;   in Loop: Header=BB6_10440 Depth=3
	v_bfe_u32 v67, v0, 23, 8
	v_and_b32_e32 v2, 0x7fffff, v0
	s_delay_alu instid0(VALU_DEP_2) | instskip(SKIP_2) | instid1(VALU_DEP_4)
	v_cmp_gt_u32_e64 s13, 0x7a, v67
	v_sub_nc_u32_e32 v0, 0x79, v67
	v_cmp_eq_u32_e32 vcc_lo, 0, v67
	v_or_b32_e32 v14, 0x800000, v2
	s_delay_alu instid0(VALU_DEP_1) | instskip(NEXT) | instid1(VALU_DEP_1)
	v_dual_cndmask_b32 v0, 0, v0, s13 :: v_dual_cndmask_b32 v2, v14, v2, vcc_lo
	v_cndmask_b32_e64 v0, v0, 0x78, vcc_lo
	s_delay_alu instid0(VALU_DEP_1) | instskip(NEXT) | instid1(VALU_DEP_1)
	v_dual_add_nc_u32 v14, 20, v0 :: v_dual_add_nc_u32 v16, 19, v0
	v_lshlrev_b64_e64 v[14:15], v14, -1
	s_delay_alu instid0(VALU_DEP_2) | instskip(NEXT) | instid1(VALU_DEP_2)
	v_lshlrev_b64_e64 v[16:17], v16, 1
	v_bfi_b32 v15, v15, 0, 0
	s_delay_alu instid0(VALU_DEP_3) | instskip(NEXT) | instid1(VALU_DEP_1)
	v_bfi_b32 v14, v14, 0, v2
	v_cmp_eq_u64_e64 s13, v[14:15], v[16:17]
	v_lshrrev_b64 v[14:15], v0, v[2:3]
	s_delay_alu instid0(VALU_DEP_1)
	v_mov_b64_e32 v[16:17], v[14:15]
	s_and_saveexec_b32 s76, s13
; %bb.11216:                            ;   in Loop: Header=BB6_10440 Depth=3
	v_bfe_u32 v2, v14, 20, 1
	s_delay_alu instid0(VALU_DEP_1) | instskip(NEXT) | instid1(VALU_DEP_1)
	v_add_nc_u64_e32 v[16:17], v[14:15], v[2:3]
	v_add_nc_u64_e32 v[16:17], -1, v[16:17]
; %bb.11217:                            ;   in Loop: Header=BB6_10440 Depth=3
	s_or_b32 exec_lo, exec_lo, s76
	v_add_nc_u32_e32 v2, 0xffffff81, v67
	v_lshrrev_b32_e32 v15, 23, v14
	s_mov_b32 s13, exec_lo
	s_delay_alu instid0(VALU_DEP_2) | instskip(NEXT) | instid1(VALU_DEP_1)
	v_cndmask_b32_e64 v2, v2, 0xffffff82, vcc_lo
	v_add3_u32 v17, v0, v2, v15
	v_and_b32_e32 v0, 0xfffff, v16
	s_delay_alu instid0(VALU_DEP_1) | instskip(NEXT) | instid1(VALU_DEP_1)
	v_dual_add_nc_u32 v16, 6, v17 :: v_dual_add_nc_u32 v2, v0, v14
                                        ; implicit-def: $vgpr14_vgpr15
                                        ; implicit-def: $vgpr0
	v_cmpx_ne_u32_e32 0, v16
	s_xor_b32 s13, exec_lo, s13
; %bb.11218:                            ;   in Loop: Header=BB6_10440 Depth=3
	s_delay_alu instid0(VALU_DEP_2) | instskip(SKIP_2) | instid1(VALU_DEP_2)
	v_cmp_lt_u64_e32 vcc_lo, 0xffffff, v[2:3]
	v_add_nc_u32_e32 v0, 7, v17
	v_cndmask_b32_e64 v14, 0, 1, vcc_lo
	v_cndmask_b32_e32 v0, v16, v0, vcc_lo
	s_delay_alu instid0(VALU_DEP_2)
	v_lshrrev_b64 v[14:15], v14, v[2:3]
; %bb.11219:                            ;   in Loop: Header=BB6_10440 Depth=3
	s_and_not1_saveexec_b32 s13, s13
; %bb.11220:                            ;   in Loop: Header=BB6_10440 Depth=3
	v_mov_b64_e32 v[14:15], v[2:3]
	v_bfe_u32 v0, v2, 23, 1
; %bb.11221:                            ;   in Loop: Header=BB6_10440 Depth=3
	s_or_b32 exec_lo, exec_lo, s13
	s_delay_alu instid0(VALU_DEP_2) | instskip(NEXT) | instid1(VALU_DEP_2)
	v_lshrrev_b64 v[14:15], 20, v[14:15]
	v_cmp_gt_i32_e32 vcc_lo, 16, v0
	v_cmp_ne_u32_e64 s13, 0, v0
                                        ; implicit-def: $vgpr100
	s_delay_alu instid0(VALU_DEP_3) | instskip(NEXT) | instid1(VALU_DEP_1)
	v_dual_cndmask_b32 v15, 0, v15 :: v_dual_cndmask_b32 v14, 7, v14
	v_cmp_ne_u64_e32 vcc_lo, 0, v[14:15]
	s_or_b32 s13, s13, vcc_lo
	s_delay_alu instid0(SALU_CYCLE_1) | instskip(NEXT) | instid1(SALU_CYCLE_1)
	s_and_saveexec_b32 s76, s13
	s_xor_b32 s13, exec_lo, s76
; %bb.11222:                            ;   in Loop: Header=BB6_10440 Depth=3
	v_min_i32_e32 v0, 15, v0
	s_delay_alu instid0(VALU_DEP_1) | instskip(NEXT) | instid1(VALU_DEP_1)
	v_lshl_or_b32 v0, v0, 3, v66
                                        ; implicit-def: $vgpr66
	v_and_or_b32 v100, v14, 7, v0
; %bb.11223:                            ;   in Loop: Header=BB6_10440 Depth=3
	s_and_not1_saveexec_b32 s13, s13
; %bb.11224:                            ;   in Loop: Header=BB6_10440 Depth=3
	v_mov_b32_e32 v100, v66
; %bb.11225:                            ;   in Loop: Header=BB6_10440 Depth=3
	s_or_b32 exec_lo, exec_lo, s13
.LBB6_11226:                            ;   in Loop: Header=BB6_10440 Depth=3
	s_delay_alu instid0(SALU_CYCLE_1)
	s_or_b32 exec_lo, exec_lo, s75
                                        ; implicit-def: $vgpr66
.LBB6_11227:                            ;   in Loop: Header=BB6_10440 Depth=3
	s_and_not1_saveexec_b32 s13, s74
; %bb.11228:                            ;   in Loop: Header=BB6_10440 Depth=3
	v_or_b32_e32 v100, 0x7e, v66
; %bb.11229:                            ;   in Loop: Header=BB6_10440 Depth=3
	s_or_b32 exec_lo, exec_lo, s13
                                        ; implicit-def: $vgpr0
.LBB6_11230:                            ;   in Loop: Header=BB6_10440 Depth=3
	s_and_not1_saveexec_b32 s13, s45
; %bb.11231:                            ;   in Loop: Header=BB6_10440 Depth=3
	v_lshrrev_b32_e32 v0, 24, v0
	s_delay_alu instid0(VALU_DEP_1)
	v_or_b32_e32 v100, 0x7f, v0
; %bb.11232:                            ;   in Loop: Header=BB6_10440 Depth=3
	s_or_b32 exec_lo, exec_lo, s13
	v_and_b32_e32 v0, 0xff, v98
	v_dual_mov_b32 v16, 0 :: v_dual_mov_b32 v17, 0
	s_mov_b32 s13, exec_lo
	s_delay_alu instid0(VALU_DEP_2)
	v_cmpx_ne_u16_e32 0, v0
	s_cbranch_execz .LBB6_11240
; %bb.11233:                            ;   in Loop: Header=BB6_10440 Depth=3
	v_bfrev_b32_e32 v17, 1
	s_mov_b32 s45, exec_lo
	v_cmpx_ne_u16_e32 0x80, v0
	s_cbranch_execz .LBB6_11239
; %bb.11234:                            ;   in Loop: Header=BB6_10440 Depth=3
	v_and_b32_e32 v14, 0x7f, v98
	v_mov_b32_e32 v17, 0x7f800001
	s_mov_b32 s74, exec_lo
	s_delay_alu instid0(VALU_DEP_2)
	v_cmpx_ne_u32_e32 0x7f, v14
	s_cbranch_execz .LBB6_11238
; %bb.11235:                            ;   in Loop: Header=BB6_10440 Depth=3
	v_dual_lshrrev_b32 v0, 3, v14 :: v_dual_bitop2_b32 v2, 7, v0 bitop3:0x40
	v_cmp_gt_u32_e32 vcc_lo, 8, v14
	s_delay_alu instid0(VALU_DEP_2)
	v_mov_b64_e32 v[14:15], v[2:3]
	s_and_saveexec_b32 s75, vcc_lo
; %bb.11236:                            ;   in Loop: Header=BB6_10440 Depth=3
	v_clz_i32_u32_e32 v0, v2
	s_delay_alu instid0(VALU_DEP_1) | instskip(NEXT) | instid1(VALU_DEP_1)
	v_min_u32_e32 v0, 32, v0
	v_subrev_nc_u32_e32 v14, 28, v0
	s_delay_alu instid0(VALU_DEP_1) | instskip(NEXT) | instid1(VALU_DEP_1)
	v_lshlrev_b64_e32 v[14:15], v14, v[2:3]
	v_dual_sub_nc_u32 v0, 29, v0 :: v_dual_bitop2_b32 v14, 7, v14 bitop3:0x40
; %bb.11237:                            ;   in Loop: Header=BB6_10440 Depth=3
	s_or_b32 exec_lo, exec_lo, s75
	v_lshlrev_b32_e32 v2, 24, v98
	s_delay_alu instid0(VALU_DEP_2) | instskip(NEXT) | instid1(VALU_DEP_3)
	v_lshlrev_b32_e32 v14, 20, v14
	v_lshl_add_u32 v0, v0, 23, 0x3c000000
	s_delay_alu instid0(VALU_DEP_3) | instskip(NEXT) | instid1(VALU_DEP_1)
	v_and_b32_e32 v2, 0x80000000, v2
	v_or3_b32 v17, v14, v2, v0
.LBB6_11238:                            ;   in Loop: Header=BB6_10440 Depth=3
	s_or_b32 exec_lo, exec_lo, s74
.LBB6_11239:                            ;   in Loop: Header=BB6_10440 Depth=3
	s_delay_alu instid0(SALU_CYCLE_1)
	s_or_b32 exec_lo, exec_lo, s45
.LBB6_11240:                            ;   in Loop: Header=BB6_10440 Depth=3
	s_delay_alu instid0(SALU_CYCLE_1) | instskip(SKIP_3) | instid1(VALU_DEP_1)
	s_or_b32 exec_lo, exec_lo, s13
	s_wait_loadcnt_dscnt 0x909
	v_and_b32_e32 v0, 0xff, v97
	s_mov_b32 s13, exec_lo
	v_cmpx_ne_u16_e32 0, v0
	s_cbranch_execz .LBB6_11248
; %bb.11241:                            ;   in Loop: Header=BB6_10440 Depth=3
	v_bfrev_b32_e32 v16, 1
	s_mov_b32 s45, exec_lo
	v_cmpx_ne_u16_e32 0x80, v0
	s_cbranch_execz .LBB6_11247
; %bb.11242:                            ;   in Loop: Header=BB6_10440 Depth=3
	v_and_b32_e32 v14, 0x7f, v97
	v_mov_b32_e32 v16, 0x7f800001
	s_mov_b32 s74, exec_lo
	s_delay_alu instid0(VALU_DEP_2)
	v_cmpx_ne_u32_e32 0x7f, v14
	s_cbranch_execz .LBB6_11246
; %bb.11243:                            ;   in Loop: Header=BB6_10440 Depth=3
	v_dual_lshrrev_b32 v0, 3, v14 :: v_dual_bitop2_b32 v2, 7, v0 bitop3:0x40
	v_cmp_gt_u32_e32 vcc_lo, 8, v14
	s_delay_alu instid0(VALU_DEP_2)
	v_mov_b64_e32 v[14:15], v[2:3]
	s_and_saveexec_b32 s75, vcc_lo
; %bb.11244:                            ;   in Loop: Header=BB6_10440 Depth=3
	v_clz_i32_u32_e32 v0, v2
	s_delay_alu instid0(VALU_DEP_1) | instskip(NEXT) | instid1(VALU_DEP_1)
	v_min_u32_e32 v0, 32, v0
	v_subrev_nc_u32_e32 v14, 28, v0
	s_delay_alu instid0(VALU_DEP_1) | instskip(NEXT) | instid1(VALU_DEP_1)
	v_lshlrev_b64_e32 v[14:15], v14, v[2:3]
	v_dual_sub_nc_u32 v0, 29, v0 :: v_dual_bitop2_b32 v14, 7, v14 bitop3:0x40
; %bb.11245:                            ;   in Loop: Header=BB6_10440 Depth=3
	s_or_b32 exec_lo, exec_lo, s75
	s_delay_alu instid0(VALU_DEP_1) | instskip(NEXT) | instid1(VALU_DEP_2)
	v_dual_lshlrev_b32 v2, 24, v97 :: v_dual_lshlrev_b32 v14, 20, v14
	v_lshl_add_u32 v0, v0, 23, 0x3c000000
	s_delay_alu instid0(VALU_DEP_2) | instskip(NEXT) | instid1(VALU_DEP_1)
	v_and_b32_e32 v2, 0x80000000, v2
	v_or3_b32 v16, v14, v2, v0
.LBB6_11246:                            ;   in Loop: Header=BB6_10440 Depth=3
	s_or_b32 exec_lo, exec_lo, s74
.LBB6_11247:                            ;   in Loop: Header=BB6_10440 Depth=3
	s_delay_alu instid0(SALU_CYCLE_1)
	s_or_b32 exec_lo, exec_lo, s45
.LBB6_11248:                            ;   in Loop: Header=BB6_10440 Depth=3
	s_delay_alu instid0(SALU_CYCLE_1) | instskip(NEXT) | instid1(VALU_DEP_1)
	s_or_b32 exec_lo, exec_lo, s13
	v_add_f32_e32 v0, v17, v16
                                        ; implicit-def: $vgpr97
	s_mov_b32 s13, exec_lo
	s_delay_alu instid0(VALU_DEP_1) | instskip(NEXT) | instid1(VALU_DEP_1)
	v_and_b32_e32 v2, 0x7f800000, v0
	v_cmpx_ne_u64_e32 0x7f800000, v[2:3]
	s_xor_b32 s45, exec_lo, s13
	s_cbranch_execz .LBB6_11266
; %bb.11249:                            ;   in Loop: Header=BB6_10440 Depth=3
	v_lshrrev_b32_e32 v14, 24, v0
	v_and_b32_e32 v2, 0x7fffffff, v0
                                        ; implicit-def: $vgpr97
	s_mov_b32 s13, exec_lo
	s_delay_alu instid0(VALU_DEP_2) | instskip(NEXT) | instid1(VALU_DEP_2)
	v_and_b32_e32 v66, 0x80, v14
	v_cmpx_gt_u64_e32 0x43e00001, v[2:3]
	s_xor_b32 s74, exec_lo, s13
	s_cbranch_execz .LBB6_11263
; %bb.11250:                            ;   in Loop: Header=BB6_10440 Depth=3
	v_mov_b32_e32 v97, 0
	s_mov_b32 s75, exec_lo
	v_cmpx_ne_u32_e32 0, v0
	s_cbranch_execz .LBB6_11262
; %bb.11251:                            ;   in Loop: Header=BB6_10440 Depth=3
	v_bfe_u32 v67, v0, 23, 8
	v_and_b32_e32 v2, 0x7fffff, v0
	s_delay_alu instid0(VALU_DEP_2) | instskip(SKIP_2) | instid1(VALU_DEP_4)
	v_cmp_gt_u32_e64 s13, 0x7a, v67
	v_sub_nc_u32_e32 v0, 0x79, v67
	v_cmp_eq_u32_e32 vcc_lo, 0, v67
	v_or_b32_e32 v14, 0x800000, v2
	s_delay_alu instid0(VALU_DEP_1) | instskip(NEXT) | instid1(VALU_DEP_1)
	v_dual_cndmask_b32 v0, 0, v0, s13 :: v_dual_cndmask_b32 v2, v14, v2, vcc_lo
	v_cndmask_b32_e64 v0, v0, 0x78, vcc_lo
	s_delay_alu instid0(VALU_DEP_1) | instskip(NEXT) | instid1(VALU_DEP_1)
	v_dual_add_nc_u32 v14, 20, v0 :: v_dual_add_nc_u32 v16, 19, v0
	v_lshlrev_b64_e64 v[14:15], v14, -1
	s_delay_alu instid0(VALU_DEP_2) | instskip(NEXT) | instid1(VALU_DEP_2)
	v_lshlrev_b64_e64 v[16:17], v16, 1
	v_bfi_b32 v15, v15, 0, 0
	s_delay_alu instid0(VALU_DEP_3) | instskip(NEXT) | instid1(VALU_DEP_1)
	v_bfi_b32 v14, v14, 0, v2
	v_cmp_eq_u64_e64 s13, v[14:15], v[16:17]
	v_lshrrev_b64 v[14:15], v0, v[2:3]
	s_delay_alu instid0(VALU_DEP_1)
	v_mov_b64_e32 v[16:17], v[14:15]
	s_and_saveexec_b32 s76, s13
; %bb.11252:                            ;   in Loop: Header=BB6_10440 Depth=3
	v_bfe_u32 v2, v14, 20, 1
	s_delay_alu instid0(VALU_DEP_1) | instskip(NEXT) | instid1(VALU_DEP_1)
	v_add_nc_u64_e32 v[16:17], v[14:15], v[2:3]
	v_add_nc_u64_e32 v[16:17], -1, v[16:17]
; %bb.11253:                            ;   in Loop: Header=BB6_10440 Depth=3
	s_or_b32 exec_lo, exec_lo, s76
	v_add_nc_u32_e32 v2, 0xffffff81, v67
	v_lshrrev_b32_e32 v15, 23, v14
	s_mov_b32 s13, exec_lo
	s_delay_alu instid0(VALU_DEP_2) | instskip(NEXT) | instid1(VALU_DEP_1)
	v_cndmask_b32_e64 v2, v2, 0xffffff82, vcc_lo
	v_add3_u32 v17, v0, v2, v15
	v_and_b32_e32 v0, 0xfffff, v16
	s_delay_alu instid0(VALU_DEP_1) | instskip(NEXT) | instid1(VALU_DEP_1)
	v_dual_add_nc_u32 v16, 6, v17 :: v_dual_add_nc_u32 v2, v0, v14
                                        ; implicit-def: $vgpr14_vgpr15
                                        ; implicit-def: $vgpr0
	v_cmpx_ne_u32_e32 0, v16
	s_xor_b32 s13, exec_lo, s13
; %bb.11254:                            ;   in Loop: Header=BB6_10440 Depth=3
	s_delay_alu instid0(VALU_DEP_2) | instskip(SKIP_2) | instid1(VALU_DEP_2)
	v_cmp_lt_u64_e32 vcc_lo, 0xffffff, v[2:3]
	v_add_nc_u32_e32 v0, 7, v17
	v_cndmask_b32_e64 v14, 0, 1, vcc_lo
	v_cndmask_b32_e32 v0, v16, v0, vcc_lo
	s_delay_alu instid0(VALU_DEP_2)
	v_lshrrev_b64 v[14:15], v14, v[2:3]
; %bb.11255:                            ;   in Loop: Header=BB6_10440 Depth=3
	s_and_not1_saveexec_b32 s13, s13
; %bb.11256:                            ;   in Loop: Header=BB6_10440 Depth=3
	v_mov_b64_e32 v[14:15], v[2:3]
	v_bfe_u32 v0, v2, 23, 1
; %bb.11257:                            ;   in Loop: Header=BB6_10440 Depth=3
	s_or_b32 exec_lo, exec_lo, s13
	s_delay_alu instid0(VALU_DEP_2) | instskip(NEXT) | instid1(VALU_DEP_2)
	v_lshrrev_b64 v[14:15], 20, v[14:15]
	v_cmp_gt_i32_e32 vcc_lo, 16, v0
	v_cmp_ne_u32_e64 s13, 0, v0
                                        ; implicit-def: $vgpr97
	s_delay_alu instid0(VALU_DEP_3) | instskip(NEXT) | instid1(VALU_DEP_1)
	v_dual_cndmask_b32 v15, 0, v15 :: v_dual_cndmask_b32 v14, 7, v14
	v_cmp_ne_u64_e32 vcc_lo, 0, v[14:15]
	s_or_b32 s13, s13, vcc_lo
	s_delay_alu instid0(SALU_CYCLE_1) | instskip(NEXT) | instid1(SALU_CYCLE_1)
	s_and_saveexec_b32 s76, s13
	s_xor_b32 s13, exec_lo, s76
; %bb.11258:                            ;   in Loop: Header=BB6_10440 Depth=3
	v_min_i32_e32 v0, 15, v0
	s_delay_alu instid0(VALU_DEP_1) | instskip(NEXT) | instid1(VALU_DEP_1)
	v_lshl_or_b32 v0, v0, 3, v66
                                        ; implicit-def: $vgpr66
	v_and_or_b32 v97, v14, 7, v0
; %bb.11259:                            ;   in Loop: Header=BB6_10440 Depth=3
	s_and_not1_saveexec_b32 s13, s13
; %bb.11260:                            ;   in Loop: Header=BB6_10440 Depth=3
	v_mov_b32_e32 v97, v66
; %bb.11261:                            ;   in Loop: Header=BB6_10440 Depth=3
	s_or_b32 exec_lo, exec_lo, s13
.LBB6_11262:                            ;   in Loop: Header=BB6_10440 Depth=3
	s_delay_alu instid0(SALU_CYCLE_1)
	s_or_b32 exec_lo, exec_lo, s75
                                        ; implicit-def: $vgpr66
.LBB6_11263:                            ;   in Loop: Header=BB6_10440 Depth=3
	s_and_not1_saveexec_b32 s13, s74
; %bb.11264:                            ;   in Loop: Header=BB6_10440 Depth=3
	v_or_b32_e32 v97, 0x7e, v66
; %bb.11265:                            ;   in Loop: Header=BB6_10440 Depth=3
	s_or_b32 exec_lo, exec_lo, s13
                                        ; implicit-def: $vgpr0
.LBB6_11266:                            ;   in Loop: Header=BB6_10440 Depth=3
	s_and_not1_saveexec_b32 s13, s45
; %bb.11267:                            ;   in Loop: Header=BB6_10440 Depth=3
	v_lshrrev_b32_e32 v0, 24, v0
	s_delay_alu instid0(VALU_DEP_1)
	v_or_b32_e32 v97, 0x7f, v0
; %bb.11268:                            ;   in Loop: Header=BB6_10440 Depth=3
	s_or_b32 exec_lo, exec_lo, s13
	v_and_b32_e32 v0, 0xff, v55
	v_dual_mov_b32 v16, 0 :: v_dual_mov_b32 v17, 0
	s_mov_b32 s13, exec_lo
	s_delay_alu instid0(VALU_DEP_2)
	v_cmpx_ne_u16_e32 0, v0
	s_cbranch_execz .LBB6_11276
; %bb.11269:                            ;   in Loop: Header=BB6_10440 Depth=3
	v_bfrev_b32_e32 v17, 1
	s_mov_b32 s45, exec_lo
	v_cmpx_ne_u16_e32 0x80, v0
	s_cbranch_execz .LBB6_11275
; %bb.11270:                            ;   in Loop: Header=BB6_10440 Depth=3
	v_and_b32_e32 v14, 0x7f, v55
	v_mov_b32_e32 v17, 0x7f800001
	s_mov_b32 s74, exec_lo
	s_delay_alu instid0(VALU_DEP_2)
	v_cmpx_ne_u32_e32 0x7f, v14
	s_cbranch_execz .LBB6_11274
; %bb.11271:                            ;   in Loop: Header=BB6_10440 Depth=3
	v_dual_lshrrev_b32 v0, 3, v14 :: v_dual_bitop2_b32 v2, 7, v0 bitop3:0x40
	v_cmp_gt_u32_e32 vcc_lo, 8, v14
	s_delay_alu instid0(VALU_DEP_2)
	v_mov_b64_e32 v[14:15], v[2:3]
	s_and_saveexec_b32 s75, vcc_lo
; %bb.11272:                            ;   in Loop: Header=BB6_10440 Depth=3
	v_clz_i32_u32_e32 v0, v2
	s_delay_alu instid0(VALU_DEP_1) | instskip(NEXT) | instid1(VALU_DEP_1)
	v_min_u32_e32 v0, 32, v0
	v_subrev_nc_u32_e32 v14, 28, v0
	s_delay_alu instid0(VALU_DEP_1) | instskip(NEXT) | instid1(VALU_DEP_1)
	v_lshlrev_b64_e32 v[14:15], v14, v[2:3]
	v_dual_sub_nc_u32 v0, 29, v0 :: v_dual_bitop2_b32 v14, 7, v14 bitop3:0x40
; %bb.11273:                            ;   in Loop: Header=BB6_10440 Depth=3
	s_or_b32 exec_lo, exec_lo, s75
	s_delay_alu instid0(VALU_DEP_1) | instskip(NEXT) | instid1(VALU_DEP_2)
	v_dual_lshlrev_b32 v2, 24, v55 :: v_dual_lshlrev_b32 v14, 20, v14
	v_lshl_add_u32 v0, v0, 23, 0x3c000000
	s_delay_alu instid0(VALU_DEP_2) | instskip(NEXT) | instid1(VALU_DEP_1)
	v_and_b32_e32 v2, 0x80000000, v2
	v_or3_b32 v17, v14, v2, v0
.LBB6_11274:                            ;   in Loop: Header=BB6_10440 Depth=3
	s_or_b32 exec_lo, exec_lo, s74
.LBB6_11275:                            ;   in Loop: Header=BB6_10440 Depth=3
	s_delay_alu instid0(SALU_CYCLE_1)
	s_or_b32 exec_lo, exec_lo, s45
.LBB6_11276:                            ;   in Loop: Header=BB6_10440 Depth=3
	s_delay_alu instid0(SALU_CYCLE_1) | instskip(SKIP_3) | instid1(VALU_DEP_1)
	s_or_b32 exec_lo, exec_lo, s13
	s_wait_loadcnt_dscnt 0x808
	v_and_b32_e32 v0, 0xff, v54
	s_mov_b32 s13, exec_lo
	v_cmpx_ne_u16_e32 0, v0
	s_cbranch_execz .LBB6_11284
; %bb.11277:                            ;   in Loop: Header=BB6_10440 Depth=3
	v_bfrev_b32_e32 v16, 1
	s_mov_b32 s45, exec_lo
	v_cmpx_ne_u16_e32 0x80, v0
	s_cbranch_execz .LBB6_11283
; %bb.11278:                            ;   in Loop: Header=BB6_10440 Depth=3
	v_and_b32_e32 v14, 0x7f, v54
	v_mov_b32_e32 v16, 0x7f800001
	s_mov_b32 s74, exec_lo
	s_delay_alu instid0(VALU_DEP_2)
	v_cmpx_ne_u32_e32 0x7f, v14
	s_cbranch_execz .LBB6_11282
; %bb.11279:                            ;   in Loop: Header=BB6_10440 Depth=3
	v_dual_lshrrev_b32 v0, 3, v14 :: v_dual_bitop2_b32 v2, 7, v0 bitop3:0x40
	v_cmp_gt_u32_e32 vcc_lo, 8, v14
	s_delay_alu instid0(VALU_DEP_2)
	v_mov_b64_e32 v[14:15], v[2:3]
	s_and_saveexec_b32 s75, vcc_lo
; %bb.11280:                            ;   in Loop: Header=BB6_10440 Depth=3
	v_clz_i32_u32_e32 v0, v2
	s_delay_alu instid0(VALU_DEP_1) | instskip(NEXT) | instid1(VALU_DEP_1)
	v_min_u32_e32 v0, 32, v0
	v_subrev_nc_u32_e32 v14, 28, v0
	s_delay_alu instid0(VALU_DEP_1) | instskip(NEXT) | instid1(VALU_DEP_1)
	v_lshlrev_b64_e32 v[14:15], v14, v[2:3]
	v_dual_sub_nc_u32 v0, 29, v0 :: v_dual_bitop2_b32 v14, 7, v14 bitop3:0x40
; %bb.11281:                            ;   in Loop: Header=BB6_10440 Depth=3
	s_or_b32 exec_lo, exec_lo, s75
	v_lshlrev_b32_e32 v2, 24, v54
	s_delay_alu instid0(VALU_DEP_2) | instskip(NEXT) | instid1(VALU_DEP_3)
	v_lshlrev_b32_e32 v14, 20, v14
	v_lshl_add_u32 v0, v0, 23, 0x3c000000
	s_delay_alu instid0(VALU_DEP_3) | instskip(NEXT) | instid1(VALU_DEP_1)
	v_and_b32_e32 v2, 0x80000000, v2
	v_or3_b32 v16, v14, v2, v0
.LBB6_11282:                            ;   in Loop: Header=BB6_10440 Depth=3
	s_or_b32 exec_lo, exec_lo, s74
.LBB6_11283:                            ;   in Loop: Header=BB6_10440 Depth=3
	s_delay_alu instid0(SALU_CYCLE_1)
	s_or_b32 exec_lo, exec_lo, s45
.LBB6_11284:                            ;   in Loop: Header=BB6_10440 Depth=3
	s_delay_alu instid0(SALU_CYCLE_1) | instskip(NEXT) | instid1(VALU_DEP_1)
	s_or_b32 exec_lo, exec_lo, s13
	v_add_f32_e32 v0, v17, v16
                                        ; implicit-def: $vgpr54
	s_mov_b32 s13, exec_lo
	s_delay_alu instid0(VALU_DEP_1) | instskip(NEXT) | instid1(VALU_DEP_1)
	v_and_b32_e32 v2, 0x7f800000, v0
	v_cmpx_ne_u64_e32 0x7f800000, v[2:3]
	s_xor_b32 s45, exec_lo, s13
	s_cbranch_execz .LBB6_11302
; %bb.11285:                            ;   in Loop: Header=BB6_10440 Depth=3
	v_lshrrev_b32_e32 v14, 24, v0
	v_and_b32_e32 v2, 0x7fffffff, v0
                                        ; implicit-def: $vgpr54
	s_mov_b32 s13, exec_lo
	s_delay_alu instid0(VALU_DEP_2) | instskip(NEXT) | instid1(VALU_DEP_2)
	v_and_b32_e32 v55, 0x80, v14
	v_cmpx_gt_u64_e32 0x43e00001, v[2:3]
	s_xor_b32 s74, exec_lo, s13
	s_cbranch_execz .LBB6_11299
; %bb.11286:                            ;   in Loop: Header=BB6_10440 Depth=3
	v_mov_b32_e32 v54, 0
	s_mov_b32 s75, exec_lo
	v_cmpx_ne_u32_e32 0, v0
	s_cbranch_execz .LBB6_11298
; %bb.11287:                            ;   in Loop: Header=BB6_10440 Depth=3
	v_bfe_u32 v54, v0, 23, 8
	v_and_b32_e32 v2, 0x7fffff, v0
	s_delay_alu instid0(VALU_DEP_2) | instskip(SKIP_2) | instid1(VALU_DEP_4)
	v_cmp_gt_u32_e64 s13, 0x7a, v54
	v_sub_nc_u32_e32 v0, 0x79, v54
	v_cmp_eq_u32_e32 vcc_lo, 0, v54
	v_or_b32_e32 v14, 0x800000, v2
	s_delay_alu instid0(VALU_DEP_1) | instskip(NEXT) | instid1(VALU_DEP_1)
	v_dual_cndmask_b32 v0, 0, v0, s13 :: v_dual_cndmask_b32 v2, v14, v2, vcc_lo
	v_cndmask_b32_e64 v0, v0, 0x78, vcc_lo
	s_delay_alu instid0(VALU_DEP_1) | instskip(NEXT) | instid1(VALU_DEP_1)
	v_dual_add_nc_u32 v14, 20, v0 :: v_dual_add_nc_u32 v16, 19, v0
	v_lshlrev_b64_e64 v[14:15], v14, -1
	s_delay_alu instid0(VALU_DEP_2) | instskip(NEXT) | instid1(VALU_DEP_2)
	v_lshlrev_b64_e64 v[16:17], v16, 1
	v_bfi_b32 v15, v15, 0, 0
	s_delay_alu instid0(VALU_DEP_3) | instskip(NEXT) | instid1(VALU_DEP_1)
	v_bfi_b32 v14, v14, 0, v2
	v_cmp_eq_u64_e64 s13, v[14:15], v[16:17]
	v_lshrrev_b64 v[14:15], v0, v[2:3]
	s_delay_alu instid0(VALU_DEP_1)
	v_mov_b64_e32 v[16:17], v[14:15]
	s_and_saveexec_b32 s76, s13
; %bb.11288:                            ;   in Loop: Header=BB6_10440 Depth=3
	v_bfe_u32 v2, v14, 20, 1
	s_delay_alu instid0(VALU_DEP_1) | instskip(NEXT) | instid1(VALU_DEP_1)
	v_add_nc_u64_e32 v[16:17], v[14:15], v[2:3]
	v_add_nc_u64_e32 v[16:17], -1, v[16:17]
; %bb.11289:                            ;   in Loop: Header=BB6_10440 Depth=3
	s_or_b32 exec_lo, exec_lo, s76
	v_add_nc_u32_e32 v2, 0xffffff81, v54
	v_lshrrev_b32_e32 v15, 23, v14
	s_mov_b32 s13, exec_lo
	s_delay_alu instid0(VALU_DEP_2) | instskip(NEXT) | instid1(VALU_DEP_1)
	v_cndmask_b32_e64 v2, v2, 0xffffff82, vcc_lo
	v_add3_u32 v17, v0, v2, v15
	v_and_b32_e32 v0, 0xfffff, v16
	s_delay_alu instid0(VALU_DEP_1) | instskip(NEXT) | instid1(VALU_DEP_1)
	v_dual_add_nc_u32 v16, 6, v17 :: v_dual_add_nc_u32 v2, v0, v14
                                        ; implicit-def: $vgpr14_vgpr15
                                        ; implicit-def: $vgpr0
	v_cmpx_ne_u32_e32 0, v16
	s_xor_b32 s13, exec_lo, s13
; %bb.11290:                            ;   in Loop: Header=BB6_10440 Depth=3
	s_delay_alu instid0(VALU_DEP_2) | instskip(SKIP_2) | instid1(VALU_DEP_2)
	v_cmp_lt_u64_e32 vcc_lo, 0xffffff, v[2:3]
	v_add_nc_u32_e32 v0, 7, v17
	v_cndmask_b32_e64 v14, 0, 1, vcc_lo
	v_cndmask_b32_e32 v0, v16, v0, vcc_lo
	s_delay_alu instid0(VALU_DEP_2)
	v_lshrrev_b64 v[14:15], v14, v[2:3]
; %bb.11291:                            ;   in Loop: Header=BB6_10440 Depth=3
	s_and_not1_saveexec_b32 s13, s13
; %bb.11292:                            ;   in Loop: Header=BB6_10440 Depth=3
	v_mov_b64_e32 v[14:15], v[2:3]
	v_bfe_u32 v0, v2, 23, 1
; %bb.11293:                            ;   in Loop: Header=BB6_10440 Depth=3
	s_or_b32 exec_lo, exec_lo, s13
	s_delay_alu instid0(VALU_DEP_2) | instskip(NEXT) | instid1(VALU_DEP_2)
	v_lshrrev_b64 v[14:15], 20, v[14:15]
	v_cmp_gt_i32_e32 vcc_lo, 16, v0
	v_cmp_ne_u32_e64 s13, 0, v0
                                        ; implicit-def: $vgpr54
	s_delay_alu instid0(VALU_DEP_3) | instskip(NEXT) | instid1(VALU_DEP_1)
	v_dual_cndmask_b32 v15, 0, v15 :: v_dual_cndmask_b32 v14, 7, v14
	v_cmp_ne_u64_e32 vcc_lo, 0, v[14:15]
	s_or_b32 s13, s13, vcc_lo
	s_delay_alu instid0(SALU_CYCLE_1) | instskip(NEXT) | instid1(SALU_CYCLE_1)
	s_and_saveexec_b32 s76, s13
	s_xor_b32 s13, exec_lo, s76
; %bb.11294:                            ;   in Loop: Header=BB6_10440 Depth=3
	v_min_i32_e32 v0, 15, v0
	s_delay_alu instid0(VALU_DEP_1) | instskip(NEXT) | instid1(VALU_DEP_1)
	v_lshl_or_b32 v0, v0, 3, v55
                                        ; implicit-def: $vgpr55
	v_and_or_b32 v54, v14, 7, v0
; %bb.11295:                            ;   in Loop: Header=BB6_10440 Depth=3
	s_and_not1_saveexec_b32 s13, s13
; %bb.11296:                            ;   in Loop: Header=BB6_10440 Depth=3
	v_mov_b32_e32 v54, v55
; %bb.11297:                            ;   in Loop: Header=BB6_10440 Depth=3
	s_or_b32 exec_lo, exec_lo, s13
.LBB6_11298:                            ;   in Loop: Header=BB6_10440 Depth=3
	s_delay_alu instid0(SALU_CYCLE_1)
	s_or_b32 exec_lo, exec_lo, s75
                                        ; implicit-def: $vgpr55
.LBB6_11299:                            ;   in Loop: Header=BB6_10440 Depth=3
	s_and_not1_saveexec_b32 s13, s74
; %bb.11300:                            ;   in Loop: Header=BB6_10440 Depth=3
	v_or_b32_e32 v54, 0x7e, v55
; %bb.11301:                            ;   in Loop: Header=BB6_10440 Depth=3
	s_or_b32 exec_lo, exec_lo, s13
                                        ; implicit-def: $vgpr0
.LBB6_11302:                            ;   in Loop: Header=BB6_10440 Depth=3
	s_and_not1_saveexec_b32 s13, s45
; %bb.11303:                            ;   in Loop: Header=BB6_10440 Depth=3
	v_lshrrev_b32_e32 v0, 24, v0
	s_delay_alu instid0(VALU_DEP_1)
	v_or_b32_e32 v54, 0x7f, v0
; %bb.11304:                            ;   in Loop: Header=BB6_10440 Depth=3
	s_or_b32 exec_lo, exec_lo, s13
	v_and_b32_e32 v0, 0xff, v51
	v_dual_mov_b32 v16, 0 :: v_dual_mov_b32 v17, 0
	s_mov_b32 s13, exec_lo
	s_delay_alu instid0(VALU_DEP_2)
	v_cmpx_ne_u16_e32 0, v0
	s_cbranch_execz .LBB6_11312
; %bb.11305:                            ;   in Loop: Header=BB6_10440 Depth=3
	v_bfrev_b32_e32 v17, 1
	s_mov_b32 s45, exec_lo
	v_cmpx_ne_u16_e32 0x80, v0
	s_cbranch_execz .LBB6_11311
; %bb.11306:                            ;   in Loop: Header=BB6_10440 Depth=3
	v_and_b32_e32 v14, 0x7f, v51
	v_mov_b32_e32 v17, 0x7f800001
	s_mov_b32 s74, exec_lo
	s_delay_alu instid0(VALU_DEP_2)
	v_cmpx_ne_u32_e32 0x7f, v14
	s_cbranch_execz .LBB6_11310
; %bb.11307:                            ;   in Loop: Header=BB6_10440 Depth=3
	v_dual_lshrrev_b32 v0, 3, v14 :: v_dual_bitop2_b32 v2, 7, v0 bitop3:0x40
	v_cmp_gt_u32_e32 vcc_lo, 8, v14
	s_delay_alu instid0(VALU_DEP_2)
	v_mov_b64_e32 v[14:15], v[2:3]
	s_and_saveexec_b32 s75, vcc_lo
; %bb.11308:                            ;   in Loop: Header=BB6_10440 Depth=3
	v_clz_i32_u32_e32 v0, v2
	s_delay_alu instid0(VALU_DEP_1) | instskip(NEXT) | instid1(VALU_DEP_1)
	v_min_u32_e32 v0, 32, v0
	v_subrev_nc_u32_e32 v14, 28, v0
	s_delay_alu instid0(VALU_DEP_1) | instskip(NEXT) | instid1(VALU_DEP_1)
	v_lshlrev_b64_e32 v[14:15], v14, v[2:3]
	v_dual_sub_nc_u32 v0, 29, v0 :: v_dual_bitop2_b32 v14, 7, v14 bitop3:0x40
; %bb.11309:                            ;   in Loop: Header=BB6_10440 Depth=3
	s_or_b32 exec_lo, exec_lo, s75
	s_delay_alu instid0(VALU_DEP_1) | instskip(NEXT) | instid1(VALU_DEP_2)
	v_dual_lshlrev_b32 v2, 24, v51 :: v_dual_lshlrev_b32 v14, 20, v14
	v_lshl_add_u32 v0, v0, 23, 0x3c000000
	s_delay_alu instid0(VALU_DEP_2) | instskip(NEXT) | instid1(VALU_DEP_1)
	v_and_b32_e32 v2, 0x80000000, v2
	v_or3_b32 v17, v14, v2, v0
.LBB6_11310:                            ;   in Loop: Header=BB6_10440 Depth=3
	s_or_b32 exec_lo, exec_lo, s74
.LBB6_11311:                            ;   in Loop: Header=BB6_10440 Depth=3
	s_delay_alu instid0(SALU_CYCLE_1)
	s_or_b32 exec_lo, exec_lo, s45
.LBB6_11312:                            ;   in Loop: Header=BB6_10440 Depth=3
	s_delay_alu instid0(SALU_CYCLE_1) | instskip(SKIP_3) | instid1(VALU_DEP_1)
	s_or_b32 exec_lo, exec_lo, s13
	s_wait_loadcnt_dscnt 0x707
	v_and_b32_e32 v0, 0xff, v50
	s_mov_b32 s13, exec_lo
	v_cmpx_ne_u16_e32 0, v0
	s_cbranch_execz .LBB6_11320
; %bb.11313:                            ;   in Loop: Header=BB6_10440 Depth=3
	v_bfrev_b32_e32 v16, 1
	s_mov_b32 s45, exec_lo
	v_cmpx_ne_u16_e32 0x80, v0
	s_cbranch_execz .LBB6_11319
; %bb.11314:                            ;   in Loop: Header=BB6_10440 Depth=3
	v_and_b32_e32 v14, 0x7f, v50
	v_mov_b32_e32 v16, 0x7f800001
	s_mov_b32 s74, exec_lo
	s_delay_alu instid0(VALU_DEP_2)
	v_cmpx_ne_u32_e32 0x7f, v14
	s_cbranch_execz .LBB6_11318
; %bb.11315:                            ;   in Loop: Header=BB6_10440 Depth=3
	v_dual_lshrrev_b32 v0, 3, v14 :: v_dual_bitop2_b32 v2, 7, v0 bitop3:0x40
	v_cmp_gt_u32_e32 vcc_lo, 8, v14
	s_delay_alu instid0(VALU_DEP_2)
	v_mov_b64_e32 v[14:15], v[2:3]
	s_and_saveexec_b32 s75, vcc_lo
; %bb.11316:                            ;   in Loop: Header=BB6_10440 Depth=3
	v_clz_i32_u32_e32 v0, v2
	s_delay_alu instid0(VALU_DEP_1) | instskip(NEXT) | instid1(VALU_DEP_1)
	v_min_u32_e32 v0, 32, v0
	v_subrev_nc_u32_e32 v14, 28, v0
	s_delay_alu instid0(VALU_DEP_1) | instskip(NEXT) | instid1(VALU_DEP_1)
	v_lshlrev_b64_e32 v[14:15], v14, v[2:3]
	v_dual_sub_nc_u32 v0, 29, v0 :: v_dual_bitop2_b32 v14, 7, v14 bitop3:0x40
; %bb.11317:                            ;   in Loop: Header=BB6_10440 Depth=3
	s_or_b32 exec_lo, exec_lo, s75
	v_lshlrev_b32_e32 v2, 24, v50
	s_delay_alu instid0(VALU_DEP_2) | instskip(NEXT) | instid1(VALU_DEP_3)
	v_lshlrev_b32_e32 v14, 20, v14
	v_lshl_add_u32 v0, v0, 23, 0x3c000000
	s_delay_alu instid0(VALU_DEP_3) | instskip(NEXT) | instid1(VALU_DEP_1)
	v_and_b32_e32 v2, 0x80000000, v2
	v_or3_b32 v16, v14, v2, v0
.LBB6_11318:                            ;   in Loop: Header=BB6_10440 Depth=3
	s_or_b32 exec_lo, exec_lo, s74
.LBB6_11319:                            ;   in Loop: Header=BB6_10440 Depth=3
	s_delay_alu instid0(SALU_CYCLE_1)
	s_or_b32 exec_lo, exec_lo, s45
.LBB6_11320:                            ;   in Loop: Header=BB6_10440 Depth=3
	s_delay_alu instid0(SALU_CYCLE_1) | instskip(NEXT) | instid1(VALU_DEP_1)
	s_or_b32 exec_lo, exec_lo, s13
	v_add_f32_e32 v0, v17, v16
                                        ; implicit-def: $vgpr50
	s_mov_b32 s13, exec_lo
	s_delay_alu instid0(VALU_DEP_1) | instskip(NEXT) | instid1(VALU_DEP_1)
	v_and_b32_e32 v2, 0x7f800000, v0
	v_cmpx_ne_u64_e32 0x7f800000, v[2:3]
	s_xor_b32 s45, exec_lo, s13
	s_cbranch_execz .LBB6_11338
; %bb.11321:                            ;   in Loop: Header=BB6_10440 Depth=3
	v_lshrrev_b32_e32 v14, 24, v0
	v_and_b32_e32 v2, 0x7fffffff, v0
                                        ; implicit-def: $vgpr50
	s_mov_b32 s13, exec_lo
	s_delay_alu instid0(VALU_DEP_2) | instskip(NEXT) | instid1(VALU_DEP_2)
	v_and_b32_e32 v51, 0x80, v14
	v_cmpx_gt_u64_e32 0x43e00001, v[2:3]
	s_xor_b32 s74, exec_lo, s13
	s_cbranch_execz .LBB6_11335
; %bb.11322:                            ;   in Loop: Header=BB6_10440 Depth=3
	v_mov_b32_e32 v50, 0
	s_mov_b32 s75, exec_lo
	v_cmpx_ne_u32_e32 0, v0
	s_cbranch_execz .LBB6_11334
; %bb.11323:                            ;   in Loop: Header=BB6_10440 Depth=3
	v_bfe_u32 v50, v0, 23, 8
	v_and_b32_e32 v2, 0x7fffff, v0
	s_delay_alu instid0(VALU_DEP_2) | instskip(SKIP_2) | instid1(VALU_DEP_4)
	v_cmp_gt_u32_e64 s13, 0x7a, v50
	v_sub_nc_u32_e32 v0, 0x79, v50
	v_cmp_eq_u32_e32 vcc_lo, 0, v50
	v_or_b32_e32 v14, 0x800000, v2
	s_delay_alu instid0(VALU_DEP_1) | instskip(NEXT) | instid1(VALU_DEP_1)
	v_dual_cndmask_b32 v0, 0, v0, s13 :: v_dual_cndmask_b32 v2, v14, v2, vcc_lo
	v_cndmask_b32_e64 v0, v0, 0x78, vcc_lo
	s_delay_alu instid0(VALU_DEP_1) | instskip(NEXT) | instid1(VALU_DEP_1)
	v_dual_add_nc_u32 v14, 20, v0 :: v_dual_add_nc_u32 v16, 19, v0
	v_lshlrev_b64_e64 v[14:15], v14, -1
	s_delay_alu instid0(VALU_DEP_2) | instskip(NEXT) | instid1(VALU_DEP_2)
	v_lshlrev_b64_e64 v[16:17], v16, 1
	v_bfi_b32 v15, v15, 0, 0
	s_delay_alu instid0(VALU_DEP_3) | instskip(NEXT) | instid1(VALU_DEP_1)
	v_bfi_b32 v14, v14, 0, v2
	v_cmp_eq_u64_e64 s13, v[14:15], v[16:17]
	v_lshrrev_b64 v[14:15], v0, v[2:3]
	s_delay_alu instid0(VALU_DEP_1)
	v_mov_b64_e32 v[16:17], v[14:15]
	s_and_saveexec_b32 s76, s13
; %bb.11324:                            ;   in Loop: Header=BB6_10440 Depth=3
	v_bfe_u32 v2, v14, 20, 1
	s_delay_alu instid0(VALU_DEP_1) | instskip(NEXT) | instid1(VALU_DEP_1)
	v_add_nc_u64_e32 v[16:17], v[14:15], v[2:3]
	v_add_nc_u64_e32 v[16:17], -1, v[16:17]
; %bb.11325:                            ;   in Loop: Header=BB6_10440 Depth=3
	s_or_b32 exec_lo, exec_lo, s76
	v_add_nc_u32_e32 v2, 0xffffff81, v50
	v_lshrrev_b32_e32 v15, 23, v14
	s_mov_b32 s13, exec_lo
	s_delay_alu instid0(VALU_DEP_2) | instskip(NEXT) | instid1(VALU_DEP_1)
	v_cndmask_b32_e64 v2, v2, 0xffffff82, vcc_lo
	v_add3_u32 v17, v0, v2, v15
	v_and_b32_e32 v0, 0xfffff, v16
	s_delay_alu instid0(VALU_DEP_1) | instskip(NEXT) | instid1(VALU_DEP_1)
	v_dual_add_nc_u32 v16, 6, v17 :: v_dual_add_nc_u32 v2, v0, v14
                                        ; implicit-def: $vgpr14_vgpr15
                                        ; implicit-def: $vgpr0
	v_cmpx_ne_u32_e32 0, v16
	s_xor_b32 s13, exec_lo, s13
; %bb.11326:                            ;   in Loop: Header=BB6_10440 Depth=3
	s_delay_alu instid0(VALU_DEP_2) | instskip(SKIP_2) | instid1(VALU_DEP_2)
	v_cmp_lt_u64_e32 vcc_lo, 0xffffff, v[2:3]
	v_add_nc_u32_e32 v0, 7, v17
	v_cndmask_b32_e64 v14, 0, 1, vcc_lo
	v_cndmask_b32_e32 v0, v16, v0, vcc_lo
	s_delay_alu instid0(VALU_DEP_2)
	v_lshrrev_b64 v[14:15], v14, v[2:3]
; %bb.11327:                            ;   in Loop: Header=BB6_10440 Depth=3
	s_and_not1_saveexec_b32 s13, s13
; %bb.11328:                            ;   in Loop: Header=BB6_10440 Depth=3
	v_mov_b64_e32 v[14:15], v[2:3]
	v_bfe_u32 v0, v2, 23, 1
; %bb.11329:                            ;   in Loop: Header=BB6_10440 Depth=3
	s_or_b32 exec_lo, exec_lo, s13
	s_delay_alu instid0(VALU_DEP_2) | instskip(NEXT) | instid1(VALU_DEP_2)
	v_lshrrev_b64 v[14:15], 20, v[14:15]
	v_cmp_gt_i32_e32 vcc_lo, 16, v0
	v_cmp_ne_u32_e64 s13, 0, v0
                                        ; implicit-def: $vgpr50
	s_delay_alu instid0(VALU_DEP_3) | instskip(NEXT) | instid1(VALU_DEP_1)
	v_dual_cndmask_b32 v15, 0, v15 :: v_dual_cndmask_b32 v14, 7, v14
	v_cmp_ne_u64_e32 vcc_lo, 0, v[14:15]
	s_or_b32 s13, s13, vcc_lo
	s_delay_alu instid0(SALU_CYCLE_1) | instskip(NEXT) | instid1(SALU_CYCLE_1)
	s_and_saveexec_b32 s76, s13
	s_xor_b32 s13, exec_lo, s76
; %bb.11330:                            ;   in Loop: Header=BB6_10440 Depth=3
	v_min_i32_e32 v0, 15, v0
	s_delay_alu instid0(VALU_DEP_1) | instskip(NEXT) | instid1(VALU_DEP_1)
	v_lshl_or_b32 v0, v0, 3, v51
                                        ; implicit-def: $vgpr51
	v_and_or_b32 v50, v14, 7, v0
; %bb.11331:                            ;   in Loop: Header=BB6_10440 Depth=3
	s_and_not1_saveexec_b32 s13, s13
; %bb.11332:                            ;   in Loop: Header=BB6_10440 Depth=3
	v_mov_b32_e32 v50, v51
; %bb.11333:                            ;   in Loop: Header=BB6_10440 Depth=3
	s_or_b32 exec_lo, exec_lo, s13
.LBB6_11334:                            ;   in Loop: Header=BB6_10440 Depth=3
	s_delay_alu instid0(SALU_CYCLE_1)
	s_or_b32 exec_lo, exec_lo, s75
                                        ; implicit-def: $vgpr51
.LBB6_11335:                            ;   in Loop: Header=BB6_10440 Depth=3
	s_and_not1_saveexec_b32 s13, s74
; %bb.11336:                            ;   in Loop: Header=BB6_10440 Depth=3
	v_or_b32_e32 v50, 0x7e, v51
; %bb.11337:                            ;   in Loop: Header=BB6_10440 Depth=3
	s_or_b32 exec_lo, exec_lo, s13
                                        ; implicit-def: $vgpr0
.LBB6_11338:                            ;   in Loop: Header=BB6_10440 Depth=3
	s_and_not1_saveexec_b32 s13, s45
; %bb.11339:                            ;   in Loop: Header=BB6_10440 Depth=3
	v_lshrrev_b32_e32 v0, 24, v0
	s_delay_alu instid0(VALU_DEP_1)
	v_or_b32_e32 v50, 0x7f, v0
; %bb.11340:                            ;   in Loop: Header=BB6_10440 Depth=3
	s_or_b32 exec_lo, exec_lo, s13
	v_and_b32_e32 v0, 0xff, v48
	v_dual_mov_b32 v16, 0 :: v_dual_mov_b32 v17, 0
	s_mov_b32 s13, exec_lo
	s_delay_alu instid0(VALU_DEP_2)
	v_cmpx_ne_u16_e32 0, v0
	s_cbranch_execz .LBB6_11348
; %bb.11341:                            ;   in Loop: Header=BB6_10440 Depth=3
	v_bfrev_b32_e32 v17, 1
	s_mov_b32 s45, exec_lo
	v_cmpx_ne_u16_e32 0x80, v0
	s_cbranch_execz .LBB6_11347
; %bb.11342:                            ;   in Loop: Header=BB6_10440 Depth=3
	v_and_b32_e32 v14, 0x7f, v48
	v_mov_b32_e32 v17, 0x7f800001
	s_mov_b32 s74, exec_lo
	s_delay_alu instid0(VALU_DEP_2)
	v_cmpx_ne_u32_e32 0x7f, v14
	s_cbranch_execz .LBB6_11346
; %bb.11343:                            ;   in Loop: Header=BB6_10440 Depth=3
	v_dual_lshrrev_b32 v0, 3, v14 :: v_dual_bitop2_b32 v2, 7, v0 bitop3:0x40
	v_cmp_gt_u32_e32 vcc_lo, 8, v14
	s_delay_alu instid0(VALU_DEP_2)
	v_mov_b64_e32 v[14:15], v[2:3]
	s_and_saveexec_b32 s75, vcc_lo
; %bb.11344:                            ;   in Loop: Header=BB6_10440 Depth=3
	v_clz_i32_u32_e32 v0, v2
	s_delay_alu instid0(VALU_DEP_1) | instskip(NEXT) | instid1(VALU_DEP_1)
	v_min_u32_e32 v0, 32, v0
	v_subrev_nc_u32_e32 v14, 28, v0
	s_delay_alu instid0(VALU_DEP_1) | instskip(NEXT) | instid1(VALU_DEP_1)
	v_lshlrev_b64_e32 v[14:15], v14, v[2:3]
	v_dual_sub_nc_u32 v0, 29, v0 :: v_dual_bitop2_b32 v14, 7, v14 bitop3:0x40
; %bb.11345:                            ;   in Loop: Header=BB6_10440 Depth=3
	s_or_b32 exec_lo, exec_lo, s75
	s_delay_alu instid0(VALU_DEP_1) | instskip(NEXT) | instid1(VALU_DEP_2)
	v_dual_lshlrev_b32 v2, 24, v48 :: v_dual_lshlrev_b32 v14, 20, v14
	v_lshl_add_u32 v0, v0, 23, 0x3c000000
	s_delay_alu instid0(VALU_DEP_2) | instskip(NEXT) | instid1(VALU_DEP_1)
	v_and_b32_e32 v2, 0x80000000, v2
	v_or3_b32 v17, v14, v2, v0
.LBB6_11346:                            ;   in Loop: Header=BB6_10440 Depth=3
	s_or_b32 exec_lo, exec_lo, s74
.LBB6_11347:                            ;   in Loop: Header=BB6_10440 Depth=3
	s_delay_alu instid0(SALU_CYCLE_1)
	s_or_b32 exec_lo, exec_lo, s45
.LBB6_11348:                            ;   in Loop: Header=BB6_10440 Depth=3
	s_delay_alu instid0(SALU_CYCLE_1) | instskip(SKIP_3) | instid1(VALU_DEP_1)
	s_or_b32 exec_lo, exec_lo, s13
	s_wait_loadcnt_dscnt 0x606
	v_and_b32_e32 v0, 0xff, v39
	s_mov_b32 s13, exec_lo
	v_cmpx_ne_u16_e32 0, v0
	s_cbranch_execz .LBB6_11356
; %bb.11349:                            ;   in Loop: Header=BB6_10440 Depth=3
	v_bfrev_b32_e32 v16, 1
	s_mov_b32 s45, exec_lo
	v_cmpx_ne_u16_e32 0x80, v0
	s_cbranch_execz .LBB6_11355
; %bb.11350:                            ;   in Loop: Header=BB6_10440 Depth=3
	v_and_b32_e32 v14, 0x7f, v39
	v_mov_b32_e32 v16, 0x7f800001
	s_mov_b32 s74, exec_lo
	s_delay_alu instid0(VALU_DEP_2)
	v_cmpx_ne_u32_e32 0x7f, v14
	s_cbranch_execz .LBB6_11354
; %bb.11351:                            ;   in Loop: Header=BB6_10440 Depth=3
	v_dual_lshrrev_b32 v0, 3, v14 :: v_dual_bitop2_b32 v2, 7, v0 bitop3:0x40
	v_cmp_gt_u32_e32 vcc_lo, 8, v14
	s_delay_alu instid0(VALU_DEP_2)
	v_mov_b64_e32 v[14:15], v[2:3]
	s_and_saveexec_b32 s75, vcc_lo
; %bb.11352:                            ;   in Loop: Header=BB6_10440 Depth=3
	v_clz_i32_u32_e32 v0, v2
	s_delay_alu instid0(VALU_DEP_1) | instskip(NEXT) | instid1(VALU_DEP_1)
	v_min_u32_e32 v0, 32, v0
	v_subrev_nc_u32_e32 v14, 28, v0
	s_delay_alu instid0(VALU_DEP_1) | instskip(NEXT) | instid1(VALU_DEP_1)
	v_lshlrev_b64_e32 v[14:15], v14, v[2:3]
	v_dual_sub_nc_u32 v0, 29, v0 :: v_dual_bitop2_b32 v14, 7, v14 bitop3:0x40
; %bb.11353:                            ;   in Loop: Header=BB6_10440 Depth=3
	s_or_b32 exec_lo, exec_lo, s75
	s_delay_alu instid0(VALU_DEP_1) | instskip(NEXT) | instid1(VALU_DEP_2)
	v_dual_lshlrev_b32 v2, 24, v39 :: v_dual_lshlrev_b32 v14, 20, v14
	v_lshl_add_u32 v0, v0, 23, 0x3c000000
	s_delay_alu instid0(VALU_DEP_2) | instskip(NEXT) | instid1(VALU_DEP_1)
	v_and_b32_e32 v2, 0x80000000, v2
	v_or3_b32 v16, v14, v2, v0
.LBB6_11354:                            ;   in Loop: Header=BB6_10440 Depth=3
	s_or_b32 exec_lo, exec_lo, s74
.LBB6_11355:                            ;   in Loop: Header=BB6_10440 Depth=3
	s_delay_alu instid0(SALU_CYCLE_1)
	s_or_b32 exec_lo, exec_lo, s45
.LBB6_11356:                            ;   in Loop: Header=BB6_10440 Depth=3
	s_delay_alu instid0(SALU_CYCLE_1) | instskip(NEXT) | instid1(VALU_DEP_1)
	s_or_b32 exec_lo, exec_lo, s13
	v_add_f32_e32 v0, v17, v16
                                        ; implicit-def: $vgpr39
	s_mov_b32 s13, exec_lo
	s_delay_alu instid0(VALU_DEP_1) | instskip(NEXT) | instid1(VALU_DEP_1)
	v_and_b32_e32 v2, 0x7f800000, v0
	v_cmpx_ne_u64_e32 0x7f800000, v[2:3]
	s_xor_b32 s45, exec_lo, s13
	s_cbranch_execz .LBB6_11374
; %bb.11357:                            ;   in Loop: Header=BB6_10440 Depth=3
	v_lshrrev_b32_e32 v14, 24, v0
	v_and_b32_e32 v2, 0x7fffffff, v0
                                        ; implicit-def: $vgpr39
	s_mov_b32 s13, exec_lo
	s_delay_alu instid0(VALU_DEP_2) | instskip(NEXT) | instid1(VALU_DEP_2)
	v_and_b32_e32 v48, 0x80, v14
	v_cmpx_gt_u64_e32 0x43e00001, v[2:3]
	s_xor_b32 s74, exec_lo, s13
	s_cbranch_execz .LBB6_11371
; %bb.11358:                            ;   in Loop: Header=BB6_10440 Depth=3
	v_mov_b32_e32 v39, 0
	s_mov_b32 s75, exec_lo
	v_cmpx_ne_u32_e32 0, v0
	s_cbranch_execz .LBB6_11370
; %bb.11359:                            ;   in Loop: Header=BB6_10440 Depth=3
	v_bfe_u32 v39, v0, 23, 8
	v_and_b32_e32 v2, 0x7fffff, v0
	s_delay_alu instid0(VALU_DEP_2) | instskip(SKIP_2) | instid1(VALU_DEP_4)
	v_cmp_gt_u32_e64 s13, 0x7a, v39
	v_sub_nc_u32_e32 v0, 0x79, v39
	v_cmp_eq_u32_e32 vcc_lo, 0, v39
	v_or_b32_e32 v14, 0x800000, v2
	s_delay_alu instid0(VALU_DEP_1) | instskip(NEXT) | instid1(VALU_DEP_1)
	v_dual_cndmask_b32 v0, 0, v0, s13 :: v_dual_cndmask_b32 v2, v14, v2, vcc_lo
	v_cndmask_b32_e64 v0, v0, 0x78, vcc_lo
	s_delay_alu instid0(VALU_DEP_1) | instskip(NEXT) | instid1(VALU_DEP_1)
	v_dual_add_nc_u32 v14, 20, v0 :: v_dual_add_nc_u32 v16, 19, v0
	v_lshlrev_b64_e64 v[14:15], v14, -1
	s_delay_alu instid0(VALU_DEP_2) | instskip(NEXT) | instid1(VALU_DEP_2)
	v_lshlrev_b64_e64 v[16:17], v16, 1
	v_bfi_b32 v15, v15, 0, 0
	s_delay_alu instid0(VALU_DEP_3) | instskip(NEXT) | instid1(VALU_DEP_1)
	v_bfi_b32 v14, v14, 0, v2
	v_cmp_eq_u64_e64 s13, v[14:15], v[16:17]
	v_lshrrev_b64 v[14:15], v0, v[2:3]
	s_delay_alu instid0(VALU_DEP_1)
	v_mov_b64_e32 v[16:17], v[14:15]
	s_and_saveexec_b32 s76, s13
; %bb.11360:                            ;   in Loop: Header=BB6_10440 Depth=3
	v_bfe_u32 v2, v14, 20, 1
	s_delay_alu instid0(VALU_DEP_1) | instskip(NEXT) | instid1(VALU_DEP_1)
	v_add_nc_u64_e32 v[16:17], v[14:15], v[2:3]
	v_add_nc_u64_e32 v[16:17], -1, v[16:17]
; %bb.11361:                            ;   in Loop: Header=BB6_10440 Depth=3
	s_or_b32 exec_lo, exec_lo, s76
	v_add_nc_u32_e32 v2, 0xffffff81, v39
	v_lshrrev_b32_e32 v15, 23, v14
	s_mov_b32 s13, exec_lo
	s_delay_alu instid0(VALU_DEP_2) | instskip(NEXT) | instid1(VALU_DEP_1)
	v_cndmask_b32_e64 v2, v2, 0xffffff82, vcc_lo
	v_add3_u32 v17, v0, v2, v15
	v_and_b32_e32 v0, 0xfffff, v16
	s_delay_alu instid0(VALU_DEP_1) | instskip(NEXT) | instid1(VALU_DEP_1)
	v_dual_add_nc_u32 v16, 6, v17 :: v_dual_add_nc_u32 v2, v0, v14
                                        ; implicit-def: $vgpr14_vgpr15
                                        ; implicit-def: $vgpr0
	v_cmpx_ne_u32_e32 0, v16
	s_xor_b32 s13, exec_lo, s13
; %bb.11362:                            ;   in Loop: Header=BB6_10440 Depth=3
	s_delay_alu instid0(VALU_DEP_2) | instskip(SKIP_2) | instid1(VALU_DEP_2)
	v_cmp_lt_u64_e32 vcc_lo, 0xffffff, v[2:3]
	v_add_nc_u32_e32 v0, 7, v17
	v_cndmask_b32_e64 v14, 0, 1, vcc_lo
	v_cndmask_b32_e32 v0, v16, v0, vcc_lo
	s_delay_alu instid0(VALU_DEP_2)
	v_lshrrev_b64 v[14:15], v14, v[2:3]
; %bb.11363:                            ;   in Loop: Header=BB6_10440 Depth=3
	s_and_not1_saveexec_b32 s13, s13
; %bb.11364:                            ;   in Loop: Header=BB6_10440 Depth=3
	v_mov_b64_e32 v[14:15], v[2:3]
	v_bfe_u32 v0, v2, 23, 1
; %bb.11365:                            ;   in Loop: Header=BB6_10440 Depth=3
	s_or_b32 exec_lo, exec_lo, s13
	s_delay_alu instid0(VALU_DEP_2) | instskip(NEXT) | instid1(VALU_DEP_2)
	v_lshrrev_b64 v[14:15], 20, v[14:15]
	v_cmp_gt_i32_e32 vcc_lo, 16, v0
	v_cmp_ne_u32_e64 s13, 0, v0
                                        ; implicit-def: $vgpr39
	s_delay_alu instid0(VALU_DEP_3) | instskip(NEXT) | instid1(VALU_DEP_1)
	v_dual_cndmask_b32 v15, 0, v15 :: v_dual_cndmask_b32 v14, 7, v14
	v_cmp_ne_u64_e32 vcc_lo, 0, v[14:15]
	s_or_b32 s13, s13, vcc_lo
	s_delay_alu instid0(SALU_CYCLE_1) | instskip(NEXT) | instid1(SALU_CYCLE_1)
	s_and_saveexec_b32 s76, s13
	s_xor_b32 s13, exec_lo, s76
; %bb.11366:                            ;   in Loop: Header=BB6_10440 Depth=3
	v_min_i32_e32 v0, 15, v0
	s_delay_alu instid0(VALU_DEP_1) | instskip(NEXT) | instid1(VALU_DEP_1)
	v_lshl_or_b32 v0, v0, 3, v48
                                        ; implicit-def: $vgpr48
	v_and_or_b32 v39, v14, 7, v0
; %bb.11367:                            ;   in Loop: Header=BB6_10440 Depth=3
	s_and_not1_saveexec_b32 s13, s13
; %bb.11368:                            ;   in Loop: Header=BB6_10440 Depth=3
	v_mov_b32_e32 v39, v48
; %bb.11369:                            ;   in Loop: Header=BB6_10440 Depth=3
	s_or_b32 exec_lo, exec_lo, s13
.LBB6_11370:                            ;   in Loop: Header=BB6_10440 Depth=3
	s_delay_alu instid0(SALU_CYCLE_1)
	s_or_b32 exec_lo, exec_lo, s75
                                        ; implicit-def: $vgpr48
.LBB6_11371:                            ;   in Loop: Header=BB6_10440 Depth=3
	s_and_not1_saveexec_b32 s13, s74
; %bb.11372:                            ;   in Loop: Header=BB6_10440 Depth=3
	v_or_b32_e32 v39, 0x7e, v48
; %bb.11373:                            ;   in Loop: Header=BB6_10440 Depth=3
	s_or_b32 exec_lo, exec_lo, s13
                                        ; implicit-def: $vgpr0
.LBB6_11374:                            ;   in Loop: Header=BB6_10440 Depth=3
	s_and_not1_saveexec_b32 s13, s45
; %bb.11375:                            ;   in Loop: Header=BB6_10440 Depth=3
	v_lshrrev_b32_e32 v0, 24, v0
	s_delay_alu instid0(VALU_DEP_1)
	v_or_b32_e32 v39, 0x7f, v0
; %bb.11376:                            ;   in Loop: Header=BB6_10440 Depth=3
	s_or_b32 exec_lo, exec_lo, s13
	v_and_b32_e32 v0, 0xff, v37
	v_dual_mov_b32 v16, 0 :: v_dual_mov_b32 v17, 0
	s_mov_b32 s13, exec_lo
	s_delay_alu instid0(VALU_DEP_2)
	v_cmpx_ne_u16_e32 0, v0
	s_cbranch_execz .LBB6_11384
; %bb.11377:                            ;   in Loop: Header=BB6_10440 Depth=3
	v_bfrev_b32_e32 v17, 1
	s_mov_b32 s45, exec_lo
	v_cmpx_ne_u16_e32 0x80, v0
	s_cbranch_execz .LBB6_11383
; %bb.11378:                            ;   in Loop: Header=BB6_10440 Depth=3
	v_and_b32_e32 v14, 0x7f, v37
	v_mov_b32_e32 v17, 0x7f800001
	s_mov_b32 s74, exec_lo
	s_delay_alu instid0(VALU_DEP_2)
	v_cmpx_ne_u32_e32 0x7f, v14
	s_cbranch_execz .LBB6_11382
; %bb.11379:                            ;   in Loop: Header=BB6_10440 Depth=3
	v_dual_lshrrev_b32 v0, 3, v14 :: v_dual_bitop2_b32 v2, 7, v0 bitop3:0x40
	v_cmp_gt_u32_e32 vcc_lo, 8, v14
	s_delay_alu instid0(VALU_DEP_2)
	v_mov_b64_e32 v[14:15], v[2:3]
	s_and_saveexec_b32 s75, vcc_lo
; %bb.11380:                            ;   in Loop: Header=BB6_10440 Depth=3
	v_clz_i32_u32_e32 v0, v2
	s_delay_alu instid0(VALU_DEP_1) | instskip(NEXT) | instid1(VALU_DEP_1)
	v_min_u32_e32 v0, 32, v0
	v_subrev_nc_u32_e32 v14, 28, v0
	s_delay_alu instid0(VALU_DEP_1) | instskip(NEXT) | instid1(VALU_DEP_1)
	v_lshlrev_b64_e32 v[14:15], v14, v[2:3]
	v_dual_sub_nc_u32 v0, 29, v0 :: v_dual_bitop2_b32 v14, 7, v14 bitop3:0x40
; %bb.11381:                            ;   in Loop: Header=BB6_10440 Depth=3
	s_or_b32 exec_lo, exec_lo, s75
	s_delay_alu instid0(VALU_DEP_1) | instskip(NEXT) | instid1(VALU_DEP_2)
	v_dual_lshlrev_b32 v2, 24, v37 :: v_dual_lshlrev_b32 v14, 20, v14
	v_lshl_add_u32 v0, v0, 23, 0x3c000000
	s_delay_alu instid0(VALU_DEP_2) | instskip(NEXT) | instid1(VALU_DEP_1)
	v_and_b32_e32 v2, 0x80000000, v2
	v_or3_b32 v17, v14, v2, v0
.LBB6_11382:                            ;   in Loop: Header=BB6_10440 Depth=3
	s_or_b32 exec_lo, exec_lo, s74
.LBB6_11383:                            ;   in Loop: Header=BB6_10440 Depth=3
	s_delay_alu instid0(SALU_CYCLE_1)
	s_or_b32 exec_lo, exec_lo, s45
.LBB6_11384:                            ;   in Loop: Header=BB6_10440 Depth=3
	s_delay_alu instid0(SALU_CYCLE_1) | instskip(SKIP_3) | instid1(VALU_DEP_1)
	s_or_b32 exec_lo, exec_lo, s13
	s_wait_loadcnt_dscnt 0x505
	v_and_b32_e32 v0, 0xff, v36
	s_mov_b32 s13, exec_lo
	v_cmpx_ne_u16_e32 0, v0
	s_cbranch_execz .LBB6_11392
; %bb.11385:                            ;   in Loop: Header=BB6_10440 Depth=3
	v_bfrev_b32_e32 v16, 1
	s_mov_b32 s45, exec_lo
	v_cmpx_ne_u16_e32 0x80, v0
	s_cbranch_execz .LBB6_11391
; %bb.11386:                            ;   in Loop: Header=BB6_10440 Depth=3
	v_and_b32_e32 v14, 0x7f, v36
	v_mov_b32_e32 v16, 0x7f800001
	s_mov_b32 s74, exec_lo
	s_delay_alu instid0(VALU_DEP_2)
	v_cmpx_ne_u32_e32 0x7f, v14
	s_cbranch_execz .LBB6_11390
; %bb.11387:                            ;   in Loop: Header=BB6_10440 Depth=3
	v_dual_lshrrev_b32 v0, 3, v14 :: v_dual_bitop2_b32 v2, 7, v0 bitop3:0x40
	v_cmp_gt_u32_e32 vcc_lo, 8, v14
	s_delay_alu instid0(VALU_DEP_2)
	v_mov_b64_e32 v[14:15], v[2:3]
	s_and_saveexec_b32 s75, vcc_lo
; %bb.11388:                            ;   in Loop: Header=BB6_10440 Depth=3
	v_clz_i32_u32_e32 v0, v2
	s_delay_alu instid0(VALU_DEP_1) | instskip(NEXT) | instid1(VALU_DEP_1)
	v_min_u32_e32 v0, 32, v0
	v_subrev_nc_u32_e32 v14, 28, v0
	s_delay_alu instid0(VALU_DEP_1) | instskip(NEXT) | instid1(VALU_DEP_1)
	v_lshlrev_b64_e32 v[14:15], v14, v[2:3]
	v_dual_sub_nc_u32 v0, 29, v0 :: v_dual_bitop2_b32 v14, 7, v14 bitop3:0x40
; %bb.11389:                            ;   in Loop: Header=BB6_10440 Depth=3
	s_or_b32 exec_lo, exec_lo, s75
	s_delay_alu instid0(VALU_DEP_1) | instskip(NEXT) | instid1(VALU_DEP_2)
	v_dual_lshlrev_b32 v2, 24, v36 :: v_dual_lshlrev_b32 v14, 20, v14
	v_lshl_add_u32 v0, v0, 23, 0x3c000000
	s_delay_alu instid0(VALU_DEP_2) | instskip(NEXT) | instid1(VALU_DEP_1)
	v_and_b32_e32 v2, 0x80000000, v2
	v_or3_b32 v16, v14, v2, v0
.LBB6_11390:                            ;   in Loop: Header=BB6_10440 Depth=3
	s_or_b32 exec_lo, exec_lo, s74
.LBB6_11391:                            ;   in Loop: Header=BB6_10440 Depth=3
	s_delay_alu instid0(SALU_CYCLE_1)
	s_or_b32 exec_lo, exec_lo, s45
.LBB6_11392:                            ;   in Loop: Header=BB6_10440 Depth=3
	s_delay_alu instid0(SALU_CYCLE_1) | instskip(NEXT) | instid1(VALU_DEP_1)
	s_or_b32 exec_lo, exec_lo, s13
	v_add_f32_e32 v0, v17, v16
                                        ; implicit-def: $vgpr36
	s_mov_b32 s13, exec_lo
	s_delay_alu instid0(VALU_DEP_1) | instskip(NEXT) | instid1(VALU_DEP_1)
	v_and_b32_e32 v2, 0x7f800000, v0
	v_cmpx_ne_u64_e32 0x7f800000, v[2:3]
	s_xor_b32 s45, exec_lo, s13
	s_cbranch_execz .LBB6_11410
; %bb.11393:                            ;   in Loop: Header=BB6_10440 Depth=3
	v_lshrrev_b32_e32 v14, 24, v0
	v_and_b32_e32 v2, 0x7fffffff, v0
                                        ; implicit-def: $vgpr36
	s_mov_b32 s13, exec_lo
	s_delay_alu instid0(VALU_DEP_2) | instskip(NEXT) | instid1(VALU_DEP_2)
	v_and_b32_e32 v37, 0x80, v14
	v_cmpx_gt_u64_e32 0x43e00001, v[2:3]
	s_xor_b32 s74, exec_lo, s13
	s_cbranch_execz .LBB6_11407
; %bb.11394:                            ;   in Loop: Header=BB6_10440 Depth=3
	v_mov_b32_e32 v36, 0
	s_mov_b32 s75, exec_lo
	v_cmpx_ne_u32_e32 0, v0
	s_cbranch_execz .LBB6_11406
; %bb.11395:                            ;   in Loop: Header=BB6_10440 Depth=3
	v_bfe_u32 v36, v0, 23, 8
	v_and_b32_e32 v2, 0x7fffff, v0
	s_delay_alu instid0(VALU_DEP_2) | instskip(SKIP_2) | instid1(VALU_DEP_4)
	v_cmp_gt_u32_e64 s13, 0x7a, v36
	v_sub_nc_u32_e32 v0, 0x79, v36
	v_cmp_eq_u32_e32 vcc_lo, 0, v36
	v_or_b32_e32 v14, 0x800000, v2
	s_delay_alu instid0(VALU_DEP_1) | instskip(NEXT) | instid1(VALU_DEP_1)
	v_dual_cndmask_b32 v0, 0, v0, s13 :: v_dual_cndmask_b32 v2, v14, v2, vcc_lo
	v_cndmask_b32_e64 v0, v0, 0x78, vcc_lo
	s_delay_alu instid0(VALU_DEP_1) | instskip(NEXT) | instid1(VALU_DEP_1)
	v_dual_add_nc_u32 v14, 20, v0 :: v_dual_add_nc_u32 v16, 19, v0
	v_lshlrev_b64_e64 v[14:15], v14, -1
	s_delay_alu instid0(VALU_DEP_2) | instskip(NEXT) | instid1(VALU_DEP_2)
	v_lshlrev_b64_e64 v[16:17], v16, 1
	v_bfi_b32 v15, v15, 0, 0
	s_delay_alu instid0(VALU_DEP_3) | instskip(NEXT) | instid1(VALU_DEP_1)
	v_bfi_b32 v14, v14, 0, v2
	v_cmp_eq_u64_e64 s13, v[14:15], v[16:17]
	v_lshrrev_b64 v[14:15], v0, v[2:3]
	s_delay_alu instid0(VALU_DEP_1)
	v_mov_b64_e32 v[16:17], v[14:15]
	s_and_saveexec_b32 s76, s13
; %bb.11396:                            ;   in Loop: Header=BB6_10440 Depth=3
	v_bfe_u32 v2, v14, 20, 1
	s_delay_alu instid0(VALU_DEP_1) | instskip(NEXT) | instid1(VALU_DEP_1)
	v_add_nc_u64_e32 v[16:17], v[14:15], v[2:3]
	v_add_nc_u64_e32 v[16:17], -1, v[16:17]
; %bb.11397:                            ;   in Loop: Header=BB6_10440 Depth=3
	s_or_b32 exec_lo, exec_lo, s76
	v_add_nc_u32_e32 v2, 0xffffff81, v36
	v_lshrrev_b32_e32 v15, 23, v14
	s_mov_b32 s13, exec_lo
	s_delay_alu instid0(VALU_DEP_2) | instskip(NEXT) | instid1(VALU_DEP_1)
	v_cndmask_b32_e64 v2, v2, 0xffffff82, vcc_lo
	v_add3_u32 v17, v0, v2, v15
	v_and_b32_e32 v0, 0xfffff, v16
	s_delay_alu instid0(VALU_DEP_1) | instskip(NEXT) | instid1(VALU_DEP_1)
	v_dual_add_nc_u32 v16, 6, v17 :: v_dual_add_nc_u32 v2, v0, v14
                                        ; implicit-def: $vgpr14_vgpr15
                                        ; implicit-def: $vgpr0
	v_cmpx_ne_u32_e32 0, v16
	s_xor_b32 s13, exec_lo, s13
; %bb.11398:                            ;   in Loop: Header=BB6_10440 Depth=3
	s_delay_alu instid0(VALU_DEP_2) | instskip(SKIP_2) | instid1(VALU_DEP_2)
	v_cmp_lt_u64_e32 vcc_lo, 0xffffff, v[2:3]
	v_add_nc_u32_e32 v0, 7, v17
	v_cndmask_b32_e64 v14, 0, 1, vcc_lo
	v_cndmask_b32_e32 v0, v16, v0, vcc_lo
	s_delay_alu instid0(VALU_DEP_2)
	v_lshrrev_b64 v[14:15], v14, v[2:3]
; %bb.11399:                            ;   in Loop: Header=BB6_10440 Depth=3
	s_and_not1_saveexec_b32 s13, s13
; %bb.11400:                            ;   in Loop: Header=BB6_10440 Depth=3
	v_mov_b64_e32 v[14:15], v[2:3]
	v_bfe_u32 v0, v2, 23, 1
; %bb.11401:                            ;   in Loop: Header=BB6_10440 Depth=3
	s_or_b32 exec_lo, exec_lo, s13
	s_delay_alu instid0(VALU_DEP_2) | instskip(NEXT) | instid1(VALU_DEP_2)
	v_lshrrev_b64 v[14:15], 20, v[14:15]
	v_cmp_gt_i32_e32 vcc_lo, 16, v0
	v_cmp_ne_u32_e64 s13, 0, v0
                                        ; implicit-def: $vgpr36
	s_delay_alu instid0(VALU_DEP_3) | instskip(NEXT) | instid1(VALU_DEP_1)
	v_dual_cndmask_b32 v15, 0, v15 :: v_dual_cndmask_b32 v14, 7, v14
	v_cmp_ne_u64_e32 vcc_lo, 0, v[14:15]
	s_or_b32 s13, s13, vcc_lo
	s_delay_alu instid0(SALU_CYCLE_1) | instskip(NEXT) | instid1(SALU_CYCLE_1)
	s_and_saveexec_b32 s76, s13
	s_xor_b32 s13, exec_lo, s76
; %bb.11402:                            ;   in Loop: Header=BB6_10440 Depth=3
	v_min_i32_e32 v0, 15, v0
	s_delay_alu instid0(VALU_DEP_1) | instskip(NEXT) | instid1(VALU_DEP_1)
	v_lshl_or_b32 v0, v0, 3, v37
                                        ; implicit-def: $vgpr37
	v_and_or_b32 v36, v14, 7, v0
; %bb.11403:                            ;   in Loop: Header=BB6_10440 Depth=3
	s_and_not1_saveexec_b32 s13, s13
; %bb.11404:                            ;   in Loop: Header=BB6_10440 Depth=3
	v_mov_b32_e32 v36, v37
; %bb.11405:                            ;   in Loop: Header=BB6_10440 Depth=3
	s_or_b32 exec_lo, exec_lo, s13
.LBB6_11406:                            ;   in Loop: Header=BB6_10440 Depth=3
	s_delay_alu instid0(SALU_CYCLE_1)
	s_or_b32 exec_lo, exec_lo, s75
                                        ; implicit-def: $vgpr37
.LBB6_11407:                            ;   in Loop: Header=BB6_10440 Depth=3
	s_and_not1_saveexec_b32 s13, s74
; %bb.11408:                            ;   in Loop: Header=BB6_10440 Depth=3
	v_or_b32_e32 v36, 0x7e, v37
; %bb.11409:                            ;   in Loop: Header=BB6_10440 Depth=3
	s_or_b32 exec_lo, exec_lo, s13
                                        ; implicit-def: $vgpr0
.LBB6_11410:                            ;   in Loop: Header=BB6_10440 Depth=3
	s_and_not1_saveexec_b32 s13, s45
; %bb.11411:                            ;   in Loop: Header=BB6_10440 Depth=3
	v_lshrrev_b32_e32 v0, 24, v0
	s_delay_alu instid0(VALU_DEP_1)
	v_or_b32_e32 v36, 0x7f, v0
; %bb.11412:                            ;   in Loop: Header=BB6_10440 Depth=3
	s_or_b32 exec_lo, exec_lo, s13
	v_and_b32_e32 v0, 0xff, v34
	v_dual_mov_b32 v16, 0 :: v_dual_mov_b32 v17, 0
	s_mov_b32 s13, exec_lo
	s_delay_alu instid0(VALU_DEP_2)
	v_cmpx_ne_u16_e32 0, v0
	s_cbranch_execz .LBB6_11420
; %bb.11413:                            ;   in Loop: Header=BB6_10440 Depth=3
	v_bfrev_b32_e32 v17, 1
	s_mov_b32 s45, exec_lo
	v_cmpx_ne_u16_e32 0x80, v0
	s_cbranch_execz .LBB6_11419
; %bb.11414:                            ;   in Loop: Header=BB6_10440 Depth=3
	v_and_b32_e32 v14, 0x7f, v34
	v_mov_b32_e32 v17, 0x7f800001
	s_mov_b32 s74, exec_lo
	s_delay_alu instid0(VALU_DEP_2)
	v_cmpx_ne_u32_e32 0x7f, v14
	s_cbranch_execz .LBB6_11418
; %bb.11415:                            ;   in Loop: Header=BB6_10440 Depth=3
	v_dual_lshrrev_b32 v0, 3, v14 :: v_dual_bitop2_b32 v2, 7, v0 bitop3:0x40
	v_cmp_gt_u32_e32 vcc_lo, 8, v14
	s_delay_alu instid0(VALU_DEP_2)
	v_mov_b64_e32 v[14:15], v[2:3]
	s_and_saveexec_b32 s75, vcc_lo
; %bb.11416:                            ;   in Loop: Header=BB6_10440 Depth=3
	v_clz_i32_u32_e32 v0, v2
	s_delay_alu instid0(VALU_DEP_1) | instskip(NEXT) | instid1(VALU_DEP_1)
	v_min_u32_e32 v0, 32, v0
	v_subrev_nc_u32_e32 v14, 28, v0
	s_delay_alu instid0(VALU_DEP_1) | instskip(NEXT) | instid1(VALU_DEP_1)
	v_lshlrev_b64_e32 v[14:15], v14, v[2:3]
	v_dual_sub_nc_u32 v0, 29, v0 :: v_dual_bitop2_b32 v14, 7, v14 bitop3:0x40
; %bb.11417:                            ;   in Loop: Header=BB6_10440 Depth=3
	s_or_b32 exec_lo, exec_lo, s75
	v_lshlrev_b32_e32 v2, 24, v34
	s_delay_alu instid0(VALU_DEP_2) | instskip(NEXT) | instid1(VALU_DEP_3)
	v_lshlrev_b32_e32 v14, 20, v14
	v_lshl_add_u32 v0, v0, 23, 0x3c000000
	s_delay_alu instid0(VALU_DEP_3) | instskip(NEXT) | instid1(VALU_DEP_1)
	v_and_b32_e32 v2, 0x80000000, v2
	v_or3_b32 v17, v14, v2, v0
.LBB6_11418:                            ;   in Loop: Header=BB6_10440 Depth=3
	s_or_b32 exec_lo, exec_lo, s74
.LBB6_11419:                            ;   in Loop: Header=BB6_10440 Depth=3
	s_delay_alu instid0(SALU_CYCLE_1)
	s_or_b32 exec_lo, exec_lo, s45
.LBB6_11420:                            ;   in Loop: Header=BB6_10440 Depth=3
	s_delay_alu instid0(SALU_CYCLE_1) | instskip(SKIP_3) | instid1(VALU_DEP_1)
	s_or_b32 exec_lo, exec_lo, s13
	s_wait_loadcnt_dscnt 0x404
	v_and_b32_e32 v0, 0xff, v33
	s_mov_b32 s13, exec_lo
	v_cmpx_ne_u16_e32 0, v0
	s_cbranch_execz .LBB6_11428
; %bb.11421:                            ;   in Loop: Header=BB6_10440 Depth=3
	v_bfrev_b32_e32 v16, 1
	s_mov_b32 s45, exec_lo
	v_cmpx_ne_u16_e32 0x80, v0
	s_cbranch_execz .LBB6_11427
; %bb.11422:                            ;   in Loop: Header=BB6_10440 Depth=3
	v_and_b32_e32 v14, 0x7f, v33
	v_mov_b32_e32 v16, 0x7f800001
	s_mov_b32 s74, exec_lo
	s_delay_alu instid0(VALU_DEP_2)
	v_cmpx_ne_u32_e32 0x7f, v14
	s_cbranch_execz .LBB6_11426
; %bb.11423:                            ;   in Loop: Header=BB6_10440 Depth=3
	v_dual_lshrrev_b32 v0, 3, v14 :: v_dual_bitop2_b32 v2, 7, v0 bitop3:0x40
	v_cmp_gt_u32_e32 vcc_lo, 8, v14
	s_delay_alu instid0(VALU_DEP_2)
	v_mov_b64_e32 v[14:15], v[2:3]
	s_and_saveexec_b32 s75, vcc_lo
; %bb.11424:                            ;   in Loop: Header=BB6_10440 Depth=3
	v_clz_i32_u32_e32 v0, v2
	s_delay_alu instid0(VALU_DEP_1) | instskip(NEXT) | instid1(VALU_DEP_1)
	v_min_u32_e32 v0, 32, v0
	v_subrev_nc_u32_e32 v14, 28, v0
	s_delay_alu instid0(VALU_DEP_1) | instskip(NEXT) | instid1(VALU_DEP_1)
	v_lshlrev_b64_e32 v[14:15], v14, v[2:3]
	v_dual_sub_nc_u32 v0, 29, v0 :: v_dual_bitop2_b32 v14, 7, v14 bitop3:0x40
; %bb.11425:                            ;   in Loop: Header=BB6_10440 Depth=3
	s_or_b32 exec_lo, exec_lo, s75
	s_delay_alu instid0(VALU_DEP_1) | instskip(NEXT) | instid1(VALU_DEP_2)
	v_dual_lshlrev_b32 v2, 24, v33 :: v_dual_lshlrev_b32 v14, 20, v14
	v_lshl_add_u32 v0, v0, 23, 0x3c000000
	s_delay_alu instid0(VALU_DEP_2) | instskip(NEXT) | instid1(VALU_DEP_1)
	v_and_b32_e32 v2, 0x80000000, v2
	v_or3_b32 v16, v14, v2, v0
.LBB6_11426:                            ;   in Loop: Header=BB6_10440 Depth=3
	s_or_b32 exec_lo, exec_lo, s74
.LBB6_11427:                            ;   in Loop: Header=BB6_10440 Depth=3
	s_delay_alu instid0(SALU_CYCLE_1)
	s_or_b32 exec_lo, exec_lo, s45
.LBB6_11428:                            ;   in Loop: Header=BB6_10440 Depth=3
	s_delay_alu instid0(SALU_CYCLE_1) | instskip(NEXT) | instid1(VALU_DEP_1)
	s_or_b32 exec_lo, exec_lo, s13
	v_add_f32_e32 v0, v17, v16
                                        ; implicit-def: $vgpr33
	s_mov_b32 s13, exec_lo
	s_delay_alu instid0(VALU_DEP_1) | instskip(NEXT) | instid1(VALU_DEP_1)
	v_and_b32_e32 v2, 0x7f800000, v0
	v_cmpx_ne_u64_e32 0x7f800000, v[2:3]
	s_xor_b32 s45, exec_lo, s13
	s_cbranch_execz .LBB6_11446
; %bb.11429:                            ;   in Loop: Header=BB6_10440 Depth=3
	v_lshrrev_b32_e32 v14, 24, v0
	v_and_b32_e32 v2, 0x7fffffff, v0
                                        ; implicit-def: $vgpr33
	s_mov_b32 s13, exec_lo
	s_delay_alu instid0(VALU_DEP_2) | instskip(NEXT) | instid1(VALU_DEP_2)
	v_and_b32_e32 v34, 0x80, v14
	v_cmpx_gt_u64_e32 0x43e00001, v[2:3]
	s_xor_b32 s74, exec_lo, s13
	s_cbranch_execz .LBB6_11443
; %bb.11430:                            ;   in Loop: Header=BB6_10440 Depth=3
	v_mov_b32_e32 v33, 0
	s_mov_b32 s75, exec_lo
	v_cmpx_ne_u32_e32 0, v0
	s_cbranch_execz .LBB6_11442
; %bb.11431:                            ;   in Loop: Header=BB6_10440 Depth=3
	v_bfe_u32 v33, v0, 23, 8
	v_and_b32_e32 v2, 0x7fffff, v0
	s_delay_alu instid0(VALU_DEP_2) | instskip(SKIP_2) | instid1(VALU_DEP_4)
	v_cmp_gt_u32_e64 s13, 0x7a, v33
	v_sub_nc_u32_e32 v0, 0x79, v33
	v_cmp_eq_u32_e32 vcc_lo, 0, v33
	v_or_b32_e32 v14, 0x800000, v2
	s_delay_alu instid0(VALU_DEP_1) | instskip(NEXT) | instid1(VALU_DEP_1)
	v_dual_cndmask_b32 v0, 0, v0, s13 :: v_dual_cndmask_b32 v2, v14, v2, vcc_lo
	v_cndmask_b32_e64 v0, v0, 0x78, vcc_lo
	s_delay_alu instid0(VALU_DEP_1) | instskip(NEXT) | instid1(VALU_DEP_1)
	v_dual_add_nc_u32 v14, 20, v0 :: v_dual_add_nc_u32 v16, 19, v0
	v_lshlrev_b64_e64 v[14:15], v14, -1
	s_delay_alu instid0(VALU_DEP_2) | instskip(NEXT) | instid1(VALU_DEP_2)
	v_lshlrev_b64_e64 v[16:17], v16, 1
	v_bfi_b32 v15, v15, 0, 0
	s_delay_alu instid0(VALU_DEP_3) | instskip(NEXT) | instid1(VALU_DEP_1)
	v_bfi_b32 v14, v14, 0, v2
	v_cmp_eq_u64_e64 s13, v[14:15], v[16:17]
	v_lshrrev_b64 v[14:15], v0, v[2:3]
	s_delay_alu instid0(VALU_DEP_1)
	v_mov_b64_e32 v[16:17], v[14:15]
	s_and_saveexec_b32 s76, s13
; %bb.11432:                            ;   in Loop: Header=BB6_10440 Depth=3
	v_bfe_u32 v2, v14, 20, 1
	s_delay_alu instid0(VALU_DEP_1) | instskip(NEXT) | instid1(VALU_DEP_1)
	v_add_nc_u64_e32 v[16:17], v[14:15], v[2:3]
	v_add_nc_u64_e32 v[16:17], -1, v[16:17]
; %bb.11433:                            ;   in Loop: Header=BB6_10440 Depth=3
	s_or_b32 exec_lo, exec_lo, s76
	v_add_nc_u32_e32 v2, 0xffffff81, v33
	v_lshrrev_b32_e32 v15, 23, v14
	s_mov_b32 s13, exec_lo
	s_delay_alu instid0(VALU_DEP_2) | instskip(NEXT) | instid1(VALU_DEP_1)
	v_cndmask_b32_e64 v2, v2, 0xffffff82, vcc_lo
	v_add3_u32 v17, v0, v2, v15
	v_and_b32_e32 v0, 0xfffff, v16
	s_delay_alu instid0(VALU_DEP_1) | instskip(NEXT) | instid1(VALU_DEP_1)
	v_dual_add_nc_u32 v16, 6, v17 :: v_dual_add_nc_u32 v2, v0, v14
                                        ; implicit-def: $vgpr14_vgpr15
                                        ; implicit-def: $vgpr0
	v_cmpx_ne_u32_e32 0, v16
	s_xor_b32 s13, exec_lo, s13
; %bb.11434:                            ;   in Loop: Header=BB6_10440 Depth=3
	s_delay_alu instid0(VALU_DEP_2) | instskip(SKIP_2) | instid1(VALU_DEP_2)
	v_cmp_lt_u64_e32 vcc_lo, 0xffffff, v[2:3]
	v_add_nc_u32_e32 v0, 7, v17
	v_cndmask_b32_e64 v14, 0, 1, vcc_lo
	v_cndmask_b32_e32 v0, v16, v0, vcc_lo
	s_delay_alu instid0(VALU_DEP_2)
	v_lshrrev_b64 v[14:15], v14, v[2:3]
; %bb.11435:                            ;   in Loop: Header=BB6_10440 Depth=3
	s_and_not1_saveexec_b32 s13, s13
; %bb.11436:                            ;   in Loop: Header=BB6_10440 Depth=3
	v_mov_b64_e32 v[14:15], v[2:3]
	v_bfe_u32 v0, v2, 23, 1
; %bb.11437:                            ;   in Loop: Header=BB6_10440 Depth=3
	s_or_b32 exec_lo, exec_lo, s13
	s_delay_alu instid0(VALU_DEP_2) | instskip(NEXT) | instid1(VALU_DEP_2)
	v_lshrrev_b64 v[14:15], 20, v[14:15]
	v_cmp_gt_i32_e32 vcc_lo, 16, v0
	v_cmp_ne_u32_e64 s13, 0, v0
                                        ; implicit-def: $vgpr33
	s_delay_alu instid0(VALU_DEP_3) | instskip(NEXT) | instid1(VALU_DEP_1)
	v_dual_cndmask_b32 v15, 0, v15 :: v_dual_cndmask_b32 v14, 7, v14
	v_cmp_ne_u64_e32 vcc_lo, 0, v[14:15]
	s_or_b32 s13, s13, vcc_lo
	s_delay_alu instid0(SALU_CYCLE_1) | instskip(NEXT) | instid1(SALU_CYCLE_1)
	s_and_saveexec_b32 s76, s13
	s_xor_b32 s13, exec_lo, s76
; %bb.11438:                            ;   in Loop: Header=BB6_10440 Depth=3
	v_min_i32_e32 v0, 15, v0
	s_delay_alu instid0(VALU_DEP_1) | instskip(NEXT) | instid1(VALU_DEP_1)
	v_lshl_or_b32 v0, v0, 3, v34
                                        ; implicit-def: $vgpr34
	v_and_or_b32 v33, v14, 7, v0
; %bb.11439:                            ;   in Loop: Header=BB6_10440 Depth=3
	s_and_not1_saveexec_b32 s13, s13
; %bb.11440:                            ;   in Loop: Header=BB6_10440 Depth=3
	v_mov_b32_e32 v33, v34
; %bb.11441:                            ;   in Loop: Header=BB6_10440 Depth=3
	s_or_b32 exec_lo, exec_lo, s13
.LBB6_11442:                            ;   in Loop: Header=BB6_10440 Depth=3
	s_delay_alu instid0(SALU_CYCLE_1)
	s_or_b32 exec_lo, exec_lo, s75
                                        ; implicit-def: $vgpr34
.LBB6_11443:                            ;   in Loop: Header=BB6_10440 Depth=3
	s_and_not1_saveexec_b32 s13, s74
; %bb.11444:                            ;   in Loop: Header=BB6_10440 Depth=3
	v_or_b32_e32 v33, 0x7e, v34
; %bb.11445:                            ;   in Loop: Header=BB6_10440 Depth=3
	s_or_b32 exec_lo, exec_lo, s13
                                        ; implicit-def: $vgpr0
.LBB6_11446:                            ;   in Loop: Header=BB6_10440 Depth=3
	s_and_not1_saveexec_b32 s13, s45
; %bb.11447:                            ;   in Loop: Header=BB6_10440 Depth=3
	v_lshrrev_b32_e32 v0, 24, v0
	s_delay_alu instid0(VALU_DEP_1)
	v_or_b32_e32 v33, 0x7f, v0
; %bb.11448:                            ;   in Loop: Header=BB6_10440 Depth=3
	s_or_b32 exec_lo, exec_lo, s13
	v_and_b32_e32 v0, 0xff, v31
	v_dual_mov_b32 v16, 0 :: v_dual_mov_b32 v17, 0
	s_mov_b32 s13, exec_lo
	s_delay_alu instid0(VALU_DEP_2)
	v_cmpx_ne_u16_e32 0, v0
	s_cbranch_execz .LBB6_11456
; %bb.11449:                            ;   in Loop: Header=BB6_10440 Depth=3
	v_bfrev_b32_e32 v17, 1
	s_mov_b32 s45, exec_lo
	v_cmpx_ne_u16_e32 0x80, v0
	s_cbranch_execz .LBB6_11455
; %bb.11450:                            ;   in Loop: Header=BB6_10440 Depth=3
	v_and_b32_e32 v14, 0x7f, v31
	v_mov_b32_e32 v17, 0x7f800001
	s_mov_b32 s74, exec_lo
	s_delay_alu instid0(VALU_DEP_2)
	v_cmpx_ne_u32_e32 0x7f, v14
	s_cbranch_execz .LBB6_11454
; %bb.11451:                            ;   in Loop: Header=BB6_10440 Depth=3
	v_dual_lshrrev_b32 v0, 3, v14 :: v_dual_bitop2_b32 v2, 7, v0 bitop3:0x40
	v_cmp_gt_u32_e32 vcc_lo, 8, v14
	s_delay_alu instid0(VALU_DEP_2)
	v_mov_b64_e32 v[14:15], v[2:3]
	s_and_saveexec_b32 s75, vcc_lo
; %bb.11452:                            ;   in Loop: Header=BB6_10440 Depth=3
	v_clz_i32_u32_e32 v0, v2
	s_delay_alu instid0(VALU_DEP_1) | instskip(NEXT) | instid1(VALU_DEP_1)
	v_min_u32_e32 v0, 32, v0
	v_subrev_nc_u32_e32 v14, 28, v0
	s_delay_alu instid0(VALU_DEP_1) | instskip(NEXT) | instid1(VALU_DEP_1)
	v_lshlrev_b64_e32 v[14:15], v14, v[2:3]
	v_dual_sub_nc_u32 v0, 29, v0 :: v_dual_bitop2_b32 v14, 7, v14 bitop3:0x40
; %bb.11453:                            ;   in Loop: Header=BB6_10440 Depth=3
	s_or_b32 exec_lo, exec_lo, s75
	s_delay_alu instid0(VALU_DEP_1) | instskip(NEXT) | instid1(VALU_DEP_2)
	v_dual_lshlrev_b32 v2, 24, v31 :: v_dual_lshlrev_b32 v14, 20, v14
	v_lshl_add_u32 v0, v0, 23, 0x3c000000
	s_delay_alu instid0(VALU_DEP_2) | instskip(NEXT) | instid1(VALU_DEP_1)
	v_and_b32_e32 v2, 0x80000000, v2
	v_or3_b32 v17, v14, v2, v0
.LBB6_11454:                            ;   in Loop: Header=BB6_10440 Depth=3
	s_or_b32 exec_lo, exec_lo, s74
.LBB6_11455:                            ;   in Loop: Header=BB6_10440 Depth=3
	s_delay_alu instid0(SALU_CYCLE_1)
	s_or_b32 exec_lo, exec_lo, s45
.LBB6_11456:                            ;   in Loop: Header=BB6_10440 Depth=3
	s_delay_alu instid0(SALU_CYCLE_1) | instskip(SKIP_3) | instid1(VALU_DEP_1)
	s_or_b32 exec_lo, exec_lo, s13
	s_wait_loadcnt_dscnt 0x303
	v_and_b32_e32 v0, 0xff, v29
	s_mov_b32 s13, exec_lo
	v_cmpx_ne_u16_e32 0, v0
	s_cbranch_execz .LBB6_11464
; %bb.11457:                            ;   in Loop: Header=BB6_10440 Depth=3
	v_bfrev_b32_e32 v16, 1
	s_mov_b32 s45, exec_lo
	v_cmpx_ne_u16_e32 0x80, v0
	s_cbranch_execz .LBB6_11463
; %bb.11458:                            ;   in Loop: Header=BB6_10440 Depth=3
	v_and_b32_e32 v14, 0x7f, v29
	v_mov_b32_e32 v16, 0x7f800001
	s_mov_b32 s74, exec_lo
	s_delay_alu instid0(VALU_DEP_2)
	v_cmpx_ne_u32_e32 0x7f, v14
	s_cbranch_execz .LBB6_11462
; %bb.11459:                            ;   in Loop: Header=BB6_10440 Depth=3
	v_dual_lshrrev_b32 v0, 3, v14 :: v_dual_bitop2_b32 v2, 7, v0 bitop3:0x40
	v_cmp_gt_u32_e32 vcc_lo, 8, v14
	s_delay_alu instid0(VALU_DEP_2)
	v_mov_b64_e32 v[14:15], v[2:3]
	s_and_saveexec_b32 s75, vcc_lo
; %bb.11460:                            ;   in Loop: Header=BB6_10440 Depth=3
	v_clz_i32_u32_e32 v0, v2
	s_delay_alu instid0(VALU_DEP_1) | instskip(NEXT) | instid1(VALU_DEP_1)
	v_min_u32_e32 v0, 32, v0
	v_subrev_nc_u32_e32 v14, 28, v0
	s_delay_alu instid0(VALU_DEP_1) | instskip(NEXT) | instid1(VALU_DEP_1)
	v_lshlrev_b64_e32 v[14:15], v14, v[2:3]
	v_dual_sub_nc_u32 v0, 29, v0 :: v_dual_bitop2_b32 v14, 7, v14 bitop3:0x40
; %bb.11461:                            ;   in Loop: Header=BB6_10440 Depth=3
	s_or_b32 exec_lo, exec_lo, s75
	s_delay_alu instid0(VALU_DEP_1) | instskip(NEXT) | instid1(VALU_DEP_2)
	v_dual_lshlrev_b32 v2, 24, v29 :: v_dual_lshlrev_b32 v14, 20, v14
	v_lshl_add_u32 v0, v0, 23, 0x3c000000
	s_delay_alu instid0(VALU_DEP_2) | instskip(NEXT) | instid1(VALU_DEP_1)
	v_and_b32_e32 v2, 0x80000000, v2
	v_or3_b32 v16, v14, v2, v0
.LBB6_11462:                            ;   in Loop: Header=BB6_10440 Depth=3
	s_or_b32 exec_lo, exec_lo, s74
.LBB6_11463:                            ;   in Loop: Header=BB6_10440 Depth=3
	s_delay_alu instid0(SALU_CYCLE_1)
	s_or_b32 exec_lo, exec_lo, s45
.LBB6_11464:                            ;   in Loop: Header=BB6_10440 Depth=3
	s_delay_alu instid0(SALU_CYCLE_1) | instskip(NEXT) | instid1(VALU_DEP_1)
	s_or_b32 exec_lo, exec_lo, s13
	v_add_f32_e32 v0, v17, v16
                                        ; implicit-def: $vgpr29
	s_mov_b32 s13, exec_lo
	s_delay_alu instid0(VALU_DEP_1) | instskip(NEXT) | instid1(VALU_DEP_1)
	v_and_b32_e32 v2, 0x7f800000, v0
	v_cmpx_ne_u64_e32 0x7f800000, v[2:3]
	s_xor_b32 s45, exec_lo, s13
	s_cbranch_execz .LBB6_11482
; %bb.11465:                            ;   in Loop: Header=BB6_10440 Depth=3
	v_lshrrev_b32_e32 v14, 24, v0
	v_and_b32_e32 v2, 0x7fffffff, v0
                                        ; implicit-def: $vgpr29
	s_mov_b32 s13, exec_lo
	s_delay_alu instid0(VALU_DEP_2) | instskip(NEXT) | instid1(VALU_DEP_2)
	v_and_b32_e32 v31, 0x80, v14
	v_cmpx_gt_u64_e32 0x43e00001, v[2:3]
	s_xor_b32 s74, exec_lo, s13
	s_cbranch_execz .LBB6_11479
; %bb.11466:                            ;   in Loop: Header=BB6_10440 Depth=3
	v_mov_b32_e32 v29, 0
	s_mov_b32 s75, exec_lo
	v_cmpx_ne_u32_e32 0, v0
	s_cbranch_execz .LBB6_11478
; %bb.11467:                            ;   in Loop: Header=BB6_10440 Depth=3
	v_bfe_u32 v29, v0, 23, 8
	v_and_b32_e32 v2, 0x7fffff, v0
	s_delay_alu instid0(VALU_DEP_2) | instskip(SKIP_2) | instid1(VALU_DEP_4)
	v_cmp_gt_u32_e64 s13, 0x7a, v29
	v_sub_nc_u32_e32 v0, 0x79, v29
	v_cmp_eq_u32_e32 vcc_lo, 0, v29
	v_or_b32_e32 v14, 0x800000, v2
	s_delay_alu instid0(VALU_DEP_1) | instskip(NEXT) | instid1(VALU_DEP_1)
	v_dual_cndmask_b32 v0, 0, v0, s13 :: v_dual_cndmask_b32 v2, v14, v2, vcc_lo
	v_cndmask_b32_e64 v0, v0, 0x78, vcc_lo
	s_delay_alu instid0(VALU_DEP_1) | instskip(NEXT) | instid1(VALU_DEP_1)
	v_dual_add_nc_u32 v14, 20, v0 :: v_dual_add_nc_u32 v16, 19, v0
	v_lshlrev_b64_e64 v[14:15], v14, -1
	s_delay_alu instid0(VALU_DEP_2) | instskip(NEXT) | instid1(VALU_DEP_2)
	v_lshlrev_b64_e64 v[16:17], v16, 1
	v_bfi_b32 v15, v15, 0, 0
	s_delay_alu instid0(VALU_DEP_3) | instskip(NEXT) | instid1(VALU_DEP_1)
	v_bfi_b32 v14, v14, 0, v2
	v_cmp_eq_u64_e64 s13, v[14:15], v[16:17]
	v_lshrrev_b64 v[14:15], v0, v[2:3]
	s_delay_alu instid0(VALU_DEP_1)
	v_mov_b64_e32 v[16:17], v[14:15]
	s_and_saveexec_b32 s76, s13
; %bb.11468:                            ;   in Loop: Header=BB6_10440 Depth=3
	v_bfe_u32 v2, v14, 20, 1
	s_delay_alu instid0(VALU_DEP_1) | instskip(NEXT) | instid1(VALU_DEP_1)
	v_add_nc_u64_e32 v[16:17], v[14:15], v[2:3]
	v_add_nc_u64_e32 v[16:17], -1, v[16:17]
; %bb.11469:                            ;   in Loop: Header=BB6_10440 Depth=3
	s_or_b32 exec_lo, exec_lo, s76
	v_add_nc_u32_e32 v2, 0xffffff81, v29
	v_lshrrev_b32_e32 v15, 23, v14
	s_mov_b32 s13, exec_lo
	s_delay_alu instid0(VALU_DEP_2) | instskip(NEXT) | instid1(VALU_DEP_1)
	v_cndmask_b32_e64 v2, v2, 0xffffff82, vcc_lo
	v_add3_u32 v17, v0, v2, v15
	v_and_b32_e32 v0, 0xfffff, v16
	s_delay_alu instid0(VALU_DEP_1) | instskip(NEXT) | instid1(VALU_DEP_1)
	v_dual_add_nc_u32 v16, 6, v17 :: v_dual_add_nc_u32 v2, v0, v14
                                        ; implicit-def: $vgpr14_vgpr15
                                        ; implicit-def: $vgpr0
	v_cmpx_ne_u32_e32 0, v16
	s_xor_b32 s13, exec_lo, s13
; %bb.11470:                            ;   in Loop: Header=BB6_10440 Depth=3
	s_delay_alu instid0(VALU_DEP_2) | instskip(SKIP_2) | instid1(VALU_DEP_2)
	v_cmp_lt_u64_e32 vcc_lo, 0xffffff, v[2:3]
	v_add_nc_u32_e32 v0, 7, v17
	v_cndmask_b32_e64 v14, 0, 1, vcc_lo
	v_cndmask_b32_e32 v0, v16, v0, vcc_lo
	s_delay_alu instid0(VALU_DEP_2)
	v_lshrrev_b64 v[14:15], v14, v[2:3]
; %bb.11471:                            ;   in Loop: Header=BB6_10440 Depth=3
	s_and_not1_saveexec_b32 s13, s13
; %bb.11472:                            ;   in Loop: Header=BB6_10440 Depth=3
	v_mov_b64_e32 v[14:15], v[2:3]
	v_bfe_u32 v0, v2, 23, 1
; %bb.11473:                            ;   in Loop: Header=BB6_10440 Depth=3
	s_or_b32 exec_lo, exec_lo, s13
	s_delay_alu instid0(VALU_DEP_2) | instskip(NEXT) | instid1(VALU_DEP_2)
	v_lshrrev_b64 v[14:15], 20, v[14:15]
	v_cmp_gt_i32_e32 vcc_lo, 16, v0
	v_cmp_ne_u32_e64 s13, 0, v0
                                        ; implicit-def: $vgpr29
	s_delay_alu instid0(VALU_DEP_3) | instskip(NEXT) | instid1(VALU_DEP_1)
	v_dual_cndmask_b32 v15, 0, v15 :: v_dual_cndmask_b32 v14, 7, v14
	v_cmp_ne_u64_e32 vcc_lo, 0, v[14:15]
	s_or_b32 s13, s13, vcc_lo
	s_delay_alu instid0(SALU_CYCLE_1) | instskip(NEXT) | instid1(SALU_CYCLE_1)
	s_and_saveexec_b32 s76, s13
	s_xor_b32 s13, exec_lo, s76
; %bb.11474:                            ;   in Loop: Header=BB6_10440 Depth=3
	v_min_i32_e32 v0, 15, v0
	s_delay_alu instid0(VALU_DEP_1) | instskip(NEXT) | instid1(VALU_DEP_1)
	v_lshl_or_b32 v0, v0, 3, v31
                                        ; implicit-def: $vgpr31
	v_and_or_b32 v29, v14, 7, v0
; %bb.11475:                            ;   in Loop: Header=BB6_10440 Depth=3
	s_and_not1_saveexec_b32 s13, s13
; %bb.11476:                            ;   in Loop: Header=BB6_10440 Depth=3
	v_mov_b32_e32 v29, v31
; %bb.11477:                            ;   in Loop: Header=BB6_10440 Depth=3
	s_or_b32 exec_lo, exec_lo, s13
.LBB6_11478:                            ;   in Loop: Header=BB6_10440 Depth=3
	s_delay_alu instid0(SALU_CYCLE_1)
	s_or_b32 exec_lo, exec_lo, s75
                                        ; implicit-def: $vgpr31
.LBB6_11479:                            ;   in Loop: Header=BB6_10440 Depth=3
	s_and_not1_saveexec_b32 s13, s74
; %bb.11480:                            ;   in Loop: Header=BB6_10440 Depth=3
	v_or_b32_e32 v29, 0x7e, v31
; %bb.11481:                            ;   in Loop: Header=BB6_10440 Depth=3
	s_or_b32 exec_lo, exec_lo, s13
                                        ; implicit-def: $vgpr0
.LBB6_11482:                            ;   in Loop: Header=BB6_10440 Depth=3
	s_and_not1_saveexec_b32 s13, s45
; %bb.11483:                            ;   in Loop: Header=BB6_10440 Depth=3
	v_lshrrev_b32_e32 v0, 24, v0
	s_delay_alu instid0(VALU_DEP_1)
	v_or_b32_e32 v29, 0x7f, v0
; %bb.11484:                            ;   in Loop: Header=BB6_10440 Depth=3
	s_or_b32 exec_lo, exec_lo, s13
	v_and_b32_e32 v0, 0xff, v27
	v_dual_mov_b32 v16, 0 :: v_dual_mov_b32 v17, 0
	s_mov_b32 s13, exec_lo
	s_delay_alu instid0(VALU_DEP_2)
	v_cmpx_ne_u16_e32 0, v0
	s_cbranch_execz .LBB6_11492
; %bb.11485:                            ;   in Loop: Header=BB6_10440 Depth=3
	v_bfrev_b32_e32 v17, 1
	s_mov_b32 s45, exec_lo
	v_cmpx_ne_u16_e32 0x80, v0
	s_cbranch_execz .LBB6_11491
; %bb.11486:                            ;   in Loop: Header=BB6_10440 Depth=3
	v_and_b32_e32 v14, 0x7f, v27
	v_mov_b32_e32 v17, 0x7f800001
	s_mov_b32 s74, exec_lo
	s_delay_alu instid0(VALU_DEP_2)
	v_cmpx_ne_u32_e32 0x7f, v14
	s_cbranch_execz .LBB6_11490
; %bb.11487:                            ;   in Loop: Header=BB6_10440 Depth=3
	v_dual_lshrrev_b32 v0, 3, v14 :: v_dual_bitop2_b32 v2, 7, v0 bitop3:0x40
	v_cmp_gt_u32_e32 vcc_lo, 8, v14
	s_delay_alu instid0(VALU_DEP_2)
	v_mov_b64_e32 v[14:15], v[2:3]
	s_and_saveexec_b32 s75, vcc_lo
; %bb.11488:                            ;   in Loop: Header=BB6_10440 Depth=3
	v_clz_i32_u32_e32 v0, v2
	s_delay_alu instid0(VALU_DEP_1) | instskip(NEXT) | instid1(VALU_DEP_1)
	v_min_u32_e32 v0, 32, v0
	v_subrev_nc_u32_e32 v14, 28, v0
	s_delay_alu instid0(VALU_DEP_1) | instskip(NEXT) | instid1(VALU_DEP_1)
	v_lshlrev_b64_e32 v[14:15], v14, v[2:3]
	v_dual_sub_nc_u32 v0, 29, v0 :: v_dual_bitop2_b32 v14, 7, v14 bitop3:0x40
; %bb.11489:                            ;   in Loop: Header=BB6_10440 Depth=3
	s_or_b32 exec_lo, exec_lo, s75
	s_delay_alu instid0(VALU_DEP_1) | instskip(NEXT) | instid1(VALU_DEP_2)
	v_dual_lshlrev_b32 v2, 24, v27 :: v_dual_lshlrev_b32 v14, 20, v14
	v_lshl_add_u32 v0, v0, 23, 0x3c000000
	s_delay_alu instid0(VALU_DEP_2) | instskip(NEXT) | instid1(VALU_DEP_1)
	v_and_b32_e32 v2, 0x80000000, v2
	v_or3_b32 v17, v14, v2, v0
.LBB6_11490:                            ;   in Loop: Header=BB6_10440 Depth=3
	s_or_b32 exec_lo, exec_lo, s74
.LBB6_11491:                            ;   in Loop: Header=BB6_10440 Depth=3
	s_delay_alu instid0(SALU_CYCLE_1)
	s_or_b32 exec_lo, exec_lo, s45
.LBB6_11492:                            ;   in Loop: Header=BB6_10440 Depth=3
	s_delay_alu instid0(SALU_CYCLE_1) | instskip(SKIP_3) | instid1(VALU_DEP_1)
	s_or_b32 exec_lo, exec_lo, s13
	s_wait_loadcnt_dscnt 0x202
	v_and_b32_e32 v0, 0xff, v26
	s_mov_b32 s13, exec_lo
	v_cmpx_ne_u16_e32 0, v0
	s_cbranch_execz .LBB6_11500
; %bb.11493:                            ;   in Loop: Header=BB6_10440 Depth=3
	v_bfrev_b32_e32 v16, 1
	s_mov_b32 s45, exec_lo
	v_cmpx_ne_u16_e32 0x80, v0
	s_cbranch_execz .LBB6_11499
; %bb.11494:                            ;   in Loop: Header=BB6_10440 Depth=3
	v_and_b32_e32 v14, 0x7f, v26
	v_mov_b32_e32 v16, 0x7f800001
	s_mov_b32 s74, exec_lo
	s_delay_alu instid0(VALU_DEP_2)
	v_cmpx_ne_u32_e32 0x7f, v14
	s_cbranch_execz .LBB6_11498
; %bb.11495:                            ;   in Loop: Header=BB6_10440 Depth=3
	v_dual_lshrrev_b32 v0, 3, v14 :: v_dual_bitop2_b32 v2, 7, v0 bitop3:0x40
	v_cmp_gt_u32_e32 vcc_lo, 8, v14
	s_delay_alu instid0(VALU_DEP_2)
	v_mov_b64_e32 v[14:15], v[2:3]
	s_and_saveexec_b32 s75, vcc_lo
; %bb.11496:                            ;   in Loop: Header=BB6_10440 Depth=3
	v_clz_i32_u32_e32 v0, v2
	s_delay_alu instid0(VALU_DEP_1) | instskip(NEXT) | instid1(VALU_DEP_1)
	v_min_u32_e32 v0, 32, v0
	v_subrev_nc_u32_e32 v14, 28, v0
	s_delay_alu instid0(VALU_DEP_1) | instskip(NEXT) | instid1(VALU_DEP_1)
	v_lshlrev_b64_e32 v[14:15], v14, v[2:3]
	v_dual_sub_nc_u32 v0, 29, v0 :: v_dual_bitop2_b32 v14, 7, v14 bitop3:0x40
; %bb.11497:                            ;   in Loop: Header=BB6_10440 Depth=3
	s_or_b32 exec_lo, exec_lo, s75
	v_lshlrev_b32_e32 v2, 24, v26
	s_delay_alu instid0(VALU_DEP_2) | instskip(NEXT) | instid1(VALU_DEP_3)
	v_lshlrev_b32_e32 v14, 20, v14
	v_lshl_add_u32 v0, v0, 23, 0x3c000000
	s_delay_alu instid0(VALU_DEP_3) | instskip(NEXT) | instid1(VALU_DEP_1)
	v_and_b32_e32 v2, 0x80000000, v2
	v_or3_b32 v16, v14, v2, v0
.LBB6_11498:                            ;   in Loop: Header=BB6_10440 Depth=3
	s_or_b32 exec_lo, exec_lo, s74
.LBB6_11499:                            ;   in Loop: Header=BB6_10440 Depth=3
	s_delay_alu instid0(SALU_CYCLE_1)
	s_or_b32 exec_lo, exec_lo, s45
.LBB6_11500:                            ;   in Loop: Header=BB6_10440 Depth=3
	s_delay_alu instid0(SALU_CYCLE_1) | instskip(NEXT) | instid1(VALU_DEP_1)
	s_or_b32 exec_lo, exec_lo, s13
	v_add_f32_e32 v0, v17, v16
                                        ; implicit-def: $vgpr26
	s_mov_b32 s13, exec_lo
	s_delay_alu instid0(VALU_DEP_1) | instskip(NEXT) | instid1(VALU_DEP_1)
	v_and_b32_e32 v2, 0x7f800000, v0
	v_cmpx_ne_u64_e32 0x7f800000, v[2:3]
	s_xor_b32 s45, exec_lo, s13
	s_cbranch_execz .LBB6_11518
; %bb.11501:                            ;   in Loop: Header=BB6_10440 Depth=3
	v_lshrrev_b32_e32 v14, 24, v0
	v_and_b32_e32 v2, 0x7fffffff, v0
                                        ; implicit-def: $vgpr26
	s_mov_b32 s13, exec_lo
	s_delay_alu instid0(VALU_DEP_2) | instskip(NEXT) | instid1(VALU_DEP_2)
	v_and_b32_e32 v27, 0x80, v14
	v_cmpx_gt_u64_e32 0x43e00001, v[2:3]
	s_xor_b32 s74, exec_lo, s13
	s_cbranch_execz .LBB6_11515
; %bb.11502:                            ;   in Loop: Header=BB6_10440 Depth=3
	v_mov_b32_e32 v26, 0
	s_mov_b32 s75, exec_lo
	v_cmpx_ne_u32_e32 0, v0
	s_cbranch_execz .LBB6_11514
; %bb.11503:                            ;   in Loop: Header=BB6_10440 Depth=3
	v_bfe_u32 v26, v0, 23, 8
	v_and_b32_e32 v2, 0x7fffff, v0
	s_delay_alu instid0(VALU_DEP_2) | instskip(SKIP_2) | instid1(VALU_DEP_4)
	v_cmp_gt_u32_e64 s13, 0x7a, v26
	v_sub_nc_u32_e32 v0, 0x79, v26
	v_cmp_eq_u32_e32 vcc_lo, 0, v26
	v_or_b32_e32 v14, 0x800000, v2
	s_delay_alu instid0(VALU_DEP_1) | instskip(NEXT) | instid1(VALU_DEP_1)
	v_dual_cndmask_b32 v0, 0, v0, s13 :: v_dual_cndmask_b32 v2, v14, v2, vcc_lo
	v_cndmask_b32_e64 v0, v0, 0x78, vcc_lo
	s_delay_alu instid0(VALU_DEP_1) | instskip(NEXT) | instid1(VALU_DEP_1)
	v_dual_add_nc_u32 v14, 20, v0 :: v_dual_add_nc_u32 v16, 19, v0
	v_lshlrev_b64_e64 v[14:15], v14, -1
	s_delay_alu instid0(VALU_DEP_2) | instskip(NEXT) | instid1(VALU_DEP_2)
	v_lshlrev_b64_e64 v[16:17], v16, 1
	v_bfi_b32 v15, v15, 0, 0
	s_delay_alu instid0(VALU_DEP_3) | instskip(NEXT) | instid1(VALU_DEP_1)
	v_bfi_b32 v14, v14, 0, v2
	v_cmp_eq_u64_e64 s13, v[14:15], v[16:17]
	v_lshrrev_b64 v[14:15], v0, v[2:3]
	s_delay_alu instid0(VALU_DEP_1)
	v_mov_b64_e32 v[16:17], v[14:15]
	s_and_saveexec_b32 s76, s13
; %bb.11504:                            ;   in Loop: Header=BB6_10440 Depth=3
	v_bfe_u32 v2, v14, 20, 1
	s_delay_alu instid0(VALU_DEP_1) | instskip(NEXT) | instid1(VALU_DEP_1)
	v_add_nc_u64_e32 v[16:17], v[14:15], v[2:3]
	v_add_nc_u64_e32 v[16:17], -1, v[16:17]
; %bb.11505:                            ;   in Loop: Header=BB6_10440 Depth=3
	s_or_b32 exec_lo, exec_lo, s76
	v_add_nc_u32_e32 v2, 0xffffff81, v26
	v_lshrrev_b32_e32 v15, 23, v14
	s_mov_b32 s13, exec_lo
	s_delay_alu instid0(VALU_DEP_2) | instskip(NEXT) | instid1(VALU_DEP_1)
	v_cndmask_b32_e64 v2, v2, 0xffffff82, vcc_lo
	v_add3_u32 v17, v0, v2, v15
	v_and_b32_e32 v0, 0xfffff, v16
	s_delay_alu instid0(VALU_DEP_1) | instskip(NEXT) | instid1(VALU_DEP_1)
	v_dual_add_nc_u32 v16, 6, v17 :: v_dual_add_nc_u32 v2, v0, v14
                                        ; implicit-def: $vgpr14_vgpr15
                                        ; implicit-def: $vgpr0
	v_cmpx_ne_u32_e32 0, v16
	s_xor_b32 s13, exec_lo, s13
; %bb.11506:                            ;   in Loop: Header=BB6_10440 Depth=3
	s_delay_alu instid0(VALU_DEP_2) | instskip(SKIP_2) | instid1(VALU_DEP_2)
	v_cmp_lt_u64_e32 vcc_lo, 0xffffff, v[2:3]
	v_add_nc_u32_e32 v0, 7, v17
	v_cndmask_b32_e64 v14, 0, 1, vcc_lo
	v_cndmask_b32_e32 v0, v16, v0, vcc_lo
	s_delay_alu instid0(VALU_DEP_2)
	v_lshrrev_b64 v[14:15], v14, v[2:3]
; %bb.11507:                            ;   in Loop: Header=BB6_10440 Depth=3
	s_and_not1_saveexec_b32 s13, s13
; %bb.11508:                            ;   in Loop: Header=BB6_10440 Depth=3
	v_mov_b64_e32 v[14:15], v[2:3]
	v_bfe_u32 v0, v2, 23, 1
; %bb.11509:                            ;   in Loop: Header=BB6_10440 Depth=3
	s_or_b32 exec_lo, exec_lo, s13
	s_delay_alu instid0(VALU_DEP_2) | instskip(NEXT) | instid1(VALU_DEP_2)
	v_lshrrev_b64 v[14:15], 20, v[14:15]
	v_cmp_gt_i32_e32 vcc_lo, 16, v0
	v_cmp_ne_u32_e64 s13, 0, v0
                                        ; implicit-def: $vgpr26
	s_delay_alu instid0(VALU_DEP_3) | instskip(NEXT) | instid1(VALU_DEP_1)
	v_dual_cndmask_b32 v15, 0, v15 :: v_dual_cndmask_b32 v14, 7, v14
	v_cmp_ne_u64_e32 vcc_lo, 0, v[14:15]
	s_or_b32 s13, s13, vcc_lo
	s_delay_alu instid0(SALU_CYCLE_1) | instskip(NEXT) | instid1(SALU_CYCLE_1)
	s_and_saveexec_b32 s76, s13
	s_xor_b32 s13, exec_lo, s76
; %bb.11510:                            ;   in Loop: Header=BB6_10440 Depth=3
	v_min_i32_e32 v0, 15, v0
	s_delay_alu instid0(VALU_DEP_1) | instskip(NEXT) | instid1(VALU_DEP_1)
	v_lshl_or_b32 v0, v0, 3, v27
                                        ; implicit-def: $vgpr27
	v_and_or_b32 v26, v14, 7, v0
; %bb.11511:                            ;   in Loop: Header=BB6_10440 Depth=3
	s_and_not1_saveexec_b32 s13, s13
; %bb.11512:                            ;   in Loop: Header=BB6_10440 Depth=3
	v_mov_b32_e32 v26, v27
; %bb.11513:                            ;   in Loop: Header=BB6_10440 Depth=3
	s_or_b32 exec_lo, exec_lo, s13
.LBB6_11514:                            ;   in Loop: Header=BB6_10440 Depth=3
	s_delay_alu instid0(SALU_CYCLE_1)
	s_or_b32 exec_lo, exec_lo, s75
                                        ; implicit-def: $vgpr27
.LBB6_11515:                            ;   in Loop: Header=BB6_10440 Depth=3
	s_and_not1_saveexec_b32 s13, s74
; %bb.11516:                            ;   in Loop: Header=BB6_10440 Depth=3
	v_or_b32_e32 v26, 0x7e, v27
; %bb.11517:                            ;   in Loop: Header=BB6_10440 Depth=3
	s_or_b32 exec_lo, exec_lo, s13
                                        ; implicit-def: $vgpr0
.LBB6_11518:                            ;   in Loop: Header=BB6_10440 Depth=3
	s_and_not1_saveexec_b32 s13, s45
; %bb.11519:                            ;   in Loop: Header=BB6_10440 Depth=3
	v_lshrrev_b32_e32 v0, 24, v0
	s_delay_alu instid0(VALU_DEP_1)
	v_or_b32_e32 v26, 0x7f, v0
; %bb.11520:                            ;   in Loop: Header=BB6_10440 Depth=3
	s_or_b32 exec_lo, exec_lo, s13
	v_and_b32_e32 v0, 0xff, v24
	v_dual_mov_b32 v16, 0 :: v_dual_mov_b32 v17, 0
	s_mov_b32 s13, exec_lo
	s_delay_alu instid0(VALU_DEP_2)
	v_cmpx_ne_u16_e32 0, v0
	s_cbranch_execz .LBB6_11528
; %bb.11521:                            ;   in Loop: Header=BB6_10440 Depth=3
	v_bfrev_b32_e32 v17, 1
	s_mov_b32 s45, exec_lo
	v_cmpx_ne_u16_e32 0x80, v0
	s_cbranch_execz .LBB6_11527
; %bb.11522:                            ;   in Loop: Header=BB6_10440 Depth=3
	v_and_b32_e32 v14, 0x7f, v24
	v_mov_b32_e32 v17, 0x7f800001
	s_mov_b32 s74, exec_lo
	s_delay_alu instid0(VALU_DEP_2)
	v_cmpx_ne_u32_e32 0x7f, v14
	s_cbranch_execz .LBB6_11526
; %bb.11523:                            ;   in Loop: Header=BB6_10440 Depth=3
	v_dual_lshrrev_b32 v0, 3, v14 :: v_dual_bitop2_b32 v2, 7, v0 bitop3:0x40
	v_cmp_gt_u32_e32 vcc_lo, 8, v14
	s_delay_alu instid0(VALU_DEP_2)
	v_mov_b64_e32 v[14:15], v[2:3]
	s_and_saveexec_b32 s75, vcc_lo
; %bb.11524:                            ;   in Loop: Header=BB6_10440 Depth=3
	v_clz_i32_u32_e32 v0, v2
	s_delay_alu instid0(VALU_DEP_1) | instskip(NEXT) | instid1(VALU_DEP_1)
	v_min_u32_e32 v0, 32, v0
	v_subrev_nc_u32_e32 v14, 28, v0
	s_delay_alu instid0(VALU_DEP_1) | instskip(NEXT) | instid1(VALU_DEP_1)
	v_lshlrev_b64_e32 v[14:15], v14, v[2:3]
	v_dual_sub_nc_u32 v0, 29, v0 :: v_dual_bitop2_b32 v14, 7, v14 bitop3:0x40
; %bb.11525:                            ;   in Loop: Header=BB6_10440 Depth=3
	s_or_b32 exec_lo, exec_lo, s75
	s_delay_alu instid0(VALU_DEP_1) | instskip(NEXT) | instid1(VALU_DEP_2)
	v_dual_lshlrev_b32 v2, 24, v24 :: v_dual_lshlrev_b32 v14, 20, v14
	v_lshl_add_u32 v0, v0, 23, 0x3c000000
	s_delay_alu instid0(VALU_DEP_2) | instskip(NEXT) | instid1(VALU_DEP_1)
	v_and_b32_e32 v2, 0x80000000, v2
	v_or3_b32 v17, v14, v2, v0
.LBB6_11526:                            ;   in Loop: Header=BB6_10440 Depth=3
	s_or_b32 exec_lo, exec_lo, s74
.LBB6_11527:                            ;   in Loop: Header=BB6_10440 Depth=3
	s_delay_alu instid0(SALU_CYCLE_1)
	s_or_b32 exec_lo, exec_lo, s45
.LBB6_11528:                            ;   in Loop: Header=BB6_10440 Depth=3
	s_delay_alu instid0(SALU_CYCLE_1) | instskip(SKIP_3) | instid1(VALU_DEP_1)
	s_or_b32 exec_lo, exec_lo, s13
	s_wait_loadcnt_dscnt 0x101
	v_and_b32_e32 v0, 0xff, v23
	s_mov_b32 s13, exec_lo
	v_cmpx_ne_u16_e32 0, v0
	s_cbranch_execz .LBB6_11536
; %bb.11529:                            ;   in Loop: Header=BB6_10440 Depth=3
	v_bfrev_b32_e32 v16, 1
	s_mov_b32 s45, exec_lo
	v_cmpx_ne_u16_e32 0x80, v0
	s_cbranch_execz .LBB6_11535
; %bb.11530:                            ;   in Loop: Header=BB6_10440 Depth=3
	v_and_b32_e32 v14, 0x7f, v23
	v_mov_b32_e32 v16, 0x7f800001
	s_mov_b32 s74, exec_lo
	s_delay_alu instid0(VALU_DEP_2)
	v_cmpx_ne_u32_e32 0x7f, v14
	s_cbranch_execz .LBB6_11534
; %bb.11531:                            ;   in Loop: Header=BB6_10440 Depth=3
	v_dual_lshrrev_b32 v0, 3, v14 :: v_dual_bitop2_b32 v2, 7, v0 bitop3:0x40
	v_cmp_gt_u32_e32 vcc_lo, 8, v14
	s_delay_alu instid0(VALU_DEP_2)
	v_mov_b64_e32 v[14:15], v[2:3]
	s_and_saveexec_b32 s75, vcc_lo
; %bb.11532:                            ;   in Loop: Header=BB6_10440 Depth=3
	v_clz_i32_u32_e32 v0, v2
	s_delay_alu instid0(VALU_DEP_1) | instskip(NEXT) | instid1(VALU_DEP_1)
	v_min_u32_e32 v0, 32, v0
	v_subrev_nc_u32_e32 v14, 28, v0
	s_delay_alu instid0(VALU_DEP_1) | instskip(NEXT) | instid1(VALU_DEP_1)
	v_lshlrev_b64_e32 v[14:15], v14, v[2:3]
	v_dual_sub_nc_u32 v0, 29, v0 :: v_dual_bitop2_b32 v14, 7, v14 bitop3:0x40
; %bb.11533:                            ;   in Loop: Header=BB6_10440 Depth=3
	s_or_b32 exec_lo, exec_lo, s75
	s_delay_alu instid0(VALU_DEP_1) | instskip(NEXT) | instid1(VALU_DEP_2)
	v_dual_lshlrev_b32 v2, 24, v23 :: v_dual_lshlrev_b32 v14, 20, v14
	v_lshl_add_u32 v0, v0, 23, 0x3c000000
	s_delay_alu instid0(VALU_DEP_2) | instskip(NEXT) | instid1(VALU_DEP_1)
	v_and_b32_e32 v2, 0x80000000, v2
	v_or3_b32 v16, v14, v2, v0
.LBB6_11534:                            ;   in Loop: Header=BB6_10440 Depth=3
	s_or_b32 exec_lo, exec_lo, s74
.LBB6_11535:                            ;   in Loop: Header=BB6_10440 Depth=3
	s_delay_alu instid0(SALU_CYCLE_1)
	s_or_b32 exec_lo, exec_lo, s45
.LBB6_11536:                            ;   in Loop: Header=BB6_10440 Depth=3
	s_delay_alu instid0(SALU_CYCLE_1) | instskip(NEXT) | instid1(VALU_DEP_1)
	s_or_b32 exec_lo, exec_lo, s13
	v_add_f32_e32 v0, v17, v16
                                        ; implicit-def: $vgpr23
	s_mov_b32 s13, exec_lo
	s_delay_alu instid0(VALU_DEP_1) | instskip(NEXT) | instid1(VALU_DEP_1)
	v_and_b32_e32 v2, 0x7f800000, v0
	v_cmpx_ne_u64_e32 0x7f800000, v[2:3]
	s_xor_b32 s45, exec_lo, s13
	s_cbranch_execz .LBB6_11554
; %bb.11537:                            ;   in Loop: Header=BB6_10440 Depth=3
	v_lshrrev_b32_e32 v14, 24, v0
	v_and_b32_e32 v2, 0x7fffffff, v0
                                        ; implicit-def: $vgpr23
	s_mov_b32 s13, exec_lo
	s_delay_alu instid0(VALU_DEP_2) | instskip(NEXT) | instid1(VALU_DEP_2)
	v_and_b32_e32 v24, 0x80, v14
	v_cmpx_gt_u64_e32 0x43e00001, v[2:3]
	s_xor_b32 s74, exec_lo, s13
	s_cbranch_execz .LBB6_11551
; %bb.11538:                            ;   in Loop: Header=BB6_10440 Depth=3
	v_mov_b32_e32 v23, 0
	s_mov_b32 s75, exec_lo
	v_cmpx_ne_u32_e32 0, v0
	s_cbranch_execz .LBB6_11550
; %bb.11539:                            ;   in Loop: Header=BB6_10440 Depth=3
	v_bfe_u32 v23, v0, 23, 8
	v_and_b32_e32 v2, 0x7fffff, v0
	s_delay_alu instid0(VALU_DEP_2) | instskip(SKIP_2) | instid1(VALU_DEP_4)
	v_cmp_gt_u32_e64 s13, 0x7a, v23
	v_sub_nc_u32_e32 v0, 0x79, v23
	v_cmp_eq_u32_e32 vcc_lo, 0, v23
	v_or_b32_e32 v14, 0x800000, v2
	s_delay_alu instid0(VALU_DEP_1) | instskip(NEXT) | instid1(VALU_DEP_1)
	v_dual_cndmask_b32 v0, 0, v0, s13 :: v_dual_cndmask_b32 v2, v14, v2, vcc_lo
	v_cndmask_b32_e64 v0, v0, 0x78, vcc_lo
	s_delay_alu instid0(VALU_DEP_1) | instskip(NEXT) | instid1(VALU_DEP_1)
	v_dual_add_nc_u32 v14, 20, v0 :: v_dual_add_nc_u32 v16, 19, v0
	v_lshlrev_b64_e64 v[14:15], v14, -1
	s_delay_alu instid0(VALU_DEP_2) | instskip(NEXT) | instid1(VALU_DEP_2)
	v_lshlrev_b64_e64 v[16:17], v16, 1
	v_bfi_b32 v15, v15, 0, 0
	s_delay_alu instid0(VALU_DEP_3) | instskip(NEXT) | instid1(VALU_DEP_1)
	v_bfi_b32 v14, v14, 0, v2
	v_cmp_eq_u64_e64 s13, v[14:15], v[16:17]
	v_lshrrev_b64 v[14:15], v0, v[2:3]
	s_delay_alu instid0(VALU_DEP_1)
	v_mov_b64_e32 v[16:17], v[14:15]
	s_and_saveexec_b32 s76, s13
; %bb.11540:                            ;   in Loop: Header=BB6_10440 Depth=3
	v_bfe_u32 v2, v14, 20, 1
	s_delay_alu instid0(VALU_DEP_1) | instskip(NEXT) | instid1(VALU_DEP_1)
	v_add_nc_u64_e32 v[16:17], v[14:15], v[2:3]
	v_add_nc_u64_e32 v[16:17], -1, v[16:17]
; %bb.11541:                            ;   in Loop: Header=BB6_10440 Depth=3
	s_or_b32 exec_lo, exec_lo, s76
	v_add_nc_u32_e32 v2, 0xffffff81, v23
	v_lshrrev_b32_e32 v15, 23, v14
	s_mov_b32 s13, exec_lo
	s_delay_alu instid0(VALU_DEP_2) | instskip(NEXT) | instid1(VALU_DEP_1)
	v_cndmask_b32_e64 v2, v2, 0xffffff82, vcc_lo
	v_add3_u32 v17, v0, v2, v15
	v_and_b32_e32 v0, 0xfffff, v16
	s_delay_alu instid0(VALU_DEP_1) | instskip(NEXT) | instid1(VALU_DEP_1)
	v_dual_add_nc_u32 v16, 6, v17 :: v_dual_add_nc_u32 v2, v0, v14
                                        ; implicit-def: $vgpr14_vgpr15
                                        ; implicit-def: $vgpr0
	v_cmpx_ne_u32_e32 0, v16
	s_xor_b32 s13, exec_lo, s13
; %bb.11542:                            ;   in Loop: Header=BB6_10440 Depth=3
	s_delay_alu instid0(VALU_DEP_2) | instskip(SKIP_2) | instid1(VALU_DEP_2)
	v_cmp_lt_u64_e32 vcc_lo, 0xffffff, v[2:3]
	v_add_nc_u32_e32 v0, 7, v17
	v_cndmask_b32_e64 v14, 0, 1, vcc_lo
	v_cndmask_b32_e32 v0, v16, v0, vcc_lo
	s_delay_alu instid0(VALU_DEP_2)
	v_lshrrev_b64 v[14:15], v14, v[2:3]
; %bb.11543:                            ;   in Loop: Header=BB6_10440 Depth=3
	s_and_not1_saveexec_b32 s13, s13
; %bb.11544:                            ;   in Loop: Header=BB6_10440 Depth=3
	v_mov_b64_e32 v[14:15], v[2:3]
	v_bfe_u32 v0, v2, 23, 1
; %bb.11545:                            ;   in Loop: Header=BB6_10440 Depth=3
	s_or_b32 exec_lo, exec_lo, s13
	s_delay_alu instid0(VALU_DEP_2) | instskip(NEXT) | instid1(VALU_DEP_2)
	v_lshrrev_b64 v[14:15], 20, v[14:15]
	v_cmp_gt_i32_e32 vcc_lo, 16, v0
	v_cmp_ne_u32_e64 s13, 0, v0
                                        ; implicit-def: $vgpr23
	s_delay_alu instid0(VALU_DEP_3) | instskip(NEXT) | instid1(VALU_DEP_1)
	v_dual_cndmask_b32 v15, 0, v15 :: v_dual_cndmask_b32 v14, 7, v14
	v_cmp_ne_u64_e32 vcc_lo, 0, v[14:15]
	s_or_b32 s13, s13, vcc_lo
	s_delay_alu instid0(SALU_CYCLE_1) | instskip(NEXT) | instid1(SALU_CYCLE_1)
	s_and_saveexec_b32 s76, s13
	s_xor_b32 s13, exec_lo, s76
; %bb.11546:                            ;   in Loop: Header=BB6_10440 Depth=3
	v_min_i32_e32 v0, 15, v0
	s_delay_alu instid0(VALU_DEP_1) | instskip(NEXT) | instid1(VALU_DEP_1)
	v_lshl_or_b32 v0, v0, 3, v24
                                        ; implicit-def: $vgpr24
	v_and_or_b32 v23, v14, 7, v0
; %bb.11547:                            ;   in Loop: Header=BB6_10440 Depth=3
	s_and_not1_saveexec_b32 s13, s13
; %bb.11548:                            ;   in Loop: Header=BB6_10440 Depth=3
	v_mov_b32_e32 v23, v24
; %bb.11549:                            ;   in Loop: Header=BB6_10440 Depth=3
	s_or_b32 exec_lo, exec_lo, s13
.LBB6_11550:                            ;   in Loop: Header=BB6_10440 Depth=3
	s_delay_alu instid0(SALU_CYCLE_1)
	s_or_b32 exec_lo, exec_lo, s75
                                        ; implicit-def: $vgpr24
.LBB6_11551:                            ;   in Loop: Header=BB6_10440 Depth=3
	s_and_not1_saveexec_b32 s13, s74
; %bb.11552:                            ;   in Loop: Header=BB6_10440 Depth=3
	v_or_b32_e32 v23, 0x7e, v24
; %bb.11553:                            ;   in Loop: Header=BB6_10440 Depth=3
	s_or_b32 exec_lo, exec_lo, s13
                                        ; implicit-def: $vgpr0
.LBB6_11554:                            ;   in Loop: Header=BB6_10440 Depth=3
	s_and_not1_saveexec_b32 s13, s45
; %bb.11555:                            ;   in Loop: Header=BB6_10440 Depth=3
	v_lshrrev_b32_e32 v0, 24, v0
	s_delay_alu instid0(VALU_DEP_1)
	v_or_b32_e32 v23, 0x7f, v0
; %bb.11556:                            ;   in Loop: Header=BB6_10440 Depth=3
	s_or_b32 exec_lo, exec_lo, s13
	v_and_b32_e32 v0, 0xff, v21
	v_dual_mov_b32 v16, 0 :: v_dual_mov_b32 v17, 0
	s_mov_b32 s13, exec_lo
	s_delay_alu instid0(VALU_DEP_2)
	v_cmpx_ne_u16_e32 0, v0
	s_cbranch_execz .LBB6_11564
; %bb.11557:                            ;   in Loop: Header=BB6_10440 Depth=3
	v_bfrev_b32_e32 v17, 1
	s_mov_b32 s45, exec_lo
	v_cmpx_ne_u16_e32 0x80, v0
	s_cbranch_execz .LBB6_11563
; %bb.11558:                            ;   in Loop: Header=BB6_10440 Depth=3
	v_and_b32_e32 v14, 0x7f, v21
	v_mov_b32_e32 v17, 0x7f800001
	s_mov_b32 s74, exec_lo
	s_delay_alu instid0(VALU_DEP_2)
	v_cmpx_ne_u32_e32 0x7f, v14
	s_cbranch_execz .LBB6_11562
; %bb.11559:                            ;   in Loop: Header=BB6_10440 Depth=3
	v_dual_lshrrev_b32 v0, 3, v14 :: v_dual_bitop2_b32 v2, 7, v0 bitop3:0x40
	v_cmp_gt_u32_e32 vcc_lo, 8, v14
	s_delay_alu instid0(VALU_DEP_2)
	v_mov_b64_e32 v[14:15], v[2:3]
	s_and_saveexec_b32 s75, vcc_lo
; %bb.11560:                            ;   in Loop: Header=BB6_10440 Depth=3
	v_clz_i32_u32_e32 v0, v2
	s_delay_alu instid0(VALU_DEP_1) | instskip(NEXT) | instid1(VALU_DEP_1)
	v_min_u32_e32 v0, 32, v0
	v_subrev_nc_u32_e32 v14, 28, v0
	s_delay_alu instid0(VALU_DEP_1) | instskip(NEXT) | instid1(VALU_DEP_1)
	v_lshlrev_b64_e32 v[14:15], v14, v[2:3]
	v_dual_sub_nc_u32 v0, 29, v0 :: v_dual_bitop2_b32 v14, 7, v14 bitop3:0x40
; %bb.11561:                            ;   in Loop: Header=BB6_10440 Depth=3
	s_or_b32 exec_lo, exec_lo, s75
	s_delay_alu instid0(VALU_DEP_1) | instskip(NEXT) | instid1(VALU_DEP_2)
	v_dual_lshlrev_b32 v2, 24, v21 :: v_dual_lshlrev_b32 v14, 20, v14
	v_lshl_add_u32 v0, v0, 23, 0x3c000000
	s_delay_alu instid0(VALU_DEP_2) | instskip(NEXT) | instid1(VALU_DEP_1)
	v_and_b32_e32 v2, 0x80000000, v2
	v_or3_b32 v17, v14, v2, v0
.LBB6_11562:                            ;   in Loop: Header=BB6_10440 Depth=3
	s_or_b32 exec_lo, exec_lo, s74
.LBB6_11563:                            ;   in Loop: Header=BB6_10440 Depth=3
	s_delay_alu instid0(SALU_CYCLE_1)
	s_or_b32 exec_lo, exec_lo, s45
.LBB6_11564:                            ;   in Loop: Header=BB6_10440 Depth=3
	s_delay_alu instid0(SALU_CYCLE_1) | instskip(SKIP_3) | instid1(VALU_DEP_1)
	s_or_b32 exec_lo, exec_lo, s13
	s_wait_loadcnt_dscnt 0x0
	v_and_b32_e32 v0, 0xff, v20
	s_mov_b32 s13, exec_lo
	v_cmpx_ne_u16_e32 0, v0
	s_cbranch_execz .LBB6_11572
; %bb.11565:                            ;   in Loop: Header=BB6_10440 Depth=3
	v_bfrev_b32_e32 v16, 1
	s_mov_b32 s45, exec_lo
	v_cmpx_ne_u16_e32 0x80, v0
	s_cbranch_execz .LBB6_11571
; %bb.11566:                            ;   in Loop: Header=BB6_10440 Depth=3
	v_and_b32_e32 v14, 0x7f, v20
	v_mov_b32_e32 v16, 0x7f800001
	s_mov_b32 s74, exec_lo
	s_delay_alu instid0(VALU_DEP_2)
	v_cmpx_ne_u32_e32 0x7f, v14
	s_cbranch_execz .LBB6_11570
; %bb.11567:                            ;   in Loop: Header=BB6_10440 Depth=3
	v_dual_lshrrev_b32 v0, 3, v14 :: v_dual_bitop2_b32 v2, 7, v0 bitop3:0x40
	v_cmp_gt_u32_e32 vcc_lo, 8, v14
	s_delay_alu instid0(VALU_DEP_2)
	v_mov_b64_e32 v[14:15], v[2:3]
	s_and_saveexec_b32 s75, vcc_lo
; %bb.11568:                            ;   in Loop: Header=BB6_10440 Depth=3
	v_clz_i32_u32_e32 v0, v2
	s_delay_alu instid0(VALU_DEP_1) | instskip(NEXT) | instid1(VALU_DEP_1)
	v_min_u32_e32 v0, 32, v0
	v_subrev_nc_u32_e32 v14, 28, v0
	s_delay_alu instid0(VALU_DEP_1) | instskip(NEXT) | instid1(VALU_DEP_1)
	v_lshlrev_b64_e32 v[14:15], v14, v[2:3]
	v_dual_sub_nc_u32 v0, 29, v0 :: v_dual_bitop2_b32 v14, 7, v14 bitop3:0x40
; %bb.11569:                            ;   in Loop: Header=BB6_10440 Depth=3
	s_or_b32 exec_lo, exec_lo, s75
	s_delay_alu instid0(VALU_DEP_1) | instskip(NEXT) | instid1(VALU_DEP_2)
	v_dual_lshlrev_b32 v2, 24, v20 :: v_dual_lshlrev_b32 v14, 20, v14
	v_lshl_add_u32 v0, v0, 23, 0x3c000000
	s_delay_alu instid0(VALU_DEP_2) | instskip(NEXT) | instid1(VALU_DEP_1)
	v_and_b32_e32 v2, 0x80000000, v2
	v_or3_b32 v16, v14, v2, v0
.LBB6_11570:                            ;   in Loop: Header=BB6_10440 Depth=3
	s_or_b32 exec_lo, exec_lo, s74
.LBB6_11571:                            ;   in Loop: Header=BB6_10440 Depth=3
	s_delay_alu instid0(SALU_CYCLE_1)
	s_or_b32 exec_lo, exec_lo, s45
.LBB6_11572:                            ;   in Loop: Header=BB6_10440 Depth=3
	s_delay_alu instid0(SALU_CYCLE_1) | instskip(NEXT) | instid1(VALU_DEP_1)
	s_or_b32 exec_lo, exec_lo, s13
	v_add_f32_e32 v0, v17, v16
	s_delay_alu instid0(VALU_DEP_1) | instskip(NEXT) | instid1(VALU_DEP_1)
	v_and_b32_e32 v2, 0x7f800000, v0
	v_cmp_ne_u64_e32 vcc_lo, 0x7f800000, v[2:3]
                                        ; implicit-def: $vgpr2
	s_and_saveexec_b32 s13, vcc_lo
	s_delay_alu instid0(SALU_CYCLE_1)
	s_xor_b32 s45, exec_lo, s13
	s_cbranch_execz .LBB6_11590
; %bb.11573:                            ;   in Loop: Header=BB6_10440 Depth=3
	v_and_b32_e32 v2, 0x7fffffff, v0
	v_lshrrev_b32_e32 v14, 24, v0
	s_delay_alu instid0(VALU_DEP_2) | instskip(NEXT) | instid1(VALU_DEP_2)
	v_cmp_gt_u64_e32 vcc_lo, 0x43e00001, v[2:3]
	v_and_b32_e32 v20, 0x80, v14
                                        ; implicit-def: $vgpr2
	s_and_saveexec_b32 s13, vcc_lo
	s_delay_alu instid0(SALU_CYCLE_1)
	s_xor_b32 s74, exec_lo, s13
	s_cbranch_execz .LBB6_11587
; %bb.11574:                            ;   in Loop: Header=BB6_10440 Depth=3
	v_mov_b32_e32 v2, 0
	s_mov_b32 s75, exec_lo
	v_cmpx_ne_u32_e32 0, v0
	s_cbranch_execz .LBB6_11586
; %bb.11575:                            ;   in Loop: Header=BB6_10440 Depth=3
	v_bfe_u32 v21, v0, 23, 8
	v_and_b32_e32 v2, 0x7fffff, v0
	s_delay_alu instid0(VALU_DEP_2) | instskip(SKIP_2) | instid1(VALU_DEP_4)
	v_cmp_gt_u32_e64 s13, 0x7a, v21
	v_sub_nc_u32_e32 v0, 0x79, v21
	v_cmp_eq_u32_e32 vcc_lo, 0, v21
	v_or_b32_e32 v14, 0x800000, v2
	s_delay_alu instid0(VALU_DEP_1) | instskip(NEXT) | instid1(VALU_DEP_1)
	v_dual_cndmask_b32 v0, 0, v0, s13 :: v_dual_cndmask_b32 v2, v14, v2, vcc_lo
	v_cndmask_b32_e64 v0, v0, 0x78, vcc_lo
	s_delay_alu instid0(VALU_DEP_1) | instskip(NEXT) | instid1(VALU_DEP_1)
	v_dual_add_nc_u32 v14, 20, v0 :: v_dual_add_nc_u32 v16, 19, v0
	v_lshlrev_b64_e64 v[14:15], v14, -1
	s_delay_alu instid0(VALU_DEP_2) | instskip(NEXT) | instid1(VALU_DEP_2)
	v_lshlrev_b64_e64 v[16:17], v16, 1
	v_bfi_b32 v15, v15, 0, 0
	s_delay_alu instid0(VALU_DEP_3) | instskip(NEXT) | instid1(VALU_DEP_1)
	v_bfi_b32 v14, v14, 0, v2
	v_cmp_eq_u64_e64 s13, v[14:15], v[16:17]
	v_lshrrev_b64 v[14:15], v0, v[2:3]
	s_delay_alu instid0(VALU_DEP_1)
	v_mov_b64_e32 v[16:17], v[14:15]
	s_and_saveexec_b32 s76, s13
; %bb.11576:                            ;   in Loop: Header=BB6_10440 Depth=3
	v_bfe_u32 v2, v14, 20, 1
	s_delay_alu instid0(VALU_DEP_1) | instskip(NEXT) | instid1(VALU_DEP_1)
	v_add_nc_u64_e32 v[16:17], v[14:15], v[2:3]
	v_add_nc_u64_e32 v[16:17], -1, v[16:17]
; %bb.11577:                            ;   in Loop: Header=BB6_10440 Depth=3
	s_or_b32 exec_lo, exec_lo, s76
	v_add_nc_u32_e32 v2, 0xffffff81, v21
	v_lshrrev_b32_e32 v15, 23, v14
	s_mov_b32 s13, exec_lo
	s_delay_alu instid0(VALU_DEP_2) | instskip(NEXT) | instid1(VALU_DEP_1)
	v_cndmask_b32_e64 v2, v2, 0xffffff82, vcc_lo
	v_add3_u32 v17, v0, v2, v15
	v_and_b32_e32 v0, 0xfffff, v16
	s_delay_alu instid0(VALU_DEP_1) | instskip(NEXT) | instid1(VALU_DEP_1)
	v_dual_add_nc_u32 v16, 6, v17 :: v_dual_add_nc_u32 v2, v0, v14
                                        ; implicit-def: $vgpr14_vgpr15
                                        ; implicit-def: $vgpr0
	v_cmpx_ne_u32_e32 0, v16
	s_xor_b32 s13, exec_lo, s13
; %bb.11578:                            ;   in Loop: Header=BB6_10440 Depth=3
	s_delay_alu instid0(VALU_DEP_2) | instskip(SKIP_2) | instid1(VALU_DEP_2)
	v_cmp_lt_u64_e32 vcc_lo, 0xffffff, v[2:3]
	v_add_nc_u32_e32 v0, 7, v17
	v_cndmask_b32_e64 v14, 0, 1, vcc_lo
	v_cndmask_b32_e32 v0, v16, v0, vcc_lo
	s_delay_alu instid0(VALU_DEP_2)
	v_lshrrev_b64 v[14:15], v14, v[2:3]
; %bb.11579:                            ;   in Loop: Header=BB6_10440 Depth=3
	s_and_not1_saveexec_b32 s13, s13
; %bb.11580:                            ;   in Loop: Header=BB6_10440 Depth=3
	v_mov_b64_e32 v[14:15], v[2:3]
	v_bfe_u32 v0, v2, 23, 1
; %bb.11581:                            ;   in Loop: Header=BB6_10440 Depth=3
	s_or_b32 exec_lo, exec_lo, s13
	s_delay_alu instid0(VALU_DEP_2) | instskip(NEXT) | instid1(VALU_DEP_2)
	v_lshrrev_b64 v[14:15], 20, v[14:15]
	v_cmp_gt_i32_e32 vcc_lo, 16, v0
	v_cmp_ne_u32_e64 s13, 0, v0
                                        ; implicit-def: $vgpr2
	s_delay_alu instid0(VALU_DEP_3) | instskip(NEXT) | instid1(VALU_DEP_1)
	v_dual_cndmask_b32 v15, 0, v15 :: v_dual_cndmask_b32 v14, 7, v14
	v_cmp_ne_u64_e32 vcc_lo, 0, v[14:15]
	s_or_b32 s13, s13, vcc_lo
	s_delay_alu instid0(SALU_CYCLE_1) | instskip(NEXT) | instid1(SALU_CYCLE_1)
	s_and_saveexec_b32 s76, s13
	s_xor_b32 s13, exec_lo, s76
; %bb.11582:                            ;   in Loop: Header=BB6_10440 Depth=3
	v_min_i32_e32 v0, 15, v0
	s_delay_alu instid0(VALU_DEP_1) | instskip(NEXT) | instid1(VALU_DEP_1)
	v_lshl_or_b32 v0, v0, 3, v20
                                        ; implicit-def: $vgpr20
	v_and_or_b32 v2, v14, 7, v0
; %bb.11583:                            ;   in Loop: Header=BB6_10440 Depth=3
	s_and_not1_saveexec_b32 s13, s13
; %bb.11584:                            ;   in Loop: Header=BB6_10440 Depth=3
	v_mov_b32_e32 v2, v20
; %bb.11585:                            ;   in Loop: Header=BB6_10440 Depth=3
	s_or_b32 exec_lo, exec_lo, s13
.LBB6_11586:                            ;   in Loop: Header=BB6_10440 Depth=3
	s_delay_alu instid0(SALU_CYCLE_1)
	s_or_b32 exec_lo, exec_lo, s75
                                        ; implicit-def: $vgpr20
.LBB6_11587:                            ;   in Loop: Header=BB6_10440 Depth=3
	s_and_not1_saveexec_b32 s13, s74
; %bb.11588:                            ;   in Loop: Header=BB6_10440 Depth=3
	v_or_b32_e32 v2, 0x7e, v20
; %bb.11589:                            ;   in Loop: Header=BB6_10440 Depth=3
	s_or_b32 exec_lo, exec_lo, s13
                                        ; implicit-def: $vgpr0
.LBB6_11590:                            ;   in Loop: Header=BB6_10440 Depth=3
	s_and_not1_saveexec_b32 s13, s45
	s_cbranch_execz .LBB6_10439
; %bb.11591:                            ;   in Loop: Header=BB6_10440 Depth=3
	v_lshrrev_b32_e32 v0, 24, v0
	s_delay_alu instid0(VALU_DEP_1)
	v_or_b32_e32 v2, 0x7f, v0
	s_branch .LBB6_10439
.LBB6_11592:                            ;   in Loop: Header=BB6_4163 Depth=2
	s_or_b32 exec_lo, exec_lo, s44
	s_clause 0x1
	scratch_load_b32 v42, off, s33 offset:212
	scratch_load_b32 v95, off, s33 offset:216
	v_dual_mov_b32 v43, 1 :: v_dual_mov_b32 v94, 0x90
.LBB6_11593:                            ;   in Loop: Header=BB6_4163 Depth=2
	s_wait_xcnt 0x0
	s_or_b32 exec_lo, exec_lo, s15
	v_lshlrev_b32_e32 v0, 10, v19
	s_delay_alu instid0(VALU_DEP_1)
	v_cmp_ne_u32_e32 vcc_lo, v4, v0
	s_and_b32 exec_lo, exec_lo, vcc_lo
	s_cbranch_execz .LBB6_11633
; %bb.11594:                            ;   in Loop: Header=BB6_4163 Depth=2
	v_ashrrev_i32_e32 v2, 31, v5
	s_delay_alu instid0(VALU_DEP_1) | instskip(NEXT) | instid1(VALU_DEP_1)
	v_lshrrev_b32_e32 v2, 27, v2
	v_add_nc_u32_e32 v2, v5, v2
	s_delay_alu instid0(VALU_DEP_1) | instskip(NEXT) | instid1(VALU_DEP_1)
	v_and_b32_e32 v2, 0xffffffe0, v2
	v_sub_nc_u32_e32 v2, v5, v2
	v_lshlrev_b32_e32 v5, 5, v18
	s_delay_alu instid0(VALU_DEP_1) | instskip(NEXT) | instid1(VALU_DEP_1)
	v_sub_nc_u32_e32 v2, v2, v5
	v_add_nc_u32_e32 v0, v0, v2
	s_delay_alu instid0(VALU_DEP_1) | instskip(NEXT) | instid1(VALU_DEP_1)
	v_sub_nc_u32_e32 v4, v4, v0
	v_cmp_lt_i32_e32 vcc_lo, 0, v4
	s_and_b32 exec_lo, exec_lo, vcc_lo
	s_cbranch_execz .LBB6_11633
; %bb.11595:                            ;   in Loop: Header=BB6_4163 Depth=2
	s_trap 2
	ds_load_b128 v[8:11], v0
	ds_load_b64 v[12:13], v0
	v_add_nc_u32_e32 v0, v0, v1
	s_mov_b32 s15, 0
	s_delay_alu instid0(VALU_DEP_1) | instskip(SKIP_1) | instid1(VALU_DEP_1)
	v_ashrrev_i32_e32 v1, 31, v0
	s_wait_dscnt 0x1
	v_add_nc_u64_e32 v[8:9], v[8:9], v[0:1]
	v_add_nc_u64_e32 v[10:11], v[10:11], v[0:1]
	s_wait_dscnt 0x0
	v_add_nc_u64_e32 v[12:13], v[12:13], v[0:1]
	s_branch .LBB6_11597
.LBB6_11596:                            ;   in Loop: Header=BB6_11597 Depth=3
	s_or_b32 exec_lo, exec_lo, s13
	v_sub_nc_u32_e32 v4, v4, v86
	flat_store_b8 v[12:13], v2 th:TH_STORE_NT
	v_add_nc_u64_e32 v[8:9], v[8:9], v[86:87]
	v_add_nc_u64_e32 v[10:11], v[10:11], v[86:87]
	s_wait_xcnt 0x0
	v_add_nc_u64_e32 v[12:13], v[12:13], v[86:87]
	v_cmp_gt_i32_e32 vcc_lo, 1, v4
	s_or_b32 s15, vcc_lo, s15
	s_delay_alu instid0(SALU_CYCLE_1)
	s_and_not1_b32 exec_lo, exec_lo, s15
	s_cbranch_execz .LBB6_11633
.LBB6_11597:                            ;   Parent Loop BB6_47 Depth=1
                                        ;     Parent Loop BB6_4163 Depth=2
                                        ; =>    This Inner Loop Header: Depth=3
	flat_load_u8 v0, v[8:9] th:TH_LOAD_NT
	flat_load_u8 v1, v[10:11] th:TH_LOAD_NT
	v_dual_mov_b32 v5, 0 :: v_dual_mov_b32 v16, 0
	s_mov_b32 s13, exec_lo
	s_wait_loadcnt_dscnt 0x101
	s_wait_xcnt 0x0
	v_cmpx_ne_u16_e32 0, v0
	s_cbranch_execz .LBB6_11605
; %bb.11598:                            ;   in Loop: Header=BB6_11597 Depth=3
	v_bfrev_b32_e32 v16, 1
	s_mov_b32 s44, exec_lo
	v_cmpx_ne_u16_e32 0x80, v0
	s_cbranch_execz .LBB6_11604
; %bb.11599:                            ;   in Loop: Header=BB6_11597 Depth=3
	v_and_b32_e32 v2, 0xffff, v0
	v_mov_b32_e32 v16, 0x7f800001
	s_mov_b32 s45, exec_lo
	s_delay_alu instid0(VALU_DEP_2) | instskip(NEXT) | instid1(VALU_DEP_1)
	v_and_b32_e32 v14, 0x7f, v2
	v_cmpx_ne_u32_e32 0x7f, v14
	s_cbranch_execz .LBB6_11603
; %bb.11600:                            ;   in Loop: Header=BB6_11597 Depth=3
	v_and_b32_e32 v2, 7, v2
	v_lshrrev_b32_e32 v16, 3, v14
	v_cmp_gt_u32_e32 vcc_lo, 8, v14
	s_delay_alu instid0(VALU_DEP_3)
	v_mov_b64_e32 v[14:15], v[2:3]
	s_and_saveexec_b32 s74, vcc_lo
; %bb.11601:                            ;   in Loop: Header=BB6_11597 Depth=3
	v_clz_i32_u32_e32 v14, v2
	s_delay_alu instid0(VALU_DEP_1) | instskip(NEXT) | instid1(VALU_DEP_1)
	v_min_u32_e32 v16, 32, v14
	v_subrev_nc_u32_e32 v14, 28, v16
	s_delay_alu instid0(VALU_DEP_1) | instskip(NEXT) | instid1(VALU_DEP_1)
	v_lshlrev_b64_e32 v[14:15], v14, v[2:3]
	v_dual_sub_nc_u32 v16, 29, v16 :: v_dual_bitop2_b32 v14, 7, v14 bitop3:0x40
; %bb.11602:                            ;   in Loop: Header=BB6_11597 Depth=3
	s_or_b32 exec_lo, exec_lo, s74
	s_delay_alu instid0(VALU_DEP_1) | instskip(NEXT) | instid1(VALU_DEP_2)
	v_dual_lshlrev_b32 v0, 24, v0 :: v_dual_lshlrev_b32 v2, 20, v14
	v_lshl_add_u32 v14, v16, 23, 0x3c000000
	s_delay_alu instid0(VALU_DEP_2) | instskip(NEXT) | instid1(VALU_DEP_1)
	v_and_b32_e32 v0, 0x80000000, v0
	v_or3_b32 v16, v2, v0, v14
.LBB6_11603:                            ;   in Loop: Header=BB6_11597 Depth=3
	s_or_b32 exec_lo, exec_lo, s45
.LBB6_11604:                            ;   in Loop: Header=BB6_11597 Depth=3
	s_delay_alu instid0(SALU_CYCLE_1)
	s_or_b32 exec_lo, exec_lo, s44
.LBB6_11605:                            ;   in Loop: Header=BB6_11597 Depth=3
	s_delay_alu instid0(SALU_CYCLE_1) | instskip(SKIP_3) | instid1(VALU_DEP_1)
	s_or_b32 exec_lo, exec_lo, s13
	s_wait_loadcnt_dscnt 0x0
	v_and_b32_e32 v0, 0xff, v1
	s_mov_b32 s13, exec_lo
	v_cmpx_ne_u16_e32 0, v0
	s_cbranch_execz .LBB6_11613
; %bb.11606:                            ;   in Loop: Header=BB6_11597 Depth=3
	v_bfrev_b32_e32 v5, 1
	s_mov_b32 s44, exec_lo
	v_cmpx_ne_u16_e32 0x80, v0
	s_cbranch_execz .LBB6_11612
; %bb.11607:                            ;   in Loop: Header=BB6_11597 Depth=3
	v_and_b32_e32 v14, 0x7f, v1
	v_mov_b32_e32 v5, 0x7f800001
	s_mov_b32 s45, exec_lo
	s_delay_alu instid0(VALU_DEP_2)
	v_cmpx_ne_u32_e32 0x7f, v14
	s_cbranch_execz .LBB6_11611
; %bb.11608:                            ;   in Loop: Header=BB6_11597 Depth=3
	v_dual_lshrrev_b32 v0, 3, v14 :: v_dual_bitop2_b32 v2, 7, v0 bitop3:0x40
	v_cmp_gt_u32_e32 vcc_lo, 8, v14
	s_delay_alu instid0(VALU_DEP_2)
	v_mov_b64_e32 v[14:15], v[2:3]
	s_and_saveexec_b32 s74, vcc_lo
; %bb.11609:                            ;   in Loop: Header=BB6_11597 Depth=3
	v_clz_i32_u32_e32 v0, v2
	s_delay_alu instid0(VALU_DEP_1) | instskip(NEXT) | instid1(VALU_DEP_1)
	v_min_u32_e32 v0, 32, v0
	v_subrev_nc_u32_e32 v5, 28, v0
	s_delay_alu instid0(VALU_DEP_1) | instskip(NEXT) | instid1(VALU_DEP_1)
	v_lshlrev_b64_e32 v[14:15], v5, v[2:3]
	v_dual_sub_nc_u32 v0, 29, v0 :: v_dual_bitop2_b32 v14, 7, v14 bitop3:0x40
; %bb.11610:                            ;   in Loop: Header=BB6_11597 Depth=3
	s_or_b32 exec_lo, exec_lo, s74
	s_delay_alu instid0(VALU_DEP_1) | instskip(NEXT) | instid1(VALU_DEP_2)
	v_dual_lshlrev_b32 v1, 24, v1 :: v_dual_lshlrev_b32 v2, 20, v14
	v_lshl_add_u32 v0, v0, 23, 0x3c000000
	s_delay_alu instid0(VALU_DEP_2) | instskip(NEXT) | instid1(VALU_DEP_1)
	v_and_b32_e32 v1, 0x80000000, v1
	v_or3_b32 v5, v2, v1, v0
.LBB6_11611:                            ;   in Loop: Header=BB6_11597 Depth=3
	s_or_b32 exec_lo, exec_lo, s45
.LBB6_11612:                            ;   in Loop: Header=BB6_11597 Depth=3
	s_delay_alu instid0(SALU_CYCLE_1)
	s_or_b32 exec_lo, exec_lo, s44
.LBB6_11613:                            ;   in Loop: Header=BB6_11597 Depth=3
	s_delay_alu instid0(SALU_CYCLE_1) | instskip(NEXT) | instid1(VALU_DEP_1)
	s_or_b32 exec_lo, exec_lo, s13
	v_add_f32_e32 v0, v16, v5
	s_delay_alu instid0(VALU_DEP_1) | instskip(NEXT) | instid1(VALU_DEP_1)
	v_and_b32_e32 v2, 0x7f800000, v0
	v_cmp_ne_u64_e32 vcc_lo, 0x7f800000, v[2:3]
                                        ; implicit-def: $vgpr2
	s_and_saveexec_b32 s13, vcc_lo
	s_delay_alu instid0(SALU_CYCLE_1)
	s_xor_b32 s44, exec_lo, s13
	s_cbranch_execz .LBB6_11631
; %bb.11614:                            ;   in Loop: Header=BB6_11597 Depth=3
	v_and_b32_e32 v2, 0x7fffffff, v0
	v_lshrrev_b32_e32 v1, 24, v0
	s_delay_alu instid0(VALU_DEP_2) | instskip(NEXT) | instid1(VALU_DEP_2)
	v_cmp_gt_u64_e32 vcc_lo, 0x43e00001, v[2:3]
	v_and_b32_e32 v1, 0x80, v1
                                        ; implicit-def: $vgpr2
	s_and_saveexec_b32 s13, vcc_lo
	s_delay_alu instid0(SALU_CYCLE_1)
	s_xor_b32 s45, exec_lo, s13
	s_cbranch_execz .LBB6_11628
; %bb.11615:                            ;   in Loop: Header=BB6_11597 Depth=3
	v_mov_b32_e32 v2, 0
	s_mov_b32 s74, exec_lo
	v_cmpx_ne_u32_e32 0, v0
	s_cbranch_execz .LBB6_11627
; %bb.11616:                            ;   in Loop: Header=BB6_11597 Depth=3
	v_bfe_u32 v5, v0, 23, 8
	v_and_b32_e32 v0, 0x7fffff, v0
	s_delay_alu instid0(VALU_DEP_2) | instskip(SKIP_1) | instid1(VALU_DEP_3)
	v_sub_nc_u32_e32 v2, 0x79, v5
	v_cmp_gt_u32_e32 vcc_lo, 0x7a, v5
	v_or_b32_e32 v16, 0x800000, v0
	s_delay_alu instid0(VALU_DEP_3) | instskip(SKIP_1) | instid1(VALU_DEP_2)
	v_cndmask_b32_e32 v2, 0, v2, vcc_lo
	v_cmp_eq_u32_e32 vcc_lo, 0, v5
	v_cndmask_b32_e64 v18, v2, 0x78, vcc_lo
	s_delay_alu instid0(VALU_DEP_1) | instskip(NEXT) | instid1(VALU_DEP_1)
	v_dual_add_nc_u32 v2, 20, v18 :: v_dual_add_nc_u32 v17, 19, v18
	v_lshlrev_b64_e64 v[14:15], v2, -1
	v_cndmask_b32_e32 v2, v16, v0, vcc_lo
	s_delay_alu instid0(VALU_DEP_3) | instskip(NEXT) | instid1(VALU_DEP_3)
	v_lshlrev_b64_e64 v[16:17], v17, 1
	v_bfi_b32 v21, v15, 0, 0
	s_delay_alu instid0(VALU_DEP_3) | instskip(SKIP_1) | instid1(VALU_DEP_2)
	v_bfi_b32 v20, v14, 0, v2
	v_lshrrev_b64 v[14:15], v18, v[2:3]
	v_cmp_eq_u64_e64 s13, v[20:21], v[16:17]
	s_delay_alu instid0(VALU_DEP_2)
	v_mov_b64_e32 v[16:17], v[14:15]
	s_and_saveexec_b32 s75, s13
; %bb.11617:                            ;   in Loop: Header=BB6_11597 Depth=3
	v_bfe_u32 v2, v14, 20, 1
	s_delay_alu instid0(VALU_DEP_1) | instskip(NEXT) | instid1(VALU_DEP_1)
	v_add_nc_u64_e32 v[16:17], v[14:15], v[2:3]
	v_add_nc_u64_e32 v[16:17], -1, v[16:17]
; %bb.11618:                            ;   in Loop: Header=BB6_11597 Depth=3
	s_or_b32 exec_lo, exec_lo, s75
	v_add_nc_u32_e32 v0, 0xffffff81, v5
	v_lshrrev_b32_e32 v2, 23, v14
	s_mov_b32 s13, exec_lo
	s_delay_alu instid0(VALU_DEP_2) | instskip(NEXT) | instid1(VALU_DEP_1)
	v_cndmask_b32_e64 v0, v0, 0xffffff82, vcc_lo
	v_add3_u32 v5, v18, v0, v2
	v_and_b32_e32 v0, 0xfffff, v16
	s_delay_alu instid0(VALU_DEP_1) | instskip(NEXT) | instid1(VALU_DEP_1)
	v_dual_add_nc_u32 v16, 6, v5 :: v_dual_add_nc_u32 v2, v0, v14
                                        ; implicit-def: $vgpr14_vgpr15
                                        ; implicit-def: $vgpr0
	v_cmpx_ne_u32_e32 0, v16
	s_xor_b32 s13, exec_lo, s13
; %bb.11619:                            ;   in Loop: Header=BB6_11597 Depth=3
	s_delay_alu instid0(VALU_DEP_2) | instskip(SKIP_2) | instid1(VALU_DEP_2)
	v_cmp_lt_u64_e32 vcc_lo, 0xffffff, v[2:3]
	v_add_nc_u32_e32 v0, 7, v5
	v_cndmask_b32_e64 v5, 0, 1, vcc_lo
	v_cndmask_b32_e32 v0, v16, v0, vcc_lo
	s_delay_alu instid0(VALU_DEP_2)
	v_lshrrev_b64 v[14:15], v5, v[2:3]
; %bb.11620:                            ;   in Loop: Header=BB6_11597 Depth=3
	s_and_not1_saveexec_b32 s13, s13
; %bb.11621:                            ;   in Loop: Header=BB6_11597 Depth=3
	v_mov_b64_e32 v[14:15], v[2:3]
	v_bfe_u32 v0, v2, 23, 1
; %bb.11622:                            ;   in Loop: Header=BB6_11597 Depth=3
	s_or_b32 exec_lo, exec_lo, s13
	s_delay_alu instid0(VALU_DEP_2) | instskip(NEXT) | instid1(VALU_DEP_2)
	v_lshrrev_b64 v[14:15], 20, v[14:15]
	v_cmp_gt_i32_e32 vcc_lo, 16, v0
	v_cmp_ne_u32_e64 s13, 0, v0
                                        ; implicit-def: $vgpr2
	s_delay_alu instid0(VALU_DEP_3) | instskip(NEXT) | instid1(VALU_DEP_1)
	v_dual_cndmask_b32 v15, 0, v15 :: v_dual_cndmask_b32 v14, 7, v14
	v_cmp_ne_u64_e32 vcc_lo, 0, v[14:15]
	s_or_b32 s13, s13, vcc_lo
	s_delay_alu instid0(SALU_CYCLE_1) | instskip(NEXT) | instid1(SALU_CYCLE_1)
	s_and_saveexec_b32 s75, s13
	s_xor_b32 s13, exec_lo, s75
; %bb.11623:                            ;   in Loop: Header=BB6_11597 Depth=3
	v_min_i32_e32 v0, 15, v0
	s_delay_alu instid0(VALU_DEP_1) | instskip(NEXT) | instid1(VALU_DEP_1)
	v_lshl_or_b32 v0, v0, 3, v1
                                        ; implicit-def: $vgpr1
	v_and_or_b32 v2, v14, 7, v0
; %bb.11624:                            ;   in Loop: Header=BB6_11597 Depth=3
	s_and_not1_saveexec_b32 s13, s13
; %bb.11625:                            ;   in Loop: Header=BB6_11597 Depth=3
	v_mov_b32_e32 v2, v1
; %bb.11626:                            ;   in Loop: Header=BB6_11597 Depth=3
	s_or_b32 exec_lo, exec_lo, s13
.LBB6_11627:                            ;   in Loop: Header=BB6_11597 Depth=3
	s_delay_alu instid0(SALU_CYCLE_1)
	s_or_b32 exec_lo, exec_lo, s74
                                        ; implicit-def: $vgpr1
.LBB6_11628:                            ;   in Loop: Header=BB6_11597 Depth=3
	s_and_not1_saveexec_b32 s13, s45
; %bb.11629:                            ;   in Loop: Header=BB6_11597 Depth=3
	v_or_b32_e32 v2, 0x7e, v1
; %bb.11630:                            ;   in Loop: Header=BB6_11597 Depth=3
	s_or_b32 exec_lo, exec_lo, s13
                                        ; implicit-def: $vgpr0
.LBB6_11631:                            ;   in Loop: Header=BB6_11597 Depth=3
	s_and_not1_saveexec_b32 s13, s44
	s_cbranch_execz .LBB6_11596
; %bb.11632:                            ;   in Loop: Header=BB6_11597 Depth=3
	v_lshrrev_b32_e32 v0, 24, v0
	s_delay_alu instid0(VALU_DEP_1)
	v_or_b32_e32 v2, 0x7f, v0
	s_branch .LBB6_11596
.LBB6_11633:                            ;   in Loop: Header=BB6_4163 Depth=2
	s_or_b32 exec_lo, exec_lo, s14
.LBB6_11634:                            ;   in Loop: Header=BB6_4163 Depth=2
	v_cmp_lt_i32_e64 s13, 0, v75
	s_wait_xcnt 0x0
	s_and_saveexec_b32 s14, s2
	s_cbranch_execnz .LBB6_11635
; %bb.12281:                            ;   in Loop: Header=BB6_4163 Depth=2
	s_add_pc_i64 .LBB6_4239-.Lpost_addpc30
.Lpost_addpc30:
.LBB6_11635:                            ;   in Loop: Header=BB6_4163 Depth=2
	s_and_saveexec_b32 s15, s3
	s_delay_alu instid0(SALU_CYCLE_1)
	s_xor_b32 s15, exec_lo, s15
	s_cbranch_execz .LBB6_11650
; %bb.11636:                            ;   in Loop: Header=BB6_4163 Depth=2
	s_and_saveexec_b32 s44, s6
	s_cbranch_execz .LBB6_11649
; %bb.11637:                            ;   in Loop: Header=BB6_4163 Depth=2
	s_mov_b32 s74, exec_lo
	s_mov_b32 s45, exec_lo
	v_mbcnt_lo_u32_b32 v0, s74, 0
	global_wb scope:SCOPE_DEV
	s_wait_storecnt 0x0
	s_wait_loadcnt_dscnt 0x0
	global_inv scope:SCOPE_DEV
	v_cmpx_eq_u32_e32 0, v0
	s_cbranch_execz .LBB6_11639
; %bb.11638:                            ;   in Loop: Header=BB6_4163 Depth=2
	s_bcnt1_i32_b32 s74, s74
	s_delay_alu instid0(SALU_CYCLE_1)
	v_mov_b32_e32 v2, s74
	s_wait_loadcnt 0x0
	ds_add_u64 v0, v[2:3]
	s_trap 2
.LBB6_11639:                            ;   in Loop: Header=BB6_4163 Depth=2
	s_or_b32 exec_lo, exec_lo, s45
	s_trap 2
	ds_load_b64 v[0:1], v0
	s_wait_dscnt 0x0
	v_add_nc_u64_e32 v[80:81], v[80:81], v[84:85]
	s_mov_b32 s45, exec_lo
	s_delay_alu instid0(VALU_DEP_1)
	v_cmpx_lt_u64_e64 v[0:1], v[80:81]
	s_cbranch_execz .LBB6_11648
; %bb.11640:                            ;   in Loop: Header=BB6_4163 Depth=2
	s_mov_b32 s74, 0
	s_mov_b32 s77, 0
                                        ; implicit-def: $sgpr75
                                        ; implicit-def: $sgpr76
	s_branch .LBB6_11642
.LBB6_11641:                            ;   in Loop: Header=BB6_11642 Depth=3
	s_or_b32 exec_lo, exec_lo, s79
	s_delay_alu instid0(SALU_CYCLE_1) | instskip(NEXT) | instid1(SALU_CYCLE_1)
	s_and_b32 s78, exec_lo, s88
	s_or_b32 s74, s78, s74
	s_and_not1_b32 s75, s75, exec_lo
	s_and_b32 s78, s76, exec_lo
	s_delay_alu instid0(SALU_CYCLE_1)
	s_or_b32 s75, s75, s78
	s_and_not1_b32 exec_lo, exec_lo, s74
	s_cbranch_execz .LBB6_11646
.LBB6_11642:                            ;   Parent Loop BB6_47 Depth=1
                                        ;     Parent Loop BB6_4163 Depth=2
                                        ; =>    This Inner Loop Header: Depth=3
	s_add_co_i32 s77, s77, 1
	s_delay_alu instid0(SALU_CYCLE_1) | instskip(SKIP_1) | instid1(SALU_CYCLE_1)
	s_cmp_lg_u32 s77, 0x2710
	s_cselect_b32 s78, -1, 0
	s_and_b32 vcc_lo, exec_lo, s78
	s_cbranch_vccz .LBB6_11644
; %bb.11643:                            ;   in Loop: Header=BB6_11642 Depth=3
	s_mov_b32 s88, -1
	s_or_b32 s76, s76, exec_lo
	s_and_saveexec_b32 s79, s78
	s_cbranch_execz .LBB6_11641
	s_branch .LBB6_11645
.LBB6_11644:                            ;   in Loop: Header=BB6_11642 Depth=3
	s_trap 2
	ds_load_b64 v[0:1], v0
	s_and_not1_b32 s78, s78, exec_lo
	s_mov_b32 s77, 0
	s_wait_loadcnt_dscnt 0x0
	flat_load_b32 v0, v[0:1] scope:SCOPE_SYS
	s_wait_loadcnt_dscnt 0x0
	global_inv scope:SCOPE_SYS
	v_cmp_eq_u32_e32 vcc_lo, 0, v0
	s_and_b32 s79, vcc_lo, exec_lo
	s_delay_alu instid0(SALU_CYCLE_1)
	s_or_b32 s78, s78, s79
	s_mov_b32 s88, -1
	s_or_b32 s76, s76, exec_lo
	s_wait_xcnt 0x0
	s_and_saveexec_b32 s79, s78
	s_cbranch_execz .LBB6_11641
.LBB6_11645:                            ;   in Loop: Header=BB6_11642 Depth=3
	s_sleep 1
	s_trap 2
	ds_load_b64 v[0:1], v0
	s_wait_dscnt 0x0
	s_and_not1_b32 s76, s76, exec_lo
	v_cmp_ge_u64_e32 vcc_lo, v[0:1], v[80:81]
	s_or_not1_b32 s88, vcc_lo, exec_lo
	s_branch .LBB6_11641
.LBB6_11646:                            ;   in Loop: Header=BB6_4163 Depth=2
	s_or_b32 exec_lo, exec_lo, s74
	s_and_saveexec_b32 s74, s75
	s_delay_alu instid0(SALU_CYCLE_1)
	s_xor_b32 s74, exec_lo, s74
	s_cbranch_execz .LBB6_11648
; %bb.11647:                            ;   in Loop: Header=BB6_4163 Depth=2
	ds_store_b32 v0, v43
	s_trap 2
.LBB6_11648:                            ;   in Loop: Header=BB6_4163 Depth=2
	s_or_b32 exec_lo, exec_lo, s45
	;;#ASMSTART
	s_wakeup
	;;#ASMEND
.LBB6_11649:                            ;   in Loop: Header=BB6_4163 Depth=2
	s_or_b32 exec_lo, exec_lo, s44
.LBB6_11650:                            ;   in Loop: Header=BB6_4163 Depth=2
	s_and_not1_saveexec_b32 s15, s15
	s_cbranch_execz .LBB6_11652
; %bb.11651:                            ;   in Loop: Header=BB6_4163 Depth=2
	global_wb scope:SCOPE_DEV
	s_wait_storecnt 0x0
	s_wait_loadcnt_dscnt 0x0
	global_inv scope:SCOPE_DEV
	s_barrier_signal -1
	s_barrier_wait -1
.LBB6_11652:                            ;   in Loop: Header=BB6_4163 Depth=2
	s_or_b32 exec_lo, exec_lo, s15
	s_delay_alu instid0(SALU_CYCLE_1) | instskip(SKIP_1) | instid1(SALU_CYCLE_1)
	s_or_b32 exec_lo, exec_lo, s14
                                        ; implicit-def: $vgpr0
	s_and_saveexec_b32 s14, s10
	s_xor_b32 s14, exec_lo, s14
	s_cbranch_execz .LBB6_11653
; %bb.12283:                            ;   in Loop: Header=BB6_4163 Depth=2
	s_add_pc_i64 .LBB6_4240-.Lpost_addpc31
.Lpost_addpc31:
.LBB6_11653:                            ;   in Loop: Header=BB6_4163 Depth=2
	s_and_not1_saveexec_b32 s13, s14
	s_cbranch_execz .LBB6_11672
.LBB6_11654:                            ;   in Loop: Header=BB6_4163 Depth=2
	s_and_saveexec_b32 s14, s3
	s_delay_alu instid0(SALU_CYCLE_1)
	s_xor_b32 s14, exec_lo, s14
	s_cbranch_execz .LBB6_11669
; %bb.11655:                            ;   in Loop: Header=BB6_4163 Depth=2
	s_and_saveexec_b32 s15, s6
	s_cbranch_execz .LBB6_11668
; %bb.11656:                            ;   in Loop: Header=BB6_4163 Depth=2
	s_mov_b32 s45, exec_lo
	s_mov_b32 s44, exec_lo
	v_mbcnt_lo_u32_b32 v0, s45, 0
	;;#ASMSTART
	s_waitcnt lgkmcnt(0) vmcnt(0)
	;;#ASMEND
	s_delay_alu instid0(VALU_DEP_1)
	v_cmpx_eq_u32_e32 0, v0
	s_cbranch_execz .LBB6_11658
; %bb.11657:                            ;   in Loop: Header=BB6_4163 Depth=2
	s_bcnt1_i32_b32 s45, s45
	s_delay_alu instid0(SALU_CYCLE_1)
	v_mov_b32_e32 v2, s45
	s_wait_storecnt 0x0
	s_wait_loadcnt_dscnt 0x0
	ds_add_u64 v0, v[2:3]
	s_trap 2
.LBB6_11658:                            ;   in Loop: Header=BB6_4163 Depth=2
	s_or_b32 exec_lo, exec_lo, s44
	s_trap 2
	ds_load_b64 v[0:1], v0
	s_wait_dscnt 0x0
	v_add_nc_u64_e32 v[80:81], v[80:81], v[84:85]
	s_mov_b32 s44, exec_lo
	s_delay_alu instid0(VALU_DEP_1)
	v_cmpx_lt_u64_e64 v[0:1], v[80:81]
	s_cbranch_execz .LBB6_11667
; %bb.11659:                            ;   in Loop: Header=BB6_4163 Depth=2
	s_mov_b32 s45, 0
	s_mov_b32 s76, 0
                                        ; implicit-def: $sgpr74
                                        ; implicit-def: $sgpr75
	s_branch .LBB6_11661
.LBB6_11660:                            ;   in Loop: Header=BB6_11661 Depth=3
	s_or_b32 exec_lo, exec_lo, s78
	s_delay_alu instid0(SALU_CYCLE_1) | instskip(NEXT) | instid1(SALU_CYCLE_1)
	s_and_b32 s77, exec_lo, s79
	s_or_b32 s45, s77, s45
	s_and_not1_b32 s74, s74, exec_lo
	s_and_b32 s77, s75, exec_lo
	s_delay_alu instid0(SALU_CYCLE_1)
	s_or_b32 s74, s74, s77
	s_and_not1_b32 exec_lo, exec_lo, s45
	s_cbranch_execz .LBB6_11665
.LBB6_11661:                            ;   Parent Loop BB6_47 Depth=1
                                        ;     Parent Loop BB6_4163 Depth=2
                                        ; =>    This Inner Loop Header: Depth=3
	s_add_co_i32 s76, s76, 1
	s_delay_alu instid0(SALU_CYCLE_1) | instskip(SKIP_1) | instid1(SALU_CYCLE_1)
	s_cmp_lg_u32 s76, 0x2710
	s_cselect_b32 s77, -1, 0
	s_and_b32 vcc_lo, exec_lo, s77
	s_cbranch_vccz .LBB6_11663
; %bb.11662:                            ;   in Loop: Header=BB6_11661 Depth=3
	s_mov_b32 s79, -1
	s_or_b32 s75, s75, exec_lo
	s_and_saveexec_b32 s78, s77
	s_cbranch_execz .LBB6_11660
	s_branch .LBB6_11664
.LBB6_11663:                            ;   in Loop: Header=BB6_11661 Depth=3
	s_trap 2
	ds_load_b64 v[0:1], v0
	s_and_not1_b32 s77, s77, exec_lo
	s_mov_b32 s76, 0
	s_wait_storecnt 0x0
	s_wait_loadcnt_dscnt 0x0
	flat_load_b32 v0, v[0:1] scope:SCOPE_SYS
	s_wait_loadcnt_dscnt 0x0
	global_inv scope:SCOPE_SYS
	v_cmp_eq_u32_e32 vcc_lo, 0, v0
	s_and_b32 s78, vcc_lo, exec_lo
	s_delay_alu instid0(SALU_CYCLE_1)
	s_or_b32 s77, s77, s78
	s_mov_b32 s79, -1
	s_or_b32 s75, s75, exec_lo
	s_wait_xcnt 0x0
	s_and_saveexec_b32 s78, s77
	s_cbranch_execz .LBB6_11660
.LBB6_11664:                            ;   in Loop: Header=BB6_11661 Depth=3
	s_sleep 1
	s_trap 2
	ds_load_b64 v[0:1], v0
	s_wait_dscnt 0x0
	s_and_not1_b32 s75, s75, exec_lo
	v_cmp_ge_u64_e32 vcc_lo, v[0:1], v[80:81]
	s_or_not1_b32 s79, vcc_lo, exec_lo
	s_branch .LBB6_11660
.LBB6_11665:                            ;   in Loop: Header=BB6_4163 Depth=2
	s_or_b32 exec_lo, exec_lo, s45
	s_and_saveexec_b32 s45, s74
	s_delay_alu instid0(SALU_CYCLE_1)
	s_xor_b32 s45, exec_lo, s45
	s_cbranch_execz .LBB6_11667
; %bb.11666:                            ;   in Loop: Header=BB6_4163 Depth=2
	ds_store_b32 v0, v43
	s_trap 2
.LBB6_11667:                            ;   in Loop: Header=BB6_4163 Depth=2
	s_or_b32 exec_lo, exec_lo, s44
	;;#ASMSTART
	s_wakeup
	;;#ASMEND
.LBB6_11668:                            ;   in Loop: Header=BB6_4163 Depth=2
	s_or_b32 exec_lo, exec_lo, s15
.LBB6_11669:                            ;   in Loop: Header=BB6_4163 Depth=2
	s_and_not1_saveexec_b32 s14, s14
	s_cbranch_execz .LBB6_11671
; %bb.11670:                            ;   in Loop: Header=BB6_4163 Depth=2
	;;#ASMSTART
	s_waitcnt lgkmcnt(0) vmcnt(0)
	;;#ASMEND
	s_barrier_signal -1
	s_barrier_wait -1
.LBB6_11671:                            ;   in Loop: Header=BB6_4163 Depth=2
	s_or_b32 exec_lo, exec_lo, s14
	v_and_b32_e32 v0, 16, v30
.LBB6_11672:                            ;   in Loop: Header=BB6_4163 Depth=2
	s_or_b32 exec_lo, exec_lo, s13
	s_delay_alu instid0(VALU_DEP_1) | instskip(SKIP_1) | instid1(SALU_CYCLE_1)
	v_cmp_ne_u32_e32 vcc_lo, 0, v0
	s_xor_b32 s13, s4, -1
	s_and_b32 s14, vcc_lo, s13
	s_delay_alu instid0(SALU_CYCLE_1)
	s_and_saveexec_b32 s13, s14
	s_cbranch_execz .LBB6_11674
; %bb.11673:                            ;   in Loop: Header=BB6_4163 Depth=2
	global_wb scope:SCOPE_SYS
	s_wait_storecnt 0x0
	s_wait_loadcnt_dscnt 0x0
	flat_store_b32 v[70:71], v43 scope:SCOPE_SYS
.LBB6_11674:                            ;   in Loop: Header=BB6_4163 Depth=2
	s_wait_xcnt 0x0
	s_or_b32 exec_lo, exec_lo, s13
	v_and_b32_e32 v0, 48, v30
	s_mov_b32 s13, exec_lo
	s_delay_alu instid0(VALU_DEP_1)
	v_cmpx_ne_u32_e32 0, v0
	s_cbranch_execnz .LBB6_11675
; %bb.12285:                            ;   in Loop: Header=BB6_4163 Depth=2
	s_add_pc_i64 .LBB6_4162-.Lpost_addpc32
.Lpost_addpc32:
.LBB6_11675:                            ;   in Loop: Header=BB6_4163 Depth=2
	v_add_nc_u64_e32 v[60:61], 2, v[60:61]
	global_wb scope:SCOPE_SYS
	s_wait_storecnt 0x0
	s_wait_loadcnt_dscnt 0x0
	flat_store_b64 v[64:65], v[60:61] scope:SCOPE_SYS
; %bb.12263:                            ;   in Loop: Header=BB6_4163 Depth=2
	s_add_pc_i64 .LBB6_4162-.Lpost_addpc21
.Lpost_addpc21:
.LBB6_11676:                            ;   in Loop: Header=BB6_47 Depth=1
	s_or_b32 exec_lo, exec_lo, s41
.LBB6_11677:                            ;   in Loop: Header=BB6_47 Depth=1
	s_delay_alu instid0(SALU_CYCLE_1) | instskip(NEXT) | instid1(SALU_CYCLE_1)
	s_or_b32 exec_lo, exec_lo, s18
	s_mov_b32 s14, exec_lo
	v_cmpx_gt_i32_e32 2, v0
	s_cbranch_execz .LBB6_11753
; %bb.11678:                            ;   in Loop: Header=BB6_47 Depth=1
	v_cmp_eq_u32_e64 s18, 0, v0
	s_mov_b32 s15, 0
	s_branch .LBB6_11680
.LBB6_11679:                            ;   in Loop: Header=BB6_11680 Depth=2
	s_wait_xcnt 0x0
	s_or_b32 exec_lo, exec_lo, s13
	v_add_nc_u32_e32 v76, v74, v76
	s_mov_b32 s18, 0
	s_and_not1_b32 exec_lo, exec_lo, s15
	s_cbranch_execz .LBB6_11752
.LBB6_11680:                            ;   Parent Loop BB6_47 Depth=1
                                        ; =>  This Loop Header: Depth=2
                                        ;       Child Loop BB6_11686 Depth 3
                                        ;       Child Loop BB6_11714 Depth 3
	;; [unrolled: 1-line block ×3, first 2 shown]
	s_delay_alu instid0(VALU_DEP_1) | instskip(SKIP_1) | instid1(VALU_DEP_1)
	v_dual_sub_nc_u32 v0, v122, v76 :: v_dual_bitop2_b32 v1, 12, v30 bitop3:0x40
	s_mov_b32 s41, exec_lo
	v_min_i32_e32 v74, v74, v0
	s_delay_alu instid0(VALU_DEP_2)
	v_cmpx_ne_u32_e32 0, v1
	s_cbranch_execz .LBB6_11706
; %bb.11681:                            ;   in Loop: Header=BB6_11680 Depth=2
	v_and_b32_e32 v2, 8, v30
	v_add_nc_u64_e32 v[8:9], 2, v[60:61]
	s_mov_b32 s44, exec_lo
	s_wait_loadcnt_dscnt 0x1
	s_delay_alu instid0(VALU_DEP_2) | instskip(NEXT) | instid1(VALU_DEP_1)
	v_add_nc_u64_e32 v[0:1], v[82:83], v[2:3]
	v_cmpx_lt_u64_e64 v[0:1], v[8:9]
	s_cbranch_execz .LBB6_11693
; %bb.11682:                            ;   in Loop: Header=BB6_11680 Depth=2
	v_and_b32_e32 v0, 64, v30
	s_mov_b32 s45, 0
	s_mov_b32 s75, 0
                                        ; implicit-def: $sgpr72
                                        ; implicit-def: $sgpr73
                                        ; implicit-def: $sgpr74
	s_delay_alu instid0(VALU_DEP_1)
	v_cmp_eq_u32_e32 vcc_lo, 0, v0
	s_branch .LBB6_11686
.LBB6_11683:                            ;   in Loop: Header=BB6_11686 Depth=3
	s_wait_loadcnt_dscnt 0x0
	v_add_nc_u64_e32 v[4:5], v[82:83], v[2:3]
	s_or_b32 s78, s78, exec_lo
	s_delay_alu instid0(VALU_DEP_1)
	v_cmp_ge_u64_e64 s13, v[4:5], v[8:9]
	s_or_not1_b32 s77, s13, exec_lo
.LBB6_11684:                            ;   in Loop: Header=BB6_11686 Depth=3
	s_or_b32 exec_lo, exec_lo, s88
	s_delay_alu instid0(SALU_CYCLE_1)
	s_and_not1_b32 s13, s74, exec_lo
	s_and_b32 s74, s78, exec_lo
	s_and_not1_b32 s73, s73, exec_lo
	s_and_b32 s77, s77, exec_lo
	s_or_b32 s74, s13, s74
	s_or_b32 s73, s73, s77
.LBB6_11685:                            ;   in Loop: Header=BB6_11686 Depth=3
	s_or_b32 exec_lo, exec_lo, s76
	s_delay_alu instid0(SALU_CYCLE_1) | instskip(NEXT) | instid1(SALU_CYCLE_1)
	s_and_b32 s13, exec_lo, s73
	s_or_b32 s45, s13, s45
	s_and_not1_b32 s13, s72, exec_lo
	s_and_b32 s72, s74, exec_lo
	s_delay_alu instid0(SALU_CYCLE_1)
	s_or_b32 s72, s13, s72
	s_and_not1_b32 exec_lo, exec_lo, s45
	s_cbranch_execz .LBB6_11690
.LBB6_11686:                            ;   Parent Loop BB6_47 Depth=1
                                        ;     Parent Loop BB6_11680 Depth=2
                                        ; =>    This Inner Loop Header: Depth=3
	s_sleep 1
	s_wait_loadcnt_dscnt 0x0
	flat_load_b64 v[82:83], v[64:65] scope:SCOPE_SYS
	s_or_b32 s74, s74, exec_lo
	s_or_b32 s73, s73, exec_lo
                                        ; implicit-def: $vgpr1
	s_wait_xcnt 0x0
	s_and_saveexec_b32 s76, vcc_lo
	s_cbranch_execz .LBB6_11685
; %bb.11687:                            ;   in Loop: Header=BB6_11686 Depth=3
	s_cmp_lt_i32 s75, 0x270f
	s_mov_b32 s77, -1
	s_cselect_b32 s79, -1, 0
	s_cmp_gt_i32 s75, 0x270e
	s_cbranch_scc0 .LBB6_11689
; %bb.11688:                            ;   in Loop: Header=BB6_11686 Depth=3
	s_trap 2
	ds_load_b64 v[0:1], v0
	s_and_not1_b32 s75, s79, exec_lo
	s_mov_b32 s78, 0
	s_wait_storecnt 0x0
	s_wait_loadcnt_dscnt 0x0
	flat_load_b32 v1, v[0:1] scope:SCOPE_SYS
	s_wait_loadcnt_dscnt 0x0
	global_inv scope:SCOPE_SYS
	v_cmp_eq_u32_e64 s13, 0, v1
	s_and_b32 s13, s13, exec_lo
	s_delay_alu instid0(SALU_CYCLE_1)
	s_or_b32 s79, s75, s13
	s_mov_b32 s75, 0
	s_wait_xcnt 0x0
	s_and_saveexec_b32 s88, s79
	s_cbranch_execz .LBB6_11684
	s_branch .LBB6_11683
.LBB6_11689:                            ;   in Loop: Header=BB6_11686 Depth=3
	s_add_co_i32 s75, s75, 1
	s_mov_b32 s78, -1
                                        ; implicit-def: $vgpr1
	s_and_saveexec_b32 s88, s79
	s_cbranch_execz .LBB6_11684
	s_branch .LBB6_11683
.LBB6_11690:                            ;   in Loop: Header=BB6_11680 Depth=2
	s_or_b32 exec_lo, exec_lo, s45
	s_xor_b32 s13, s72, -1
	s_delay_alu instid0(SALU_CYCLE_1) | instskip(NEXT) | instid1(SALU_CYCLE_1)
	s_and_saveexec_b32 s45, s13
	s_xor_b32 s13, exec_lo, s45
	s_cbranch_execz .LBB6_11692
; %bb.11691:                            ;   in Loop: Header=BB6_11680 Depth=2
	v_or_b32_e32 v30, 64, v30
	s_wait_storecnt 0x0
	s_wait_loadcnt_dscnt 0x0
	ds_store_b32 v0, v1
	s_trap 2
.LBB6_11692:                            ;   in Loop: Header=BB6_11680 Depth=2
	s_or_b32 exec_lo, exec_lo, s13
.LBB6_11693:                            ;   in Loop: Header=BB6_11680 Depth=2
	s_delay_alu instid0(SALU_CYCLE_1) | instskip(SKIP_3) | instid1(VALU_DEP_1)
	s_or_b32 exec_lo, exec_lo, s44
	v_and_b32_e32 v0, 0x108, v30
	s_mov_b32 s13, exec_lo
	;;#ASMSTART
	s_wakeup
	;;#ASMEND
                                        ; implicit-def: $vgpr10_vgpr11
	v_cmpx_ne_u32_e32 0x108, v0
	s_xor_b32 s13, exec_lo, s13
; %bb.11694:                            ;   in Loop: Header=BB6_11680 Depth=2
	v_dual_mov_b32 v11, v3 :: v_dual_bitop2_b32 v10, 7, v60 bitop3:0x40
                                        ; implicit-def: $vgpr60_vgpr61
; %bb.11695:                            ;   in Loop: Header=BB6_11680 Depth=2
	s_and_not1_saveexec_b32 s13, s13
	s_cbranch_execz .LBB6_11697
; %bb.11696:                            ;   in Loop: Header=BB6_11680 Depth=2
	v_dual_ashrrev_i32 v75, 31, v74 :: v_dual_bitop2_b32 v10, 7, v60 bitop3:0x40
	v_mov_b32_e32 v11, v3
	s_delay_alu instid0(VALU_DEP_2)
	v_mad_nc_u64_u32 v[0:1], v10, 24, v[6:7]
	flat_store_b64 v[0:1], v[74:75] offset:8
.LBB6_11697:                            ;   in Loop: Header=BB6_11680 Depth=2
	s_wait_xcnt 0x0
	s_or_b32 exec_lo, exec_lo, s13
	v_and_b32_e32 v0, 0x100, v30
	s_mov_b32 s13, -1
	s_mov_b32 s44, exec_lo
                                        ; implicit-def: $vgpr12_vgpr13
	s_delay_alu instid0(VALU_DEP_1)
	v_cmpx_ne_u32_e32 0, v0
	s_cbranch_execz .LBB6_11701
; %bb.11698:                            ;   in Loop: Header=BB6_11680 Depth=2
	v_mad_nc_u64_u32 v[14:15], v10, 24, v[6:7]
	s_mov_b32 s45, exec_lo
                                        ; implicit-def: $vgpr12_vgpr13
	s_delay_alu instid0(VALU_DEP_1)
	v_mad_u32 v15, v11, 24, v15
	flat_load_b32 v0, v[14:15]
	s_wait_loadcnt_dscnt 0x0
	v_cmp_ne_u32_e32 vcc_lo, 1, v0
	s_wait_xcnt 0x0
	v_cmpx_eq_u32_e32 1, v0
	s_cbranch_execz .LBB6_11700
; %bb.11699:                            ;   in Loop: Header=BB6_11680 Depth=2
	flat_load_b32 v12, v[14:15] offset:4 scope:SCOPE_SYS
	s_wait_loadcnt_dscnt 0x0
	v_ashrrev_i32_e32 v13, 31, v12
.LBB6_11700:                            ;   in Loop: Header=BB6_11680 Depth=2
	s_wait_xcnt 0x0
	s_or_b32 exec_lo, exec_lo, s45
	s_delay_alu instid0(SALU_CYCLE_1)
	s_or_not1_b32 s13, vcc_lo, exec_lo
.LBB6_11701:                            ;   in Loop: Header=BB6_11680 Depth=2
	s_or_b32 exec_lo, exec_lo, s44
	s_and_saveexec_b32 s44, s13
	s_cbranch_execz .LBB6_11703
; %bb.11702:                            ;   in Loop: Header=BB6_11680 Depth=2
	scratch_load_b64 v[0:1], off, s33 offset:204 ; 8-byte Folded Reload
	s_wait_loadcnt 0x0
	v_mul_u64_e32 v[12:13], v[10:11], v[0:1]
.LBB6_11703:                            ;   in Loop: Header=BB6_11680 Depth=2
	s_wait_xcnt 0x0
	s_or_b32 exec_lo, exec_lo, s44
	v_cmp_eq_u32_e32 vcc_lo, 0, v2
	s_delay_alu instid0(VALU_DEP_2) | instskip(SKIP_3) | instid1(VALU_DEP_1)
	v_add_nc_u64_e32 v[0:1], v[68:69], v[12:13]
	v_and_b32_e32 v4, 0x2000, v30
	s_mov_b32 s13, exec_lo
	v_cndmask_b32_e32 v2, 0xd0, v94, vcc_lo
	v_add_nc_u32_e32 v2, v0, v2
	ds_store_b64 v2, v[0:1] offset:584
	v_cmpx_ne_u32_e32 0, v4
	s_cbranch_execz .LBB6_11705
; %bb.11704:                            ;   in Loop: Header=BB6_11680 Depth=2
	ds_load_b64 v[0:1], v0 offset:872
	s_wait_dscnt 0x0
	v_add_nc_u64_e32 v[0:1], 1, v[0:1]
	ds_store_b64 v0, v[0:1] offset:872
.LBB6_11705:                            ;   in Loop: Header=BB6_11680 Depth=2
	s_or_b32 exec_lo, exec_lo, s13
	v_mov_b64_e32 v[60:61], v[8:9]
.LBB6_11706:                            ;   in Loop: Header=BB6_11680 Depth=2
	s_or_b32 exec_lo, exec_lo, s41
	s_xor_b32 s13, s18, -1
	s_delay_alu instid0(SALU_CYCLE_1) | instskip(NEXT) | instid1(SALU_CYCLE_1)
	s_and_b32 s13, exec_lo, s13
	s_or_b32 s15, s13, s15
	s_and_saveexec_b32 s13, s2
	s_cbranch_execz .LBB6_11725
; %bb.11707:                            ;   in Loop: Header=BB6_11680 Depth=2
	s_and_saveexec_b32 s18, s3
	s_delay_alu instid0(SALU_CYCLE_1)
	s_xor_b32 s18, exec_lo, s18
	s_cbranch_execz .LBB6_11722
; %bb.11708:                            ;   in Loop: Header=BB6_11680 Depth=2
	s_and_saveexec_b32 s41, s6
	s_cbranch_execz .LBB6_11721
; %bb.11709:                            ;   in Loop: Header=BB6_11680 Depth=2
	s_mov_b32 s45, exec_lo
	s_mov_b32 s44, exec_lo
	v_mbcnt_lo_u32_b32 v0, s45, 0
	global_wb scope:SCOPE_DEV
	s_wait_storecnt 0x0
	s_wait_loadcnt_dscnt 0x0
	global_inv scope:SCOPE_DEV
	v_cmpx_eq_u32_e32 0, v0
	s_cbranch_execz .LBB6_11711
; %bb.11710:                            ;   in Loop: Header=BB6_11680 Depth=2
	s_bcnt1_i32_b32 s45, s45
	s_delay_alu instid0(SALU_CYCLE_1)
	v_mov_b32_e32 v2, s45
	s_wait_loadcnt 0x0
	ds_add_u64 v0, v[2:3]
	s_trap 2
.LBB6_11711:                            ;   in Loop: Header=BB6_11680 Depth=2
	s_or_b32 exec_lo, exec_lo, s44
	s_trap 2
	ds_load_b64 v[0:1], v0
	s_wait_dscnt 0x0
	v_add_nc_u64_e32 v[80:81], v[80:81], v[84:85]
	s_mov_b32 s44, exec_lo
	s_delay_alu instid0(VALU_DEP_1)
	v_cmpx_lt_u64_e64 v[0:1], v[80:81]
	s_cbranch_execz .LBB6_11720
; %bb.11712:                            ;   in Loop: Header=BB6_11680 Depth=2
	s_mov_b32 s45, 0
	s_mov_b32 s74, 0
                                        ; implicit-def: $sgpr72
                                        ; implicit-def: $sgpr73
	s_branch .LBB6_11714
.LBB6_11713:                            ;   in Loop: Header=BB6_11714 Depth=3
	s_or_b32 exec_lo, exec_lo, s76
	s_delay_alu instid0(SALU_CYCLE_1) | instskip(NEXT) | instid1(SALU_CYCLE_1)
	s_and_b32 s75, exec_lo, s77
	s_or_b32 s45, s75, s45
	s_and_not1_b32 s72, s72, exec_lo
	s_and_b32 s75, s73, exec_lo
	s_delay_alu instid0(SALU_CYCLE_1)
	s_or_b32 s72, s72, s75
	s_and_not1_b32 exec_lo, exec_lo, s45
	s_cbranch_execz .LBB6_11718
.LBB6_11714:                            ;   Parent Loop BB6_47 Depth=1
                                        ;     Parent Loop BB6_11680 Depth=2
                                        ; =>    This Inner Loop Header: Depth=3
	s_add_co_i32 s74, s74, 1
	s_delay_alu instid0(SALU_CYCLE_1) | instskip(SKIP_1) | instid1(SALU_CYCLE_1)
	s_cmp_lg_u32 s74, 0x2710
	s_cselect_b32 s75, -1, 0
	s_and_b32 vcc_lo, exec_lo, s75
	s_cbranch_vccz .LBB6_11716
; %bb.11715:                            ;   in Loop: Header=BB6_11714 Depth=3
	s_mov_b32 s77, -1
	s_or_b32 s73, s73, exec_lo
	s_and_saveexec_b32 s76, s75
	s_cbranch_execz .LBB6_11713
	s_branch .LBB6_11717
.LBB6_11716:                            ;   in Loop: Header=BB6_11714 Depth=3
	s_trap 2
	ds_load_b64 v[0:1], v0
	s_and_not1_b32 s75, s75, exec_lo
	s_mov_b32 s74, 0
	s_wait_loadcnt_dscnt 0x0
	flat_load_b32 v0, v[0:1] scope:SCOPE_SYS
	s_wait_loadcnt_dscnt 0x0
	global_inv scope:SCOPE_SYS
	v_cmp_eq_u32_e32 vcc_lo, 0, v0
	s_and_b32 s76, vcc_lo, exec_lo
	s_delay_alu instid0(SALU_CYCLE_1)
	s_or_b32 s75, s75, s76
	s_mov_b32 s77, -1
	s_or_b32 s73, s73, exec_lo
	s_wait_xcnt 0x0
	s_and_saveexec_b32 s76, s75
	s_cbranch_execz .LBB6_11713
.LBB6_11717:                            ;   in Loop: Header=BB6_11714 Depth=3
	s_sleep 1
	s_trap 2
	ds_load_b64 v[0:1], v0
	s_wait_dscnt 0x0
	s_and_not1_b32 s73, s73, exec_lo
	v_cmp_ge_u64_e32 vcc_lo, v[0:1], v[80:81]
	s_or_not1_b32 s77, vcc_lo, exec_lo
	s_branch .LBB6_11713
.LBB6_11718:                            ;   in Loop: Header=BB6_11680 Depth=2
	s_or_b32 exec_lo, exec_lo, s45
	s_and_saveexec_b32 s45, s72
	s_delay_alu instid0(SALU_CYCLE_1)
	s_xor_b32 s45, exec_lo, s45
	s_cbranch_execz .LBB6_11720
; %bb.11719:                            ;   in Loop: Header=BB6_11680 Depth=2
	ds_store_b32 v0, v43
	s_trap 2
.LBB6_11720:                            ;   in Loop: Header=BB6_11680 Depth=2
	s_or_b32 exec_lo, exec_lo, s44
	;;#ASMSTART
	s_wakeup
	;;#ASMEND
.LBB6_11721:                            ;   in Loop: Header=BB6_11680 Depth=2
	s_or_b32 exec_lo, exec_lo, s41
.LBB6_11722:                            ;   in Loop: Header=BB6_11680 Depth=2
	s_and_not1_saveexec_b32 s18, s18
	s_cbranch_execz .LBB6_11724
; %bb.11723:                            ;   in Loop: Header=BB6_11680 Depth=2
	global_wb scope:SCOPE_DEV
	s_wait_storecnt 0x0
	s_wait_loadcnt_dscnt 0x0
	global_inv scope:SCOPE_DEV
	s_barrier_signal -1
	s_barrier_wait -1
.LBB6_11724:                            ;   in Loop: Header=BB6_11680 Depth=2
	s_or_b32 exec_lo, exec_lo, s18
.LBB6_11725:                            ;   in Loop: Header=BB6_11680 Depth=2
	s_delay_alu instid0(SALU_CYCLE_1) | instskip(SKIP_1) | instid1(SALU_CYCLE_1)
	s_or_b32 exec_lo, exec_lo, s13
                                        ; implicit-def: $vgpr0
	s_and_saveexec_b32 s13, s10
	s_xor_b32 s18, exec_lo, s13
	s_cbranch_execz .LBB6_11729
; %bb.11726:                            ;   in Loop: Header=BB6_11680 Depth=2
	s_trap 2
	ds_load_b32 v0, v0
	v_cmp_lt_i32_e32 vcc_lo, 0, v74
	s_wait_dscnt 0x0
	v_readfirstlane_b32 s13, v0
	v_and_b32_e32 v0, 16, v30
	s_cmp_eq_u32 s13, 0
	s_delay_alu instid0(VALU_DEP_1) | instskip(SKIP_3) | instid1(SALU_CYCLE_1)
	v_cmp_ne_u32_e64 s13, 0, v0
	s_cselect_b32 s41, -1, 0
	v_and_b32_e32 v0, 16, v30
	s_and_b32 s41, vcc_lo, s41
	s_and_b32 s41, s13, s41
	s_delay_alu instid0(SALU_CYCLE_1)
	s_and_saveexec_b32 s13, s41
	s_cbranch_execz .LBB6_11728
; %bb.11727:                            ;   in Loop: Header=BB6_11680 Depth=2
	v_mov_b32_e32 v0, 1
	global_wb scope:SCOPE_SYS
	s_wait_loadcnt 0x0
	s_wait_storecnt 0x0
	global_inv scope:SCOPE_SYS
.LBB6_11728:                            ;   in Loop: Header=BB6_11680 Depth=2
	s_or_b32 exec_lo, exec_lo, s13
	s_and_not1_saveexec_b32 s13, s18
	s_cbranch_execz .LBB6_11748
	s_branch .LBB6_11730
.LBB6_11729:                            ;   in Loop: Header=BB6_11680 Depth=2
	s_and_not1_saveexec_b32 s13, s18
	s_cbranch_execz .LBB6_11748
.LBB6_11730:                            ;   in Loop: Header=BB6_11680 Depth=2
	s_and_saveexec_b32 s18, s3
	s_delay_alu instid0(SALU_CYCLE_1)
	s_xor_b32 s18, exec_lo, s18
	s_cbranch_execz .LBB6_11745
; %bb.11731:                            ;   in Loop: Header=BB6_11680 Depth=2
	s_and_saveexec_b32 s41, s6
	s_cbranch_execz .LBB6_11744
; %bb.11732:                            ;   in Loop: Header=BB6_11680 Depth=2
	s_mov_b32 s45, exec_lo
	s_mov_b32 s44, exec_lo
	v_mbcnt_lo_u32_b32 v0, s45, 0
	;;#ASMSTART
	s_waitcnt lgkmcnt(0) vmcnt(0)
	;;#ASMEND
	s_delay_alu instid0(VALU_DEP_1)
	v_cmpx_eq_u32_e32 0, v0
	s_cbranch_execz .LBB6_11734
; %bb.11733:                            ;   in Loop: Header=BB6_11680 Depth=2
	s_bcnt1_i32_b32 s45, s45
	s_delay_alu instid0(SALU_CYCLE_1)
	v_mov_b32_e32 v2, s45
	s_wait_storecnt 0x0
	s_wait_loadcnt_dscnt 0x0
	ds_add_u64 v0, v[2:3]
	s_trap 2
.LBB6_11734:                            ;   in Loop: Header=BB6_11680 Depth=2
	s_or_b32 exec_lo, exec_lo, s44
	s_trap 2
	ds_load_b64 v[0:1], v0
	s_wait_dscnt 0x0
	v_add_nc_u64_e32 v[80:81], v[80:81], v[84:85]
	s_mov_b32 s44, exec_lo
	s_delay_alu instid0(VALU_DEP_1)
	v_cmpx_lt_u64_e64 v[0:1], v[80:81]
	s_cbranch_execz .LBB6_11743
; %bb.11735:                            ;   in Loop: Header=BB6_11680 Depth=2
	s_mov_b32 s45, 0
	s_mov_b32 s74, 0
                                        ; implicit-def: $sgpr72
                                        ; implicit-def: $sgpr73
	s_branch .LBB6_11737
.LBB6_11736:                            ;   in Loop: Header=BB6_11737 Depth=3
	s_or_b32 exec_lo, exec_lo, s76
	s_delay_alu instid0(SALU_CYCLE_1) | instskip(NEXT) | instid1(SALU_CYCLE_1)
	s_and_b32 s75, exec_lo, s77
	s_or_b32 s45, s75, s45
	s_and_not1_b32 s72, s72, exec_lo
	s_and_b32 s75, s73, exec_lo
	s_delay_alu instid0(SALU_CYCLE_1)
	s_or_b32 s72, s72, s75
	s_and_not1_b32 exec_lo, exec_lo, s45
	s_cbranch_execz .LBB6_11741
.LBB6_11737:                            ;   Parent Loop BB6_47 Depth=1
                                        ;     Parent Loop BB6_11680 Depth=2
                                        ; =>    This Inner Loop Header: Depth=3
	s_add_co_i32 s74, s74, 1
	s_delay_alu instid0(SALU_CYCLE_1) | instskip(SKIP_1) | instid1(SALU_CYCLE_1)
	s_cmp_lg_u32 s74, 0x2710
	s_cselect_b32 s75, -1, 0
	s_and_b32 vcc_lo, exec_lo, s75
	s_cbranch_vccz .LBB6_11739
; %bb.11738:                            ;   in Loop: Header=BB6_11737 Depth=3
	s_mov_b32 s77, -1
	s_or_b32 s73, s73, exec_lo
	s_and_saveexec_b32 s76, s75
	s_cbranch_execz .LBB6_11736
	s_branch .LBB6_11740
.LBB6_11739:                            ;   in Loop: Header=BB6_11737 Depth=3
	s_trap 2
	ds_load_b64 v[0:1], v0
	s_and_not1_b32 s75, s75, exec_lo
	s_mov_b32 s74, 0
	s_wait_storecnt 0x0
	s_wait_loadcnt_dscnt 0x0
	flat_load_b32 v0, v[0:1] scope:SCOPE_SYS
	s_wait_loadcnt_dscnt 0x0
	global_inv scope:SCOPE_SYS
	v_cmp_eq_u32_e32 vcc_lo, 0, v0
	s_and_b32 s76, vcc_lo, exec_lo
	s_delay_alu instid0(SALU_CYCLE_1)
	s_or_b32 s75, s75, s76
	s_mov_b32 s77, -1
	s_or_b32 s73, s73, exec_lo
	s_wait_xcnt 0x0
	s_and_saveexec_b32 s76, s75
	s_cbranch_execz .LBB6_11736
.LBB6_11740:                            ;   in Loop: Header=BB6_11737 Depth=3
	s_sleep 1
	s_trap 2
	ds_load_b64 v[0:1], v0
	s_wait_dscnt 0x0
	s_and_not1_b32 s73, s73, exec_lo
	v_cmp_ge_u64_e32 vcc_lo, v[0:1], v[80:81]
	s_or_not1_b32 s77, vcc_lo, exec_lo
	s_branch .LBB6_11736
.LBB6_11741:                            ;   in Loop: Header=BB6_11680 Depth=2
	s_or_b32 exec_lo, exec_lo, s45
	s_and_saveexec_b32 s45, s72
	s_delay_alu instid0(SALU_CYCLE_1)
	s_xor_b32 s45, exec_lo, s45
	s_cbranch_execz .LBB6_11743
; %bb.11742:                            ;   in Loop: Header=BB6_11680 Depth=2
	ds_store_b32 v0, v43
	s_trap 2
.LBB6_11743:                            ;   in Loop: Header=BB6_11680 Depth=2
	s_or_b32 exec_lo, exec_lo, s44
	;;#ASMSTART
	s_wakeup
	;;#ASMEND
.LBB6_11744:                            ;   in Loop: Header=BB6_11680 Depth=2
	s_or_b32 exec_lo, exec_lo, s41
.LBB6_11745:                            ;   in Loop: Header=BB6_11680 Depth=2
	s_and_not1_saveexec_b32 s18, s18
	s_cbranch_execz .LBB6_11747
; %bb.11746:                            ;   in Loop: Header=BB6_11680 Depth=2
	;;#ASMSTART
	s_waitcnt lgkmcnt(0) vmcnt(0)
	;;#ASMEND
	s_barrier_signal -1
	s_barrier_wait -1
.LBB6_11747:                            ;   in Loop: Header=BB6_11680 Depth=2
	s_or_b32 exec_lo, exec_lo, s18
	v_and_b32_e32 v0, 16, v30
.LBB6_11748:                            ;   in Loop: Header=BB6_11680 Depth=2
	s_or_b32 exec_lo, exec_lo, s13
	s_delay_alu instid0(VALU_DEP_1) | instskip(SKIP_1) | instid1(SALU_CYCLE_1)
	v_cmp_ne_u32_e32 vcc_lo, 0, v0
	s_xor_b32 s13, s4, -1
	s_and_b32 s18, vcc_lo, s13
	s_delay_alu instid0(SALU_CYCLE_1)
	s_and_saveexec_b32 s13, s18
	s_cbranch_execz .LBB6_11750
; %bb.11749:                            ;   in Loop: Header=BB6_11680 Depth=2
	global_wb scope:SCOPE_SYS
	s_wait_storecnt 0x0
	s_wait_loadcnt_dscnt 0x0
	flat_store_b32 v[70:71], v43 scope:SCOPE_SYS
.LBB6_11750:                            ;   in Loop: Header=BB6_11680 Depth=2
	s_wait_xcnt 0x0
	s_or_b32 exec_lo, exec_lo, s13
	v_and_b32_e32 v0, 48, v30
	s_mov_b32 s13, exec_lo
	s_delay_alu instid0(VALU_DEP_1)
	v_cmpx_ne_u32_e32 0, v0
	s_cbranch_execz .LBB6_11679
; %bb.11751:                            ;   in Loop: Header=BB6_11680 Depth=2
	v_add_nc_u64_e32 v[60:61], 2, v[60:61]
	global_wb scope:SCOPE_SYS
	s_wait_storecnt 0x0
	s_wait_loadcnt_dscnt 0x0
	flat_store_b64 v[64:65], v[60:61] scope:SCOPE_SYS
	s_branch .LBB6_11679
.LBB6_11752:                            ;   in Loop: Header=BB6_47 Depth=1
	s_or_b32 exec_lo, exec_lo, s15
.LBB6_11753:                            ;   in Loop: Header=BB6_47 Depth=1
	s_delay_alu instid0(SALU_CYCLE_1)
	s_or_b32 exec_lo, exec_lo, s14
	s_clause 0x3
	scratch_load_b128 v[46:49], off, s33 offset:292
	scratch_load_b64 v[62:63], off, s33 offset:204
	scratch_load_b64 v[76:77], off, s33 offset:272
	;; [unrolled: 1-line block ×3, first 2 shown]
	v_mov_b32_e32 v72, 0x88
	s_and_not1_b32 vcc_lo, exec_lo, s58
	s_cbranch_vccnz .LBB6_12014
; %bb.11754:                            ;   in Loop: Header=BB6_47 Depth=1
	s_mov_b32 s18, 1
.LBB6_11755:                            ;   Parent Loop BB6_47 Depth=1
                                        ; =>  This Loop Header: Depth=2
                                        ;       Child Loop BB6_11758 Depth 3
                                        ;         Child Loop BB6_11766 Depth 4
                                        ;         Child Loop BB6_11794 Depth 4
	;; [unrolled: 1-line block ×5, first 2 shown]
                                        ;           Child Loop BB6_11846 Depth 5
                                        ;         Child Loop BB6_11855 Depth 4
                                        ;         Child Loop BB6_11860 Depth 4
                                        ;           Child Loop BB6_11861 Depth 5
                                        ;         Child Loop BB6_11873 Depth 4
                                        ;         Child Loop BB6_11878 Depth 4
	;; [unrolled: 1-line block ×6, first 2 shown]
                                        ;       Child Loop BB6_11939 Depth 3
                                        ;         Child Loop BB6_11945 Depth 4
                                        ;         Child Loop BB6_11973 Depth 4
	;; [unrolled: 1-line block ×3, first 2 shown]
	s_clause 0x1
	scratch_load_b64 v[4:5], off, s33 offset:232
	scratch_load_b64 v[0:1], off, s33 offset:224
	s_sub_co_i32 s13, s56, s18
	s_mov_b32 s72, 0
	s_cmp_ge_i32 s13, s16
	v_mov_b32_e32 v14, 0
	s_cselect_b32 s14, s16, 0
	s_delay_alu instid0(SALU_CYCLE_1) | instskip(NEXT) | instid1(SALU_CYCLE_1)
	s_sub_co_i32 s14, s13, s14
	s_ashr_i32 s15, s14, 31
	s_wait_loadcnt 0x1
	v_mul_u64_e32 v[8:9], s[14:15], v[4:5]
	s_wait_loadcnt 0x0
	s_delay_alu instid0(VALU_DEP_1) | instskip(NEXT) | instid1(VALU_DEP_1)
	v_sub_nc_u64_e32 v[0:1], v[0:1], v[8:9]
	v_min_i64 v[4:5], v[4:5], v[0:1]
	s_delay_alu instid0(VALU_DEP_1) | instskip(SKIP_1) | instid1(VALU_DEP_2)
	v_max_i32_e32 v1, 0, v4
	v_cmp_lt_i32_e32 vcc_lo, 0, v4
	v_add_nc_u32_e32 v0, 31, v1
	s_and_b32 s13, s61, vcc_lo
	s_delay_alu instid0(VALU_DEP_1) | instskip(NEXT) | instid1(VALU_DEP_1)
	v_lshrrev_b32_e32 v0, 1, v0
	v_and_b32_e32 v2, 0x3ffffff0, v0
	s_delay_alu instid0(VALU_DEP_1)
	v_dual_mov_b32 v0, 0 :: v_dual_max_i32 v12, s57, v2
	s_wait_xcnt 0x0
	s_and_saveexec_b32 s41, s13
	s_cbranch_execz .LBB6_11936
; %bb.11756:                            ;   in Loop: Header=BB6_11755 Depth=2
	scratch_load_b64 v[4:5], off, s33 offset:196 ; 8-byte Folded Reload
	v_mov_b32_e32 v14, 0
	s_mov_b32 s74, 1
	s_mov_b32 s73, -1
	s_wait_loadcnt 0x0
	v_add_nc_u64_e32 v[16:17], v[8:9], v[4:5]
	s_branch .LBB6_11758
.LBB6_11757:                            ;   in Loop: Header=BB6_11758 Depth=3
	s_wait_xcnt 0x0
	s_or_b32 exec_lo, exec_lo, s13
	v_dual_add_nc_u32 v14, v12, v14 :: v_dual_mov_b32 v0, s74
	s_xor_b32 s13, s73, -1
	s_mov_b32 s73, 0
	s_mov_b32 s74, 2
	s_delay_alu instid0(VALU_DEP_1) | instskip(SKIP_1) | instid1(SALU_CYCLE_1)
	v_cmp_ge_i32_e32 vcc_lo, v14, v1
	s_or_b32 s13, s13, vcc_lo
	s_and_b32 s13, exec_lo, s13
	s_delay_alu instid0(SALU_CYCLE_1) | instskip(NEXT) | instid1(SALU_CYCLE_1)
	s_or_b32 s72, s13, s72
	s_and_not1_b32 exec_lo, exec_lo, s72
	s_cbranch_execz .LBB6_11935
.LBB6_11758:                            ;   Parent Loop BB6_47 Depth=1
                                        ;     Parent Loop BB6_11755 Depth=2
                                        ; =>    This Loop Header: Depth=3
                                        ;         Child Loop BB6_11766 Depth 4
                                        ;         Child Loop BB6_11794 Depth 4
	;; [unrolled: 1-line block ×5, first 2 shown]
                                        ;           Child Loop BB6_11846 Depth 5
                                        ;         Child Loop BB6_11855 Depth 4
                                        ;         Child Loop BB6_11860 Depth 4
                                        ;           Child Loop BB6_11861 Depth 5
                                        ;         Child Loop BB6_11873 Depth 4
                                        ;         Child Loop BB6_11878 Depth 4
	;; [unrolled: 1-line block ×6, first 2 shown]
	s_wait_xcnt 0x0
	s_and_saveexec_b32 s13, s0
	s_cbranch_execz .LBB6_11760
; %bb.11759:                            ;   in Loop: Header=BB6_11758 Depth=3
	s_trap 2
	ds_load_b128 v[8:11], v0
	s_wait_dscnt 0x0
	v_add_nc_u64_e32 v[4:5], v[10:11], v[16:17]
	v_cmp_ne_u64_e32 vcc_lo, 0, v[10:11]
	v_ashrrev_i32_e32 v15, 31, v14
	v_add_nc_u64_e32 v[8:9], v[8:9], v[16:17]
	s_delay_alu instid0(VALU_DEP_2) | instskip(NEXT) | instid1(VALU_DEP_1)
	v_add_nc_u64_e32 v[4:5], v[4:5], v[14:15]
	v_cndmask_b32_e32 v5, 0, v5, vcc_lo
	s_delay_alu instid0(VALU_DEP_3) | instskip(NEXT) | instid1(VALU_DEP_3)
	v_add_nc_u64_e32 v[8:9], v[8:9], v[14:15]
	v_cndmask_b32_e32 v4, 0, v4, vcc_lo
	ds_store_b64 v0, v[8:9]
	ds_store_b64 v0, v[4:5]
.LBB6_11760:                            ;   in Loop: Header=BB6_11758 Depth=3
	s_or_b32 exec_lo, exec_lo, s13
	v_sub_nc_u32_e32 v0, v1, v14
	v_and_b32_e32 v2, 12, v30
	s_mov_b32 s14, exec_lo
	s_delay_alu instid0(VALU_DEP_2) | instskip(NEXT) | instid1(VALU_DEP_2)
	v_min_i32_e32 v12, v12, v0
	v_cmpx_ne_u32_e32 0, v2
	s_cbranch_execz .LBB6_11786
; %bb.11761:                            ;   in Loop: Header=BB6_11758 Depth=3
	v_and_b32_e32 v2, 8, v30
	v_add_nc_u64_e32 v[8:9], 2, v[60:61]
	s_mov_b32 s15, exec_lo
	s_wait_loadcnt_dscnt 0x1
	s_delay_alu instid0(VALU_DEP_2) | instskip(NEXT) | instid1(VALU_DEP_1)
	v_add_nc_u64_e32 v[4:5], v[82:83], v[2:3]
	v_cmpx_lt_u64_e64 v[4:5], v[8:9]
	s_cbranch_execz .LBB6_11773
; %bb.11762:                            ;   in Loop: Header=BB6_11758 Depth=3
	v_and_b32_e32 v0, 64, v30
	s_mov_b32 s44, 0
	s_mov_b32 s77, 0
                                        ; implicit-def: $sgpr45
                                        ; implicit-def: $sgpr75
                                        ; implicit-def: $sgpr76
	s_delay_alu instid0(VALU_DEP_1)
	v_cmp_eq_u32_e32 vcc_lo, 0, v0
	s_branch .LBB6_11766
.LBB6_11763:                            ;   in Loop: Header=BB6_11766 Depth=4
	s_wait_loadcnt_dscnt 0x0
	v_add_nc_u64_e32 v[10:11], v[82:83], v[2:3]
	s_or_b32 s88, s88, exec_lo
	s_delay_alu instid0(VALU_DEP_1)
	v_cmp_ge_u64_e64 s13, v[10:11], v[8:9]
	s_or_not1_b32 s79, s13, exec_lo
.LBB6_11764:                            ;   in Loop: Header=BB6_11766 Depth=4
	s_or_b32 exec_lo, exec_lo, s90
	s_delay_alu instid0(SALU_CYCLE_1)
	s_and_not1_b32 s13, s76, exec_lo
	s_and_b32 s76, s88, exec_lo
	s_and_not1_b32 s75, s75, exec_lo
	s_and_b32 s79, s79, exec_lo
	s_or_b32 s76, s13, s76
	s_or_b32 s75, s75, s79
.LBB6_11765:                            ;   in Loop: Header=BB6_11766 Depth=4
	s_or_b32 exec_lo, exec_lo, s78
	s_delay_alu instid0(SALU_CYCLE_1) | instskip(NEXT) | instid1(SALU_CYCLE_1)
	s_and_b32 s13, exec_lo, s75
	s_or_b32 s44, s13, s44
	s_and_not1_b32 s13, s45, exec_lo
	s_and_b32 s45, s76, exec_lo
	s_delay_alu instid0(SALU_CYCLE_1)
	s_or_b32 s45, s13, s45
	s_and_not1_b32 exec_lo, exec_lo, s44
	s_cbranch_execz .LBB6_11770
.LBB6_11766:                            ;   Parent Loop BB6_47 Depth=1
                                        ;     Parent Loop BB6_11755 Depth=2
                                        ;       Parent Loop BB6_11758 Depth=3
                                        ; =>      This Inner Loop Header: Depth=4
	s_sleep 1
	s_wait_loadcnt_dscnt 0x0
	flat_load_b64 v[82:83], v[64:65] scope:SCOPE_SYS
	s_or_b32 s76, s76, exec_lo
	s_or_b32 s75, s75, exec_lo
                                        ; implicit-def: $vgpr4
	s_wait_xcnt 0x0
	s_and_saveexec_b32 s78, vcc_lo
	s_cbranch_execz .LBB6_11765
; %bb.11767:                            ;   in Loop: Header=BB6_11766 Depth=4
	s_cmp_lt_i32 s77, 0x270f
	s_mov_b32 s79, -1
	s_cselect_b32 s89, -1, 0
	s_cmp_gt_i32 s77, 0x270e
	s_cbranch_scc0 .LBB6_11769
; %bb.11768:                            ;   in Loop: Header=BB6_11766 Depth=4
	s_trap 2
	ds_load_b64 v[4:5], v0
	s_and_not1_b32 s77, s89, exec_lo
	s_mov_b32 s88, 0
	s_wait_storecnt 0x0
	s_wait_loadcnt_dscnt 0x0
	flat_load_b32 v4, v[4:5] scope:SCOPE_SYS
	s_wait_loadcnt_dscnt 0x0
	global_inv scope:SCOPE_SYS
	v_cmp_eq_u32_e64 s13, 0, v4
	s_and_b32 s13, s13, exec_lo
	s_delay_alu instid0(SALU_CYCLE_1)
	s_or_b32 s89, s77, s13
	s_mov_b32 s77, 0
	s_and_saveexec_b32 s90, s89
	s_cbranch_execz .LBB6_11764
	s_branch .LBB6_11763
.LBB6_11769:                            ;   in Loop: Header=BB6_11766 Depth=4
	s_add_co_i32 s77, s77, 1
	s_mov_b32 s88, -1
                                        ; implicit-def: $vgpr4
	s_and_saveexec_b32 s90, s89
	s_cbranch_execz .LBB6_11764
	s_branch .LBB6_11763
.LBB6_11770:                            ;   in Loop: Header=BB6_11758 Depth=3
	s_or_b32 exec_lo, exec_lo, s44
	s_xor_b32 s13, s45, -1
	s_delay_alu instid0(SALU_CYCLE_1) | instskip(NEXT) | instid1(SALU_CYCLE_1)
	s_and_saveexec_b32 s44, s13
	s_xor_b32 s13, exec_lo, s44
	s_cbranch_execz .LBB6_11772
; %bb.11771:                            ;   in Loop: Header=BB6_11758 Depth=3
	v_or_b32_e32 v30, 64, v30
	s_wait_storecnt 0x0
	s_wait_loadcnt_dscnt 0x0
	ds_store_b32 v0, v4
	s_trap 2
.LBB6_11772:                            ;   in Loop: Header=BB6_11758 Depth=3
	s_or_b32 exec_lo, exec_lo, s13
.LBB6_11773:                            ;   in Loop: Header=BB6_11758 Depth=3
	s_delay_alu instid0(SALU_CYCLE_1) | instskip(SKIP_3) | instid1(VALU_DEP_1)
	s_or_b32 exec_lo, exec_lo, s15
	v_and_b32_e32 v0, 0x108, v30
	s_mov_b32 s13, exec_lo
	;;#ASMSTART
	s_wakeup
	;;#ASMEND
                                        ; implicit-def: $vgpr10_vgpr11
	v_cmpx_ne_u32_e32 0x108, v0
	s_xor_b32 s13, exec_lo, s13
; %bb.11774:                            ;   in Loop: Header=BB6_11758 Depth=3
	v_dual_mov_b32 v11, v3 :: v_dual_bitop2_b32 v10, 7, v60 bitop3:0x40
                                        ; implicit-def: $vgpr60_vgpr61
; %bb.11775:                            ;   in Loop: Header=BB6_11758 Depth=3
	s_and_not1_saveexec_b32 s13, s13
	s_cbranch_execz .LBB6_11777
; %bb.11776:                            ;   in Loop: Header=BB6_11758 Depth=3
	v_dual_mov_b32 v11, v3 :: v_dual_bitop2_b32 v10, 7, v60 bitop3:0x40
	v_ashrrev_i32_e32 v13, 31, v12
	s_delay_alu instid0(VALU_DEP_2)
	v_mad_nc_u64_u32 v[4:5], v10, 24, v[6:7]
	flat_store_b64 v[4:5], v[12:13] offset:8
.LBB6_11777:                            ;   in Loop: Header=BB6_11758 Depth=3
	s_wait_xcnt 0x0
	s_or_b32 exec_lo, exec_lo, s13
	v_and_b32_e32 v0, 0x100, v30
	s_mov_b32 s13, -1
	s_mov_b32 s15, exec_lo
                                        ; implicit-def: $vgpr18_vgpr19
	s_delay_alu instid0(VALU_DEP_1)
	v_cmpx_ne_u32_e32 0, v0
	s_cbranch_execz .LBB6_11781
; %bb.11778:                            ;   in Loop: Header=BB6_11758 Depth=3
	v_mad_nc_u64_u32 v[20:21], v10, 24, v[6:7]
	s_mov_b32 s44, exec_lo
                                        ; implicit-def: $vgpr18_vgpr19
	s_delay_alu instid0(VALU_DEP_1)
	v_mad_u32 v21, v11, 24, v21
	flat_load_b32 v0, v[20:21]
	s_wait_loadcnt_dscnt 0x0
	v_cmp_ne_u32_e32 vcc_lo, 1, v0
	s_wait_xcnt 0x0
	v_cmpx_eq_u32_e32 1, v0
	s_cbranch_execz .LBB6_11780
; %bb.11779:                            ;   in Loop: Header=BB6_11758 Depth=3
	flat_load_b32 v18, v[20:21] offset:4 scope:SCOPE_SYS
	s_wait_loadcnt_dscnt 0x0
	v_ashrrev_i32_e32 v19, 31, v18
.LBB6_11780:                            ;   in Loop: Header=BB6_11758 Depth=3
	s_wait_xcnt 0x0
	s_or_b32 exec_lo, exec_lo, s44
	s_delay_alu instid0(SALU_CYCLE_1)
	s_or_not1_b32 s13, vcc_lo, exec_lo
.LBB6_11781:                            ;   in Loop: Header=BB6_11758 Depth=3
	s_or_b32 exec_lo, exec_lo, s15
	s_and_saveexec_b32 s15, s13
; %bb.11782:                            ;   in Loop: Header=BB6_11758 Depth=3
	v_mul_u64_e32 v[18:19], v[10:11], v[62:63]
; %bb.11783:                            ;   in Loop: Header=BB6_11758 Depth=3
	s_or_b32 exec_lo, exec_lo, s15
	v_cmp_eq_u32_e32 vcc_lo, 0, v2
	s_delay_alu instid0(VALU_DEP_2) | instskip(SKIP_3) | instid1(VALU_DEP_1)
	v_add_nc_u64_e32 v[4:5], v[68:69], v[18:19]
	v_and_b32_e32 v2, 0x2000, v30
	s_mov_b32 s13, exec_lo
	v_cndmask_b32_e32 v0, 0xd0, v72, vcc_lo
	v_add_nc_u32_e32 v0, v0, v0
	ds_store_b64 v0, v[4:5] offset:584
	v_cmpx_ne_u32_e32 0, v2
	s_cbranch_execz .LBB6_11785
; %bb.11784:                            ;   in Loop: Header=BB6_11758 Depth=3
	ds_load_b64 v[4:5], v0 offset:872
	s_wait_dscnt 0x0
	v_add_nc_u64_e32 v[4:5], 1, v[4:5]
	ds_store_b64 v0, v[4:5] offset:872
.LBB6_11785:                            ;   in Loop: Header=BB6_11758 Depth=3
	s_or_b32 exec_lo, exec_lo, s13
	v_mov_b64_e32 v[60:61], v[8:9]
.LBB6_11786:                            ;   in Loop: Header=BB6_11758 Depth=3
	s_or_b32 exec_lo, exec_lo, s14
	s_and_saveexec_b32 s13, s2
	s_cbranch_execz .LBB6_11805
; %bb.11787:                            ;   in Loop: Header=BB6_11758 Depth=3
	s_and_saveexec_b32 s14, s3
	s_delay_alu instid0(SALU_CYCLE_1)
	s_xor_b32 s14, exec_lo, s14
	s_cbranch_execz .LBB6_11802
; %bb.11788:                            ;   in Loop: Header=BB6_11758 Depth=3
	s_and_saveexec_b32 s15, s6
	s_cbranch_execz .LBB6_11801
; %bb.11789:                            ;   in Loop: Header=BB6_11758 Depth=3
	s_mov_b32 s45, exec_lo
	s_mov_b32 s44, exec_lo
	v_mbcnt_lo_u32_b32 v0, s45, 0
	global_wb scope:SCOPE_DEV
	s_wait_storecnt 0x0
	s_wait_loadcnt_dscnt 0x0
	global_inv scope:SCOPE_DEV
	v_cmpx_eq_u32_e32 0, v0
	s_cbranch_execz .LBB6_11791
; %bb.11790:                            ;   in Loop: Header=BB6_11758 Depth=3
	s_bcnt1_i32_b32 s45, s45
	s_delay_alu instid0(SALU_CYCLE_1)
	v_mov_b32_e32 v2, s45
	s_wait_loadcnt 0x0
	ds_add_u64 v0, v[2:3]
	s_trap 2
.LBB6_11791:                            ;   in Loop: Header=BB6_11758 Depth=3
	s_or_b32 exec_lo, exec_lo, s44
	s_trap 2
	ds_load_b64 v[4:5], v0
	s_wait_dscnt 0x0
	v_add_nc_u64_e32 v[80:81], v[80:81], v[84:85]
	s_mov_b32 s44, exec_lo
	s_delay_alu instid0(VALU_DEP_1)
	v_cmpx_lt_u64_e64 v[4:5], v[80:81]
	s_cbranch_execz .LBB6_11800
; %bb.11792:                            ;   in Loop: Header=BB6_11758 Depth=3
	s_mov_b32 s45, 0
	s_mov_b32 s77, 0
                                        ; implicit-def: $sgpr75
                                        ; implicit-def: $sgpr76
	s_branch .LBB6_11794
.LBB6_11793:                            ;   in Loop: Header=BB6_11794 Depth=4
	s_or_b32 exec_lo, exec_lo, s79
	s_delay_alu instid0(SALU_CYCLE_1) | instskip(NEXT) | instid1(SALU_CYCLE_1)
	s_and_b32 s78, exec_lo, s88
	s_or_b32 s45, s78, s45
	s_and_not1_b32 s75, s75, exec_lo
	s_and_b32 s78, s76, exec_lo
	s_delay_alu instid0(SALU_CYCLE_1)
	s_or_b32 s75, s75, s78
	s_and_not1_b32 exec_lo, exec_lo, s45
	s_cbranch_execz .LBB6_11798
.LBB6_11794:                            ;   Parent Loop BB6_47 Depth=1
                                        ;     Parent Loop BB6_11755 Depth=2
                                        ;       Parent Loop BB6_11758 Depth=3
                                        ; =>      This Inner Loop Header: Depth=4
	s_add_co_i32 s77, s77, 1
	s_delay_alu instid0(SALU_CYCLE_1) | instskip(SKIP_1) | instid1(SALU_CYCLE_1)
	s_cmp_lg_u32 s77, 0x2710
	s_cselect_b32 s78, -1, 0
	s_and_b32 vcc_lo, exec_lo, s78
	s_cbranch_vccz .LBB6_11796
; %bb.11795:                            ;   in Loop: Header=BB6_11794 Depth=4
	s_mov_b32 s88, -1
	s_or_b32 s76, s76, exec_lo
	s_and_saveexec_b32 s79, s78
	s_cbranch_execz .LBB6_11793
	s_branch .LBB6_11797
.LBB6_11796:                            ;   in Loop: Header=BB6_11794 Depth=4
	s_trap 2
	ds_load_b64 v[4:5], v0
	s_and_not1_b32 s78, s78, exec_lo
	s_mov_b32 s77, 0
	s_wait_loadcnt_dscnt 0x0
	flat_load_b32 v0, v[4:5] scope:SCOPE_SYS
	s_wait_loadcnt_dscnt 0x0
	global_inv scope:SCOPE_SYS
	v_cmp_eq_u32_e32 vcc_lo, 0, v0
	s_and_b32 s79, vcc_lo, exec_lo
	s_delay_alu instid0(SALU_CYCLE_1)
	s_or_b32 s78, s78, s79
	s_mov_b32 s88, -1
	s_or_b32 s76, s76, exec_lo
	s_and_saveexec_b32 s79, s78
	s_cbranch_execz .LBB6_11793
.LBB6_11797:                            ;   in Loop: Header=BB6_11794 Depth=4
	s_sleep 1
	s_trap 2
	ds_load_b64 v[4:5], v0
	s_wait_dscnt 0x0
	s_and_not1_b32 s76, s76, exec_lo
	v_cmp_ge_u64_e32 vcc_lo, v[4:5], v[80:81]
	s_or_not1_b32 s88, vcc_lo, exec_lo
	s_branch .LBB6_11793
.LBB6_11798:                            ;   in Loop: Header=BB6_11758 Depth=3
	s_or_b32 exec_lo, exec_lo, s45
	s_and_saveexec_b32 s45, s75
	s_delay_alu instid0(SALU_CYCLE_1)
	s_xor_b32 s45, exec_lo, s45
	s_cbranch_execz .LBB6_11800
; %bb.11799:                            ;   in Loop: Header=BB6_11758 Depth=3
	ds_store_b32 v0, v43
	s_trap 2
.LBB6_11800:                            ;   in Loop: Header=BB6_11758 Depth=3
	s_or_b32 exec_lo, exec_lo, s44
	;;#ASMSTART
	s_wakeup
	;;#ASMEND
.LBB6_11801:                            ;   in Loop: Header=BB6_11758 Depth=3
	s_or_b32 exec_lo, exec_lo, s15
.LBB6_11802:                            ;   in Loop: Header=BB6_11758 Depth=3
	s_and_not1_saveexec_b32 s14, s14
	s_cbranch_execz .LBB6_11804
; %bb.11803:                            ;   in Loop: Header=BB6_11758 Depth=3
	global_wb scope:SCOPE_DEV
	s_wait_storecnt 0x0
	s_wait_loadcnt_dscnt 0x0
	global_inv scope:SCOPE_DEV
	s_barrier_signal -1
	s_barrier_wait -1
.LBB6_11804:                            ;   in Loop: Header=BB6_11758 Depth=3
	s_or_b32 exec_lo, exec_lo, s14
.LBB6_11805:                            ;   in Loop: Header=BB6_11758 Depth=3
	s_delay_alu instid0(SALU_CYCLE_1) | instskip(SKIP_4) | instid1(VALU_DEP_1)
	s_or_b32 exec_lo, exec_lo, s13
	s_trap 2
	ds_load_b32 v4, v0
	v_and_b32_e32 v0, 0x4000, v30
	s_xor_b32 s13, s1, -1
	v_cmp_ne_u32_e32 vcc_lo, 0, v0
	s_and_b32 s14, s13, vcc_lo
	s_delay_alu instid0(SALU_CYCLE_1)
	s_and_saveexec_b32 s13, s14
	s_cbranch_execz .LBB6_11824
; %bb.11806:                            ;   in Loop: Header=BB6_11758 Depth=3
	s_and_saveexec_b32 s14, s3
	s_delay_alu instid0(SALU_CYCLE_1)
	s_xor_b32 s14, exec_lo, s14
	s_cbranch_execz .LBB6_11821
; %bb.11807:                            ;   in Loop: Header=BB6_11758 Depth=3
	s_and_saveexec_b32 s15, s6
	s_cbranch_execz .LBB6_11820
; %bb.11808:                            ;   in Loop: Header=BB6_11758 Depth=3
	s_mov_b32 s45, exec_lo
	s_mov_b32 s44, exec_lo
	v_mbcnt_lo_u32_b32 v0, s45, 0
	global_wb scope:SCOPE_DEV
	s_wait_storecnt 0x0
	s_wait_loadcnt_dscnt 0x0
	global_inv scope:SCOPE_DEV
	v_cmpx_eq_u32_e32 0, v0
	s_cbranch_execz .LBB6_11810
; %bb.11809:                            ;   in Loop: Header=BB6_11758 Depth=3
	s_bcnt1_i32_b32 s45, s45
	s_delay_alu instid0(SALU_CYCLE_1)
	v_mov_b32_e32 v2, s45
	s_wait_loadcnt 0x0
	ds_add_u64 v0, v[2:3]
	s_trap 2
.LBB6_11810:                            ;   in Loop: Header=BB6_11758 Depth=3
	s_or_b32 exec_lo, exec_lo, s44
	s_trap 2
	ds_load_b64 v[8:9], v0
	s_wait_dscnt 0x0
	v_add_nc_u64_e32 v[80:81], v[80:81], v[84:85]
	s_mov_b32 s44, exec_lo
	s_delay_alu instid0(VALU_DEP_1)
	v_cmpx_lt_u64_e64 v[8:9], v[80:81]
	s_cbranch_execz .LBB6_11819
; %bb.11811:                            ;   in Loop: Header=BB6_11758 Depth=3
	s_mov_b32 s45, 0
	s_mov_b32 s77, 0
                                        ; implicit-def: $sgpr75
                                        ; implicit-def: $sgpr76
	s_branch .LBB6_11813
.LBB6_11812:                            ;   in Loop: Header=BB6_11813 Depth=4
	s_or_b32 exec_lo, exec_lo, s79
	s_delay_alu instid0(SALU_CYCLE_1) | instskip(NEXT) | instid1(SALU_CYCLE_1)
	s_and_b32 s78, exec_lo, s88
	s_or_b32 s45, s78, s45
	s_and_not1_b32 s75, s75, exec_lo
	s_and_b32 s78, s76, exec_lo
	s_delay_alu instid0(SALU_CYCLE_1)
	s_or_b32 s75, s75, s78
	s_and_not1_b32 exec_lo, exec_lo, s45
	s_cbranch_execz .LBB6_11817
.LBB6_11813:                            ;   Parent Loop BB6_47 Depth=1
                                        ;     Parent Loop BB6_11755 Depth=2
                                        ;       Parent Loop BB6_11758 Depth=3
                                        ; =>      This Inner Loop Header: Depth=4
	s_add_co_i32 s77, s77, 1
	s_delay_alu instid0(SALU_CYCLE_1) | instskip(SKIP_1) | instid1(SALU_CYCLE_1)
	s_cmp_lg_u32 s77, 0x2710
	s_cselect_b32 s78, -1, 0
	s_and_b32 vcc_lo, exec_lo, s78
	s_cbranch_vccz .LBB6_11815
; %bb.11814:                            ;   in Loop: Header=BB6_11813 Depth=4
	s_mov_b32 s88, -1
	s_or_b32 s76, s76, exec_lo
	s_and_saveexec_b32 s79, s78
	s_cbranch_execz .LBB6_11812
	s_branch .LBB6_11816
.LBB6_11815:                            ;   in Loop: Header=BB6_11813 Depth=4
	s_trap 2
	ds_load_b64 v[8:9], v0
	s_and_not1_b32 s78, s78, exec_lo
	s_mov_b32 s77, 0
	s_wait_loadcnt_dscnt 0x0
	flat_load_b32 v0, v[8:9] scope:SCOPE_SYS
	s_wait_loadcnt_dscnt 0x0
	global_inv scope:SCOPE_SYS
	v_cmp_eq_u32_e32 vcc_lo, 0, v0
	s_and_b32 s79, vcc_lo, exec_lo
	s_delay_alu instid0(SALU_CYCLE_1)
	s_or_b32 s78, s78, s79
	s_mov_b32 s88, -1
	s_or_b32 s76, s76, exec_lo
	s_and_saveexec_b32 s79, s78
	s_cbranch_execz .LBB6_11812
.LBB6_11816:                            ;   in Loop: Header=BB6_11813 Depth=4
	s_sleep 1
	s_trap 2
	ds_load_b64 v[8:9], v0
	s_wait_dscnt 0x0
	s_and_not1_b32 s76, s76, exec_lo
	v_cmp_ge_u64_e32 vcc_lo, v[8:9], v[80:81]
	s_or_not1_b32 s88, vcc_lo, exec_lo
	s_branch .LBB6_11812
.LBB6_11817:                            ;   in Loop: Header=BB6_11758 Depth=3
	s_or_b32 exec_lo, exec_lo, s45
	s_and_saveexec_b32 s45, s75
	s_delay_alu instid0(SALU_CYCLE_1)
	s_xor_b32 s45, exec_lo, s45
	s_cbranch_execz .LBB6_11819
; %bb.11818:                            ;   in Loop: Header=BB6_11758 Depth=3
	ds_store_b32 v0, v43
	s_trap 2
.LBB6_11819:                            ;   in Loop: Header=BB6_11758 Depth=3
	s_or_b32 exec_lo, exec_lo, s44
	;;#ASMSTART
	s_wakeup
	;;#ASMEND
.LBB6_11820:                            ;   in Loop: Header=BB6_11758 Depth=3
	s_or_b32 exec_lo, exec_lo, s15
.LBB6_11821:                            ;   in Loop: Header=BB6_11758 Depth=3
	s_and_not1_saveexec_b32 s14, s14
	s_cbranch_execz .LBB6_11823
; %bb.11822:                            ;   in Loop: Header=BB6_11758 Depth=3
	global_wb scope:SCOPE_DEV
	s_wait_storecnt 0x0
	s_wait_loadcnt_dscnt 0x0
	global_inv scope:SCOPE_DEV
	s_barrier_signal -1
	s_barrier_wait -1
.LBB6_11823:                            ;   in Loop: Header=BB6_11758 Depth=3
	s_or_b32 exec_lo, exec_lo, s14
.LBB6_11824:                            ;   in Loop: Header=BB6_11758 Depth=3
	s_delay_alu instid0(SALU_CYCLE_1)
	s_or_b32 exec_lo, exec_lo, s13
	s_trap 2
	ds_load_b64 v[18:19], v0
	s_wait_dscnt 0x0
	v_cmp_eq_u64_e32 vcc_lo, 0, v[18:19]
	s_cbranch_vccnz .LBB6_11833
; %bb.11825:                            ;   in Loop: Header=BB6_11758 Depth=3
	s_trap 2
	ds_load_b64 v[20:21], v0
	s_wait_dscnt 0x0
	v_cmp_eq_u64_e32 vcc_lo, 0, v[20:21]
	s_cbranch_vccnz .LBB6_11833
; %bb.11826:                            ;   in Loop: Header=BB6_11758 Depth=3
	s_trap 2
	ds_load_b64 v[22:23], v0
	v_cmp_eq_u32_e64 s13, 0, v4
	s_delay_alu instid0(VALU_DEP_1)
	v_cndmask_b32_e64 v2, 0, v12, s13
	s_mov_b32 s13, -1
	s_wait_dscnt 0x0
	v_cmp_ne_u64_e32 vcc_lo, 0, v[22:23]
	s_cbranch_vccz .LBB6_11864
; %bb.11827:                            ;   in Loop: Header=BB6_11758 Depth=3
	s_and_saveexec_b32 s14, s11
	s_cbranch_execz .LBB6_11829
; %bb.11828:                            ;   in Loop: Header=BB6_11758 Depth=3
	ds_load_b32 v0, v0 offset:720
	s_wait_dscnt 0x0
	v_and_b32_e32 v0, 15, v0
	s_delay_alu instid0(VALU_DEP_1)
	v_cmp_eq_u32_e32 vcc_lo, 0, v0
	s_or_not1_b32 s13, vcc_lo, exec_lo
.LBB6_11829:                            ;   in Loop: Header=BB6_11758 Depth=3
	s_or_b32 exec_lo, exec_lo, s14
	s_and_saveexec_b32 s14, s12
	s_cbranch_execz .LBB6_11831
; %bb.11830:                            ;   in Loop: Header=BB6_11758 Depth=3
	ds_load_b32 v0, v0 offset:784
	s_wait_dscnt 0x0
	v_and_b32_e32 v0, 15, v0
	s_delay_alu instid0(VALU_DEP_1) | instskip(SKIP_3) | instid1(SALU_CYCLE_1)
	v_cmp_eq_u32_e32 vcc_lo, 0, v0
	s_and_b32 s15, s13, vcc_lo
	s_and_not1_b32 s13, s13, exec_lo
	s_and_b32 s15, s15, exec_lo
	s_or_b32 s13, s13, s15
.LBB6_11831:                            ;   in Loop: Header=BB6_11758 Depth=3
	s_or_b32 exec_lo, exec_lo, s14
	s_xor_b32 s13, s13, -1
	v_dual_mov_b32 v4, 0 :: v_dual_mov_b32 v5, v2
	v_cndmask_b32_e64 v0, 0, 1, s13
	v_dual_mov_b32 v13, v42 :: v_dual_mov_b32 v8, v95
	s_mov_b32 s13, -1
	s_delay_alu instid0(VALU_DEP_2)
	v_cmp_ne_u32_e32 vcc_lo, 0, v0
	s_cbranch_vccz .LBB6_11838
; %bb.11832:                            ;   in Loop: Header=BB6_11758 Depth=3
	s_and_saveexec_b32 s15, s13
	s_cbranch_execnz .LBB6_11853
	s_branch .LBB6_11863
.LBB6_11833:                            ;   in Loop: Header=BB6_11758 Depth=3
	s_mov_b32 s13, 0
	s_and_saveexec_b32 s14, s2
	s_cbranch_execnz .LBB6_11894
.LBB6_11834:                            ;   in Loop: Header=BB6_11758 Depth=3
	s_or_b32 exec_lo, exec_lo, s14
                                        ; implicit-def: $vgpr0
	s_and_saveexec_b32 s14, s10
	s_delay_alu instid0(SALU_CYCLE_1)
	s_xor_b32 s14, exec_lo, s14
	s_cbranch_execz .LBB6_11912
.LBB6_11835:                            ;   in Loop: Header=BB6_11758 Depth=3
	v_and_b32_e32 v0, 16, v30
	s_delay_alu instid0(VALU_DEP_1) | instskip(SKIP_2) | instid1(SALU_CYCLE_1)
	v_cmp_ne_u32_e32 vcc_lo, 0, v0
	v_and_b32_e32 v0, 16, v30
	s_and_b32 s15, vcc_lo, s13
	s_and_saveexec_b32 s13, s15
	s_cbranch_execz .LBB6_11837
; %bb.11836:                            ;   in Loop: Header=BB6_11758 Depth=3
	v_mov_b32_e32 v0, 1
	global_wb scope:SCOPE_SYS
	s_wait_storecnt 0x0
	s_wait_loadcnt_dscnt 0x0
	global_inv scope:SCOPE_SYS
.LBB6_11837:                            ;   in Loop: Header=BB6_11758 Depth=3
	s_or_b32 exec_lo, exec_lo, s13
	s_and_not1_saveexec_b32 s13, s14
	s_cbranch_execz .LBB6_11931
	s_branch .LBB6_11913
.LBB6_11838:                            ;   in Loop: Header=BB6_11758 Depth=3
	v_ashrrev_i32_e32 v0, 31, v2
	s_mov_b32 s13, exec_lo
	s_delay_alu instid0(VALU_DEP_1) | instskip(NEXT) | instid1(VALU_DEP_1)
	v_lshrrev_b32_e32 v0, 21, v0
	v_add_nc_u32_e32 v0, v2, v0
	s_delay_alu instid0(VALU_DEP_1) | instskip(NEXT) | instid1(VALU_DEP_1)
	v_ashrrev_i32_e32 v0, 11, v0
	v_sub_nc_u32_e32 v26, v0, v95
	s_delay_alu instid0(VALU_DEP_1)
	v_cmpx_lt_i32_e32 0, v26
	s_cbranch_execz .LBB6_11842
; %bb.11839:                            ;   in Loop: Header=BB6_11758 Depth=3
	scratch_load_b64 v[4:5], off, s33 offset:240 ; 8-byte Folded Reload
	s_mov_b32 s14, 0
	s_wait_loadcnt 0x0
	v_add_nc_u64_e32 v[8:9], v[18:19], v[4:5]
	v_add_nc_u64_e32 v[10:11], v[20:21], v[4:5]
	;; [unrolled: 1-line block ×3, first 2 shown]
.LBB6_11840:                            ;   Parent Loop BB6_47 Depth=1
                                        ;     Parent Loop BB6_11755 Depth=2
                                        ;       Parent Loop BB6_11758 Depth=3
                                        ; =>      This Inner Loop Header: Depth=4
	s_clause 0x3
	global_load_b128 v[32:35], v[8:9], off th:TH_LOAD_NT
	global_load_b128 v[36:39], v[8:9], off offset:512 th:TH_LOAD_NT
	global_load_b128 v[48:51], v[8:9], off offset:1024 th:TH_LOAD_NT
	;; [unrolled: 1-line block ×3, first 2 shown]
	v_sub_nc_u32_e32 v26, v26, v84
	s_wait_xcnt 0x0
	v_add_nc_u64_e32 v[8:9], v[8:9], v[116:117]
	s_wait_loadcnt 0x3
	global_store_b128 v[10:11], v[32:35], off th:TH_STORE_NT
	s_wait_loadcnt 0x2
	global_store_b128 v[10:11], v[36:39], off offset:512 th:TH_STORE_NT
	s_wait_loadcnt 0x1
	global_store_b128 v[10:11], v[48:51], off offset:1024 th:TH_STORE_NT
	;; [unrolled: 2-line block ×3, first 2 shown]
	s_clause 0x3
	global_store_b128 v[24:25], v[32:35], off th:TH_STORE_NT
	global_store_b128 v[24:25], v[36:39], off offset:512 th:TH_STORE_NT
	global_store_b128 v[24:25], v[48:51], off offset:1024 th:TH_STORE_NT
	;; [unrolled: 1-line block ×3, first 2 shown]
	v_cmp_gt_i32_e32 vcc_lo, 1, v26
	s_wait_xcnt 0x4
	v_add_nc_u64_e32 v[10:11], v[10:11], v[116:117]
	s_wait_xcnt 0x0
	v_add_nc_u64_e32 v[24:25], v[24:25], v[116:117]
	s_or_b32 s14, vcc_lo, s14
	s_delay_alu instid0(SALU_CYCLE_1)
	s_and_not1_b32 exec_lo, exec_lo, s14
	s_cbranch_execnz .LBB6_11840
; %bb.11841:                            ;   in Loop: Header=BB6_11758 Depth=3
	s_or_b32 exec_lo, exec_lo, s14
.LBB6_11842:                            ;   in Loop: Header=BB6_11758 Depth=3
	s_delay_alu instid0(SALU_CYCLE_1) | instskip(SKIP_3) | instid1(VALU_DEP_1)
	s_or_b32 exec_lo, exec_lo, s13
	v_dual_mov_b32 v4, 0 :: v_dual_lshlrev_b32 v15, 11, v0
	s_mov_b32 s13, 0
	s_mov_b32 s75, exec_lo
                                        ; implicit-def: $vgpr5
                                        ; implicit-def: $vgpr13
                                        ; implicit-def: $vgpr8
	v_cmpx_ne_u32_e64 v2, v15
	s_cbranch_execz .LBB6_11852
; %bb.11843:                            ;   in Loop: Header=BB6_11758 Depth=3
	scratch_load_b32 v4, off, s33 offset:220 ; 4-byte Folded Reload
	v_dual_lshlrev_b32 v0, 5, v26 :: v_dual_sub_nc_u32 v5, v2, v15
	s_mov_b32 s76, exec_lo
	s_delay_alu instid0(VALU_DEP_1) | instskip(NEXT) | instid1(VALU_DEP_1)
	v_ashrrev_i32_e32 v8, 31, v5
	v_lshrrev_b32_e32 v8, 23, v8
	s_delay_alu instid0(VALU_DEP_1) | instskip(NEXT) | instid1(VALU_DEP_1)
	v_add_nc_u32_e32 v8, v5, v8
	v_and_b32_e32 v28, 0xfffffe00, v8
	s_wait_loadcnt 0x0
	v_sub_nc_u32_e32 v0, v4, v0
	s_delay_alu instid0(VALU_DEP_1) | instskip(NEXT) | instid1(VALU_DEP_1)
	v_ashrrev_i32_e32 v4, 31, v0
	v_lshrrev_b32_e32 v4, 27, v4
	s_delay_alu instid0(VALU_DEP_1) | instskip(NEXT) | instid1(VALU_DEP_1)
	v_add_nc_u32_e32 v4, v0, v4
	v_and_b32_e32 v9, 0xffffffe0, v4
	s_delay_alu instid0(VALU_DEP_1) | instskip(SKIP_1) | instid1(VALU_DEP_2)
	v_dual_sub_nc_u32 v29, v0, v9 :: v_dual_ashrrev_i32 v9, 5, v4
	v_sub_nc_u32_e32 v31, v5, v28
	v_dual_ashrrev_i32 v4, 9, v8 :: v_dual_lshlrev_b32 v0, 4, v29
	s_delay_alu instid0(VALU_DEP_2) | instskip(NEXT) | instid1(VALU_DEP_2)
	v_cmp_lt_i32_e64 s13, 15, v31
	v_lshl_add_u32 v0, v9, 9, v0
	s_delay_alu instid0(VALU_DEP_2) | instskip(NEXT) | instid1(VALU_DEP_1)
	v_add_co_ci_u32_e64 v8, null, 0, v4, s13
	v_dual_sub_nc_u32 v4, v5, v0 :: v_dual_sub_nc_u32 v34, v8, v9
	s_wait_xcnt 0x0
	s_delay_alu instid0(VALU_DEP_1)
	v_cmpx_lt_i32_e32 15, v4
	s_cbranch_execz .LBB6_11849
; %bb.11844:                            ;   in Loop: Header=BB6_11758 Depth=3
	v_add_nc_u32_e32 v8, v0, v15
	s_mov_b32 s77, 0
	s_delay_alu instid0(VALU_DEP_1) | instskip(NEXT) | instid1(VALU_DEP_1)
	v_ashrrev_i32_e32 v9, 31, v8
	v_add_nc_u64_e32 v[24:25], v[8:9], v[18:19]
	v_add_nc_u64_e32 v[26:27], v[8:9], v[20:21]
	;; [unrolled: 1-line block ×3, first 2 shown]
.LBB6_11845:                            ;   Parent Loop BB6_47 Depth=1
                                        ;     Parent Loop BB6_11755 Depth=2
                                        ;       Parent Loop BB6_11758 Depth=3
                                        ; =>      This Loop Header: Depth=4
                                        ;           Child Loop BB6_11846 Depth 5
	global_load_b128 v[8:11], v[24:25], off th:TH_LOAD_NT
	s_mov_b64 s[44:45], 0
	s_mov_b32 s78, -1
.LBB6_11846:                            ;   Parent Loop BB6_47 Depth=1
                                        ;     Parent Loop BB6_11755 Depth=2
                                        ;       Parent Loop BB6_11758 Depth=3
                                        ;         Parent Loop BB6_11845 Depth=4
                                        ; =>        This Inner Loop Header: Depth=5
	s_cmp_eq_u32 s44, 1
	s_cselect_b32 vcc_lo, -1, 0
	s_cmp_eq_u32 s44, 0
	s_wait_xcnt 0x0
	v_dual_cndmask_b32 v37, v27, v33 :: v_dual_cndmask_b32 v36, v26, v32
	s_cselect_b32 s14, -1, 0
	s_and_b32 s15, exec_lo, s78
	s_mov_b64 s[44:45], 1
	s_mov_b32 s78, 0
	v_add_nc_u64_e32 v[38:39], 0x200, v[36:37]
	s_wait_loadcnt 0x0
	global_store_b128 v[36:37], v[8:11], off th:TH_STORE_NT
	v_dual_cndmask_b32 v33, v33, v39 :: v_dual_cndmask_b32 v32, v32, v38
	v_dual_cndmask_b32 v27, v27, v39, s14 :: v_dual_cndmask_b32 v26, v26, v38, s14
	s_mov_b32 vcc_lo, s15
	s_cbranch_vccnz .LBB6_11846
; %bb.11847:                            ;   in Loop: Header=BB6_11845 Depth=4
	scratch_load_b64 v[8:9], off, s33 offset:188 ; 8-byte Folded Reload
	v_sub_nc_u32_e32 v4, v4, v112
	v_add_nc_u64_e32 v[26:27], v[26:27], v[74:75]
	v_add_nc_u64_e32 v[32:33], v[32:33], v[74:75]
	v_sub_nc_u32_e32 v34, v34, v84
	s_delay_alu instid0(VALU_DEP_4)
	v_cmp_gt_i32_e32 vcc_lo, 16, v4
	s_or_b32 s77, vcc_lo, s77
	s_wait_loadcnt 0x0
	v_add_nc_u64_e32 v[24:25], v[8:9], v[24:25]
	s_wait_xcnt 0x0
	s_and_not1_b32 exec_lo, exec_lo, s77
	s_cbranch_execnz .LBB6_11845
; %bb.11848:                            ;   in Loop: Header=BB6_11758 Depth=3
	s_or_b32 exec_lo, exec_lo, s77
.LBB6_11849:                            ;   in Loop: Header=BB6_11758 Depth=3
	s_delay_alu instid0(SALU_CYCLE_1) | instskip(SKIP_3) | instid1(VALU_DEP_1)
	s_or_b32 exec_lo, exec_lo, s76
	v_dual_mov_b32 v4, 0 :: v_dual_bitop2_b32 v0, 15, v2 bitop3:0x40
	s_mov_b32 s14, 0
	s_mov_b32 s15, exec_lo
                                        ; implicit-def: $vgpr13
                                        ; implicit-def: $vgpr8
	v_cndmask_b32_e64 v5, v31, v0, s13
	s_delay_alu instid0(VALU_DEP_1)
	v_cmpx_ne_u32_e32 0, v5
	s_cbranch_execz .LBB6_11851
; %bb.11850:                            ;   in Loop: Header=BB6_11758 Depth=3
	v_cmp_lt_i32_e32 vcc_lo, 0, v34
	s_mov_b32 s14, exec_lo
	v_sub_nc_u32_e32 v0, v31, v0
	v_cndmask_b32_e32 v4, 0, v84, vcc_lo
	s_delay_alu instid0(VALU_DEP_1) | instskip(NEXT) | instid1(VALU_DEP_1)
	v_dual_cndmask_b32 v0, 0, v0, s13 :: v_dual_sub_nc_u32 v4, v4, v34
	v_lshl_add_u32 v13, v4, 5, v29
	s_delay_alu instid0(VALU_DEP_1) | instskip(NEXT) | instid1(VALU_DEP_1)
	v_ashrrev_i32_e32 v4, 31, v13
	v_lshrrev_b32_e32 v4, 27, v4
	s_delay_alu instid0(VALU_DEP_1) | instskip(SKIP_1) | instid1(VALU_DEP_2)
	v_add_nc_u32_e32 v8, v13, v4
	v_add3_u32 v4, v28, v15, v0
	v_ashrrev_i32_e32 v8, 5, v8
.LBB6_11851:                            ;   in Loop: Header=BB6_11758 Depth=3
	s_or_b32 exec_lo, exec_lo, s15
	s_delay_alu instid0(SALU_CYCLE_1)
	s_and_b32 s13, s14, exec_lo
.LBB6_11852:                            ;   in Loop: Header=BB6_11758 Depth=3
	s_or_b32 exec_lo, exec_lo, s75
	s_and_saveexec_b32 s15, s13
	s_cbranch_execz .LBB6_11863
.LBB6_11853:                            ;   in Loop: Header=BB6_11758 Depth=3
	v_ashrrev_i32_e32 v0, 31, v5
	s_mov_b32 s13, exec_lo
	s_delay_alu instid0(VALU_DEP_1) | instskip(NEXT) | instid1(VALU_DEP_1)
	v_lshrrev_b32_e32 v0, 22, v0
	v_add_nc_u32_e32 v0, v5, v0
	s_delay_alu instid0(VALU_DEP_1) | instskip(NEXT) | instid1(VALU_DEP_1)
	v_dual_ashrrev_i32 v25, 10, v0 :: v_dual_ashrrev_i32 v0, 31, v13
	v_sub_nc_u32_e32 v15, v25, v8
	s_delay_alu instid0(VALU_DEP_2) | instskip(NEXT) | instid1(VALU_DEP_2)
	v_lshrrev_b32_e32 v24, 27, v0
	v_cmpx_lt_i32_e32 0, v15
	s_cbranch_execz .LBB6_11857
; %bb.11854:                            ;   in Loop: Header=BB6_11758 Depth=3
	s_delay_alu instid0(VALU_DEP_2) | instskip(SKIP_3) | instid1(VALU_DEP_3)
	v_add_nc_u32_e32 v0, v13, v24
	v_lshlrev_b32_e32 v8, 10, v8
	v_add_nc_u64_e32 v[28:29], 0x3e0, v[18:19]
	s_mov_b32 s14, 0
	v_and_b32_e32 v0, 0xffffffe0, v0
	s_delay_alu instid0(VALU_DEP_1) | instskip(NEXT) | instid1(VALU_DEP_1)
	v_sub_nc_u32_e32 v0, v13, v0
	v_add3_u32 v26, v4, v0, v8
	s_delay_alu instid0(VALU_DEP_1) | instskip(NEXT) | instid1(VALU_DEP_1)
	v_ashrrev_i32_e32 v27, 31, v26
	v_add_nc_u64_e32 v[8:9], v[26:27], v[20:21]
	v_add_nc_u64_e32 v[10:11], v[26:27], v[22:23]
	;; [unrolled: 1-line block ×3, first 2 shown]
.LBB6_11855:                            ;   Parent Loop BB6_47 Depth=1
                                        ;     Parent Loop BB6_11755 Depth=2
                                        ;       Parent Loop BB6_11758 Depth=3
                                        ; =>      This Inner Loop Header: Depth=4
	s_clause 0x1f
	flat_load_u8 v0, v[22:23] offset:-992 th:TH_LOAD_NT
	flat_load_u8 v26, v[22:23] offset:-960 th:TH_LOAD_NT
	;; [unrolled: 1-line block ×31, first 2 shown]
	flat_load_u8 v41, v[22:23] th:TH_LOAD_NT
	v_sub_nc_u32_e32 v15, v15, v84
	s_wait_xcnt 0x0
	v_add_nc_u64_e32 v[22:23], v[22:23], v[114:115]
	s_wait_loadcnt_dscnt 0x1f1f
	flat_store_b8 v[8:9], v0 th:TH_STORE_NT
	s_wait_loadcnt_dscnt 0x1e1f
	flat_store_b8 v[8:9], v26 offset:32 th:TH_STORE_NT
	s_wait_loadcnt_dscnt 0x1d1f
	flat_store_b8 v[8:9], v27 offset:64 th:TH_STORE_NT
	;; [unrolled: 2-line block ×31, first 2 shown]
	s_clause 0x1f
	flat_store_b8 v[10:11], v0 th:TH_STORE_NT
	flat_store_b8 v[10:11], v26 offset:32 th:TH_STORE_NT
	flat_store_b8 v[10:11], v27 offset:64 th:TH_STORE_NT
	;; [unrolled: 1-line block ×31, first 2 shown]
	v_cmp_gt_i32_e32 vcc_lo, 1, v15
	s_wait_xcnt 0x20
	v_add_nc_u64_e32 v[8:9], v[8:9], v[114:115]
	s_wait_xcnt 0x0
	v_add_nc_u64_e32 v[10:11], v[10:11], v[114:115]
	s_or_b32 s14, vcc_lo, s14
	s_delay_alu instid0(SALU_CYCLE_1)
	s_and_not1_b32 exec_lo, exec_lo, s14
	s_cbranch_execnz .LBB6_11855
; %bb.11856:                            ;   in Loop: Header=BB6_11758 Depth=3
	s_or_b32 exec_lo, exec_lo, s14
.LBB6_11857:                            ;   in Loop: Header=BB6_11758 Depth=3
	s_delay_alu instid0(SALU_CYCLE_1) | instskip(SKIP_1) | instid1(VALU_DEP_1)
	s_or_b32 exec_lo, exec_lo, s13
	v_lshlrev_b32_e32 v0, 10, v25
	v_cmp_ne_u32_e32 vcc_lo, v5, v0
	s_and_b32 exec_lo, exec_lo, vcc_lo
	s_cbranch_execz .LBB6_11863
; %bb.11858:                            ;   in Loop: Header=BB6_11758 Depth=3
	v_dual_add_nc_u32 v8, v13, v24 :: v_dual_lshlrev_b32 v9, 5, v15
	s_delay_alu instid0(VALU_DEP_1) | instskip(NEXT) | instid1(VALU_DEP_1)
	v_and_b32_e32 v8, 0xffffffe0, v8
	v_sub_nc_u32_e32 v8, v13, v8
	s_delay_alu instid0(VALU_DEP_1) | instskip(NEXT) | instid1(VALU_DEP_1)
	v_sub_nc_u32_e32 v8, v8, v9
	v_add_nc_u32_e32 v0, v0, v8
	s_delay_alu instid0(VALU_DEP_1) | instskip(NEXT) | instid1(VALU_DEP_1)
	v_sub_nc_u32_e32 v5, v5, v0
	v_cmp_lt_i32_e32 vcc_lo, 0, v5
	s_and_b32 exec_lo, exec_lo, vcc_lo
	s_cbranch_execz .LBB6_11863
; %bb.11859:                            ;   in Loop: Header=BB6_11758 Depth=3
	s_trap 2
	ds_load_b64 v[8:9], v0
	ds_load_b128 v[22:25], v0
	v_add_nc_u32_e32 v26, v0, v4
	s_mov_b32 s75, 0
	s_delay_alu instid0(VALU_DEP_1) | instskip(SKIP_1) | instid1(VALU_DEP_1)
	v_ashrrev_i32_e32 v27, 31, v26
	s_wait_dscnt 0x1
	v_add_nc_u64_e32 v[8:9], v[8:9], v[26:27]
	s_wait_dscnt 0x0
	v_add_nc_u64_e32 v[10:11], v[22:23], v[26:27]
	v_add_nc_u64_e32 v[22:23], v[24:25], v[26:27]
.LBB6_11860:                            ;   Parent Loop BB6_47 Depth=1
                                        ;     Parent Loop BB6_11755 Depth=2
                                        ;       Parent Loop BB6_11758 Depth=3
                                        ; =>      This Loop Header: Depth=4
                                        ;           Child Loop BB6_11861 Depth 5
	flat_load_u8 v0, v[8:9] th:TH_LOAD_NT
	s_mov_b64 s[44:45], 0
	s_mov_b32 s76, -1
.LBB6_11861:                            ;   Parent Loop BB6_47 Depth=1
                                        ;     Parent Loop BB6_11755 Depth=2
                                        ;       Parent Loop BB6_11758 Depth=3
                                        ;         Parent Loop BB6_11860 Depth=4
                                        ; =>        This Inner Loop Header: Depth=5
	s_cmp_eq_u32 s44, 1
	s_cselect_b32 vcc_lo, -1, 0
	s_cmp_eq_u32 s44, 0
	s_wait_xcnt 0x0
	v_dual_cndmask_b32 v25, v11, v23 :: v_dual_cndmask_b32 v24, v10, v22
	s_cselect_b32 s13, -1, 0
	s_and_b32 s14, exec_lo, s76
	s_mov_b64 s[44:45], 1
	s_mov_b32 s76, 0
	v_add_nc_u64_e32 v[26:27], 32, v[24:25]
	s_wait_loadcnt_dscnt 0x0
	flat_store_b8 v[24:25], v0 th:TH_STORE_NT
	v_dual_cndmask_b32 v23, v23, v27 :: v_dual_cndmask_b32 v22, v22, v26
	v_dual_cndmask_b32 v11, v11, v27, s13 :: v_dual_cndmask_b32 v10, v10, v26, s13
	s_mov_b32 vcc_lo, s14
	s_cbranch_vccnz .LBB6_11861
; %bb.11862:                            ;   in Loop: Header=BB6_11860 Depth=4
	s_wait_xcnt 0x0
	v_add_nc_u64_e32 v[24:25], 32, v[118:119]
	v_sub_nc_u32_e32 v5, v5, v86
	v_add_nc_u64_e32 v[10:11], v[10:11], v[118:119]
	v_add_nc_u64_e32 v[22:23], v[22:23], v[118:119]
	s_delay_alu instid0(VALU_DEP_3) | instskip(SKIP_2) | instid1(SALU_CYCLE_1)
	v_cmp_gt_i32_e32 vcc_lo, 1, v5
	v_add_nc_u64_e32 v[8:9], v[24:25], v[8:9]
	s_or_b32 s75, vcc_lo, s75
	s_and_not1_b32 exec_lo, exec_lo, s75
	s_cbranch_execnz .LBB6_11860
.LBB6_11863:                            ;   in Loop: Header=BB6_11758 Depth=3
	s_or_b32 exec_lo, exec_lo, s15
	s_mov_b32 s13, 0
.LBB6_11864:                            ;   in Loop: Header=BB6_11758 Depth=3
	s_delay_alu instid0(SALU_CYCLE_1)
	s_and_b32 vcc_lo, exec_lo, s13
	s_cbranch_vccz .LBB6_11893
; %bb.11865:                            ;   in Loop: Header=BB6_11758 Depth=3
	s_mov_b32 s13, -1
	s_and_saveexec_b32 s14, s11
	s_cbranch_execz .LBB6_11867
; %bb.11866:                            ;   in Loop: Header=BB6_11758 Depth=3
	ds_load_b32 v0, v0 offset:720
	s_wait_dscnt 0x0
	v_and_b32_e32 v0, 15, v0
	s_delay_alu instid0(VALU_DEP_1)
	v_cmp_eq_u32_e32 vcc_lo, 0, v0
	s_or_not1_b32 s13, vcc_lo, exec_lo
.LBB6_11867:                            ;   in Loop: Header=BB6_11758 Depth=3
	s_or_b32 exec_lo, exec_lo, s14
	s_and_saveexec_b32 s14, s7
	s_cbranch_execz .LBB6_11869
; %bb.11868:                            ;   in Loop: Header=BB6_11758 Depth=3
	ds_load_b32 v0, v0 offset:784
	s_wait_dscnt 0x0
	v_and_b32_e32 v0, 15, v0
	s_delay_alu instid0(VALU_DEP_1) | instskip(SKIP_3) | instid1(SALU_CYCLE_1)
	v_cmp_eq_u32_e32 vcc_lo, 0, v0
	s_and_b32 s15, s13, vcc_lo
	s_and_not1_b32 s13, s13, exec_lo
	s_and_b32 s15, s15, exec_lo
	s_or_b32 s13, s13, s15
.LBB6_11869:                            ;   in Loop: Header=BB6_11758 Depth=3
	s_or_b32 exec_lo, exec_lo, s14
	s_xor_b32 s13, s13, -1
	v_dual_mov_b32 v4, 0 :: v_dual_mov_b32 v5, v2
	v_cndmask_b32_e64 v0, 0, 1, s13
	v_mov_b32_e32 v10, v42
	s_mov_b32 s15, -1
	s_delay_alu instid0(VALU_DEP_2)
	v_cmp_ne_u32_e32 vcc_lo, 0, v0
	v_mov_b32_e32 v0, v95
	s_cbranch_vccz .LBB6_11871
; %bb.11870:                            ;   in Loop: Header=BB6_11758 Depth=3
	s_and_saveexec_b32 s13, s15
	s_cbranch_execnz .LBB6_11884
	s_branch .LBB6_11892
.LBB6_11871:                            ;   in Loop: Header=BB6_11758 Depth=3
	v_ashrrev_i32_e32 v0, 31, v2
	s_mov_b32 s13, exec_lo
	s_delay_alu instid0(VALU_DEP_1) | instskip(NEXT) | instid1(VALU_DEP_1)
	v_lshrrev_b32_e32 v0, 20, v0
	v_add_nc_u32_e32 v0, v2, v0
	s_delay_alu instid0(VALU_DEP_1) | instskip(NEXT) | instid1(VALU_DEP_1)
	v_ashrrev_i32_e32 v0, 12, v0
	v_sub_nc_u32_e32 v13, v0, v95
	s_delay_alu instid0(VALU_DEP_1)
	v_cmpx_lt_i32_e32 0, v13
	s_cbranch_execz .LBB6_11875
; %bb.11872:                            ;   in Loop: Header=BB6_11758 Depth=3
	v_mov_b64_e32 v[8:9], v[20:21]
	v_mov_b64_e32 v[10:11], v[18:19]
	s_mov_b32 s14, 0
.LBB6_11873:                            ;   Parent Loop BB6_47 Depth=1
                                        ;     Parent Loop BB6_11755 Depth=2
                                        ;       Parent Loop BB6_11758 Depth=3
                                        ; =>      This Inner Loop Header: Depth=4
	s_delay_alu instid0(VALU_DEP_1)
	v_add_nc_u64_e32 v[4:5], v[44:45], v[10:11]
	v_sub_nc_u32_e32 v13, v13, v84
	v_add_nc_u64_e32 v[10:11], v[10:11], v[102:103]
	s_clause 0x7
	global_load_b128 v[22:25], v[4:5], off th:TH_LOAD_NT
	global_load_b128 v[26:29], v[4:5], off offset:512 th:TH_LOAD_NT
	global_load_b128 v[32:35], v[4:5], off offset:1024 th:TH_LOAD_NT
	;; [unrolled: 1-line block ×7, first 2 shown]
	s_wait_xcnt 0x0
	v_add_nc_u64_e32 v[4:5], v[44:45], v[8:9]
	v_add_nc_u64_e32 v[8:9], v[8:9], v[102:103]
	v_cmp_gt_i32_e32 vcc_lo, 1, v13
	s_wait_loadcnt 0x7
	global_store_b128 v[4:5], v[22:25], off th:TH_STORE_NT
	s_wait_loadcnt 0x6
	global_store_b128 v[4:5], v[26:29], off offset:512 th:TH_STORE_NT
	s_wait_loadcnt 0x5
	global_store_b128 v[4:5], v[32:35], off offset:1024 th:TH_STORE_NT
	;; [unrolled: 2-line block ×7, first 2 shown]
	s_or_b32 s14, vcc_lo, s14
	s_wait_xcnt 0x0
	s_and_not1_b32 exec_lo, exec_lo, s14
	s_cbranch_execnz .LBB6_11873
; %bb.11874:                            ;   in Loop: Header=BB6_11758 Depth=3
	s_or_b32 exec_lo, exec_lo, s14
.LBB6_11875:                            ;   in Loop: Header=BB6_11758 Depth=3
	s_delay_alu instid0(SALU_CYCLE_1) | instskip(SKIP_3) | instid1(VALU_DEP_1)
	s_or_b32 exec_lo, exec_lo, s13
	v_dual_mov_b32 v4, 0 :: v_dual_lshlrev_b32 v11, 12, v0
	s_mov_b32 s15, 0
	s_mov_b32 s14, exec_lo
                                        ; implicit-def: $vgpr5
                                        ; implicit-def: $vgpr10
                                        ; implicit-def: $vgpr0
	v_cmpx_ne_u32_e64 v2, v11
	s_cbranch_execz .LBB6_11883
; %bb.11876:                            ;   in Loop: Header=BB6_11758 Depth=3
	scratch_load_b32 v4, off, s33 offset:220 ; 4-byte Folded Reload
	v_dual_lshlrev_b32 v0, 5, v13 :: v_dual_sub_nc_u32 v5, v2, v11
	s_mov_b32 s15, exec_lo
	s_delay_alu instid0(VALU_DEP_1) | instskip(NEXT) | instid1(VALU_DEP_1)
	v_ashrrev_i32_e32 v8, 31, v5
	v_lshrrev_b32_e32 v8, 23, v8
	s_delay_alu instid0(VALU_DEP_1) | instskip(NEXT) | instid1(VALU_DEP_1)
	v_add_nc_u32_e32 v8, v5, v8
	v_and_b32_e32 v13, 0xfffffe00, v8
	s_delay_alu instid0(VALU_DEP_1) | instskip(NEXT) | instid1(VALU_DEP_1)
	v_dual_ashrrev_i32 v8, 9, v8 :: v_dual_sub_nc_u32 v22, v5, v13
	v_cmp_lt_i32_e32 vcc_lo, 15, v22
	s_delay_alu instid0(VALU_DEP_2) | instskip(SKIP_2) | instid1(VALU_DEP_1)
	v_add_co_ci_u32_e64 v8, null, 0, v8, vcc_lo
	s_wait_loadcnt 0x0
	v_sub_nc_u32_e32 v0, v4, v0
	v_ashrrev_i32_e32 v4, 31, v0
	s_delay_alu instid0(VALU_DEP_1) | instskip(NEXT) | instid1(VALU_DEP_1)
	v_lshrrev_b32_e32 v4, 27, v4
	v_add_nc_u32_e32 v4, v0, v4
	s_delay_alu instid0(VALU_DEP_1) | instskip(NEXT) | instid1(VALU_DEP_1)
	v_and_b32_e32 v9, 0xffffffe0, v4
	v_dual_sub_nc_u32 v15, v0, v9 :: v_dual_ashrrev_i32 v9, 5, v4
	s_delay_alu instid0(VALU_DEP_1) | instskip(NEXT) | instid1(VALU_DEP_1)
	v_lshlrev_b32_e32 v0, 4, v15
	v_lshl_add_u32 v4, v9, 9, v0
	s_delay_alu instid0(VALU_DEP_1) | instskip(SKIP_1) | instid1(VALU_DEP_1)
	v_dual_sub_nc_u32 v0, v5, v4 :: v_dual_sub_nc_u32 v23, v8, v9
	s_wait_xcnt 0x0
	v_cmpx_lt_i32_e32 15, v0
	s_cbranch_execz .LBB6_11880
; %bb.11877:                            ;   in Loop: Header=BB6_11758 Depth=3
	v_add_nc_u32_e32 v8, v4, v11
	s_mov_b32 s44, 0
	s_delay_alu instid0(VALU_DEP_1)
	v_ashrrev_i32_e32 v9, 31, v8
.LBB6_11878:                            ;   Parent Loop BB6_47 Depth=1
                                        ;     Parent Loop BB6_11755 Depth=2
                                        ;       Parent Loop BB6_11758 Depth=3
                                        ; =>      This Inner Loop Header: Depth=4
	s_delay_alu instid0(VALU_DEP_1) | instskip(SKIP_2) | instid1(VALU_DEP_2)
	v_add_nc_u64_e32 v[4:5], v[18:19], v[8:9]
	v_sub_nc_u32_e32 v0, v0, v112
	v_sub_nc_u32_e32 v23, v23, v84
	v_cmp_gt_i32_e64 s13, 16, v0
	global_load_b128 v[24:27], v[4:5], off th:TH_LOAD_NT
	s_wait_xcnt 0x0
	v_add_nc_u64_e32 v[4:5], v[20:21], v[8:9]
	v_add_nc_u64_e32 v[8:9], v[8:9], v[112:113]
	s_or_b32 s44, s13, s44
	s_wait_loadcnt 0x0
	global_store_b128 v[4:5], v[24:27], off th:TH_STORE_NT
	s_wait_xcnt 0x0
	s_and_not1_b32 exec_lo, exec_lo, s44
	s_cbranch_execnz .LBB6_11878
; %bb.11879:                            ;   in Loop: Header=BB6_11758 Depth=3
	s_or_b32 exec_lo, exec_lo, s44
.LBB6_11880:                            ;   in Loop: Header=BB6_11758 Depth=3
	s_delay_alu instid0(SALU_CYCLE_1) | instskip(SKIP_3) | instid1(VALU_DEP_1)
	s_or_b32 exec_lo, exec_lo, s15
	v_dual_mov_b32 v4, 0 :: v_dual_bitop2_b32 v8, 15, v2 bitop3:0x40
	s_mov_b32 s15, 0
	s_mov_b32 s44, exec_lo
                                        ; implicit-def: $vgpr10
                                        ; implicit-def: $vgpr0
	v_cndmask_b32_e32 v5, v22, v8, vcc_lo
	s_delay_alu instid0(VALU_DEP_1)
	v_cmpx_ne_u32_e32 0, v5
	s_cbranch_execz .LBB6_11882
; %bb.11881:                            ;   in Loop: Header=BB6_11758 Depth=3
	v_cmp_lt_i32_e64 s13, 0, v23
	s_mov_b32 s15, exec_lo
	v_sub_nc_u32_e32 v4, v22, v8
	v_cndmask_b32_e64 v0, 0, v84, s13
	s_delay_alu instid0(VALU_DEP_1) | instskip(NEXT) | instid1(VALU_DEP_1)
	v_dual_cndmask_b32 v4, 0, v4, vcc_lo :: v_dual_sub_nc_u32 v0, v0, v23
	v_add3_u32 v4, v13, v11, v4
	s_delay_alu instid0(VALU_DEP_2) | instskip(NEXT) | instid1(VALU_DEP_1)
	v_lshl_add_u32 v10, v0, 5, v15
	v_ashrrev_i32_e32 v0, 31, v10
	s_delay_alu instid0(VALU_DEP_1) | instskip(NEXT) | instid1(VALU_DEP_1)
	v_lshrrev_b32_e32 v0, 27, v0
	v_add_nc_u32_e32 v0, v10, v0
	s_delay_alu instid0(VALU_DEP_1)
	v_ashrrev_i32_e32 v0, 5, v0
.LBB6_11882:                            ;   in Loop: Header=BB6_11758 Depth=3
	s_or_b32 exec_lo, exec_lo, s44
	s_delay_alu instid0(SALU_CYCLE_1)
	s_and_b32 s15, s15, exec_lo
.LBB6_11883:                            ;   in Loop: Header=BB6_11758 Depth=3
	s_or_b32 exec_lo, exec_lo, s14
	s_and_saveexec_b32 s13, s15
	s_cbranch_execz .LBB6_11892
.LBB6_11884:                            ;   in Loop: Header=BB6_11758 Depth=3
	v_ashrrev_i32_e32 v8, 31, v5
	s_mov_b32 s14, exec_lo
	s_delay_alu instid0(VALU_DEP_1) | instskip(NEXT) | instid1(VALU_DEP_1)
	v_lshrrev_b32_e32 v8, 22, v8
	v_add_nc_u32_e32 v8, v5, v8
	s_delay_alu instid0(VALU_DEP_1) | instskip(NEXT) | instid1(VALU_DEP_1)
	v_ashrrev_i32_e32 v13, 10, v8
	v_sub_nc_u32_e32 v11, v13, v0
	s_delay_alu instid0(VALU_DEP_1)
	v_cmpx_lt_i32_e32 0, v11
	s_cbranch_execz .LBB6_11888
; %bb.11885:                            ;   in Loop: Header=BB6_11758 Depth=3
	v_dual_ashrrev_i32 v8, 31, v10 :: v_dual_lshlrev_b32 v0, 10, v0
	s_mov_b32 s15, 0
	s_delay_alu instid0(VALU_DEP_1) | instskip(NEXT) | instid1(VALU_DEP_1)
	v_lshrrev_b32_e32 v8, 27, v8
	v_add_nc_u32_e32 v8, v10, v8
	s_delay_alu instid0(VALU_DEP_1) | instskip(NEXT) | instid1(VALU_DEP_1)
	v_and_b32_e32 v8, 0xffffffe0, v8
	v_sub_nc_u32_e32 v8, v10, v8
	s_delay_alu instid0(VALU_DEP_1) | instskip(NEXT) | instid1(VALU_DEP_1)
	v_add3_u32 v8, v4, v8, v0
	v_ashrrev_i32_e32 v9, 31, v8
.LBB6_11886:                            ;   Parent Loop BB6_47 Depth=1
                                        ;     Parent Loop BB6_11755 Depth=2
                                        ;       Parent Loop BB6_11758 Depth=3
                                        ; =>      This Inner Loop Header: Depth=4
	s_delay_alu instid0(VALU_DEP_1)
	v_add_nc_u64_e32 v[22:23], v[8:9], v[18:19]
	v_sub_nc_u32_e32 v11, v11, v84
	v_add_nc_u64_e32 v[18:19], v[18:19], v[114:115]
	s_clause 0x1f
	flat_load_u8 v0, v[22:23] th:TH_LOAD_NT
	flat_load_u8 v15, v[22:23] offset:32 th:TH_LOAD_NT
	flat_load_u8 v24, v[22:23] offset:64 th:TH_LOAD_NT
	;; [unrolled: 1-line block ×31, first 2 shown]
	s_wait_xcnt 0x0
	v_add_nc_u64_e32 v[22:23], v[8:9], v[20:21]
	v_add_nc_u64_e32 v[20:21], v[20:21], v[114:115]
	v_cmp_gt_i32_e32 vcc_lo, 1, v11
	s_wait_loadcnt_dscnt 0x1f1f
	flat_store_b8 v[22:23], v0 th:TH_STORE_NT
	s_wait_loadcnt_dscnt 0x1e1f
	flat_store_b8 v[22:23], v15 offset:32 th:TH_STORE_NT
	s_wait_loadcnt_dscnt 0x1d1f
	flat_store_b8 v[22:23], v24 offset:64 th:TH_STORE_NT
	;; [unrolled: 2-line block ×31, first 2 shown]
	s_or_b32 s15, vcc_lo, s15
	s_wait_xcnt 0x0
	s_and_not1_b32 exec_lo, exec_lo, s15
	s_cbranch_execnz .LBB6_11886
; %bb.11887:                            ;   in Loop: Header=BB6_11758 Depth=3
	s_or_b32 exec_lo, exec_lo, s15
.LBB6_11888:                            ;   in Loop: Header=BB6_11758 Depth=3
	s_delay_alu instid0(SALU_CYCLE_1) | instskip(SKIP_1) | instid1(VALU_DEP_1)
	s_or_b32 exec_lo, exec_lo, s14
	v_lshlrev_b32_e32 v0, 10, v13
	v_cmp_ne_u32_e32 vcc_lo, v5, v0
	s_and_b32 exec_lo, exec_lo, vcc_lo
	s_cbranch_execz .LBB6_11892
; %bb.11889:                            ;   in Loop: Header=BB6_11758 Depth=3
	v_dual_ashrrev_i32 v8, 31, v10 :: v_dual_lshlrev_b32 v9, 5, v11
	s_delay_alu instid0(VALU_DEP_1) | instskip(NEXT) | instid1(VALU_DEP_1)
	v_lshrrev_b32_e32 v8, 27, v8
	v_add_nc_u32_e32 v8, v10, v8
	s_delay_alu instid0(VALU_DEP_1) | instskip(NEXT) | instid1(VALU_DEP_1)
	v_and_b32_e32 v8, 0xffffffe0, v8
	v_sub_nc_u32_e32 v8, v10, v8
	s_delay_alu instid0(VALU_DEP_1) | instskip(NEXT) | instid1(VALU_DEP_1)
	v_sub_nc_u32_e32 v8, v8, v9
	v_add_nc_u32_e32 v10, v0, v8
	s_delay_alu instid0(VALU_DEP_1) | instskip(NEXT) | instid1(VALU_DEP_1)
	v_sub_nc_u32_e32 v0, v5, v10
	v_cmp_lt_i32_e32 vcc_lo, 0, v0
	s_and_b32 exec_lo, exec_lo, vcc_lo
	s_cbranch_execz .LBB6_11892
; %bb.11890:                            ;   in Loop: Header=BB6_11758 Depth=3
	s_trap 2
	ds_load_b64 v[8:9], v0
	v_add_nc_u32_e32 v10, v10, v4
	s_mov_b32 s14, 0
	s_delay_alu instid0(VALU_DEP_1)
	v_ashrrev_i32_e32 v11, 31, v10
.LBB6_11891:                            ;   Parent Loop BB6_47 Depth=1
                                        ;     Parent Loop BB6_11755 Depth=2
                                        ;       Parent Loop BB6_11758 Depth=3
                                        ; =>      This Inner Loop Header: Depth=4
	s_wait_dscnt 0x0
	s_delay_alu instid0(VALU_DEP_1) | instskip(SKIP_2) | instid1(VALU_DEP_2)
	v_add_nc_u64_e32 v[4:5], v[8:9], v[10:11]
	v_sub_nc_u32_e32 v0, v0, v86
	v_add_nc_u64_e32 v[10:11], v[10:11], v[86:87]
	v_cmp_gt_i32_e32 vcc_lo, 1, v0
	flat_load_u8 v13, v[4:5] th:TH_LOAD_NT
	s_or_b32 s14, vcc_lo, s14
	s_wait_loadcnt_dscnt 0x0
	flat_store_b8 v[4:5], v13 th:TH_STORE_NT
	s_wait_xcnt 0x0
	s_and_not1_b32 exec_lo, exec_lo, s14
	s_cbranch_execnz .LBB6_11891
.LBB6_11892:                            ;   in Loop: Header=BB6_11758 Depth=3
	s_or_b32 exec_lo, exec_lo, s13
.LBB6_11893:                            ;   in Loop: Header=BB6_11758 Depth=3
	v_cmp_lt_i32_e64 s13, 0, v2
	s_and_saveexec_b32 s14, s2
	s_cbranch_execz .LBB6_11834
.LBB6_11894:                            ;   in Loop: Header=BB6_11758 Depth=3
	s_and_saveexec_b32 s15, s3
	s_delay_alu instid0(SALU_CYCLE_1)
	s_xor_b32 s15, exec_lo, s15
	s_cbranch_execz .LBB6_11909
; %bb.11895:                            ;   in Loop: Header=BB6_11758 Depth=3
	s_and_saveexec_b32 s44, s6
	s_cbranch_execz .LBB6_11908
; %bb.11896:                            ;   in Loop: Header=BB6_11758 Depth=3
	s_mov_b32 s75, exec_lo
	s_mov_b32 s45, exec_lo
	v_mbcnt_lo_u32_b32 v0, s75, 0
	global_wb scope:SCOPE_DEV
	s_wait_storecnt 0x0
	s_wait_loadcnt_dscnt 0x0
	global_inv scope:SCOPE_DEV
	v_cmpx_eq_u32_e32 0, v0
	s_cbranch_execz .LBB6_11898
; %bb.11897:                            ;   in Loop: Header=BB6_11758 Depth=3
	s_bcnt1_i32_b32 s75, s75
	s_delay_alu instid0(SALU_CYCLE_1)
	v_mov_b32_e32 v2, s75
	s_wait_loadcnt 0x0
	ds_add_u64 v0, v[2:3]
	s_trap 2
.LBB6_11898:                            ;   in Loop: Header=BB6_11758 Depth=3
	s_or_b32 exec_lo, exec_lo, s45
	s_trap 2
	ds_load_b64 v[4:5], v0
	s_wait_dscnt 0x0
	v_add_nc_u64_e32 v[80:81], v[80:81], v[84:85]
	s_mov_b32 s45, exec_lo
	s_delay_alu instid0(VALU_DEP_1)
	v_cmpx_lt_u64_e64 v[4:5], v[80:81]
	s_cbranch_execz .LBB6_11907
; %bb.11899:                            ;   in Loop: Header=BB6_11758 Depth=3
	s_mov_b32 s75, 0
	s_mov_b32 s78, 0
                                        ; implicit-def: $sgpr76
                                        ; implicit-def: $sgpr77
	s_branch .LBB6_11901
.LBB6_11900:                            ;   in Loop: Header=BB6_11901 Depth=4
	s_or_b32 exec_lo, exec_lo, s88
	s_delay_alu instid0(SALU_CYCLE_1) | instskip(NEXT) | instid1(SALU_CYCLE_1)
	s_and_b32 s79, exec_lo, s89
	s_or_b32 s75, s79, s75
	s_and_not1_b32 s76, s76, exec_lo
	s_and_b32 s79, s77, exec_lo
	s_delay_alu instid0(SALU_CYCLE_1)
	s_or_b32 s76, s76, s79
	s_and_not1_b32 exec_lo, exec_lo, s75
	s_cbranch_execz .LBB6_11905
.LBB6_11901:                            ;   Parent Loop BB6_47 Depth=1
                                        ;     Parent Loop BB6_11755 Depth=2
                                        ;       Parent Loop BB6_11758 Depth=3
                                        ; =>      This Inner Loop Header: Depth=4
	s_add_co_i32 s78, s78, 1
	s_delay_alu instid0(SALU_CYCLE_1) | instskip(SKIP_1) | instid1(SALU_CYCLE_1)
	s_cmp_lg_u32 s78, 0x2710
	s_cselect_b32 s79, -1, 0
	s_and_b32 vcc_lo, exec_lo, s79
	s_cbranch_vccz .LBB6_11903
; %bb.11902:                            ;   in Loop: Header=BB6_11901 Depth=4
	s_mov_b32 s89, -1
	s_or_b32 s77, s77, exec_lo
	s_and_saveexec_b32 s88, s79
	s_cbranch_execz .LBB6_11900
	s_branch .LBB6_11904
.LBB6_11903:                            ;   in Loop: Header=BB6_11901 Depth=4
	s_trap 2
	ds_load_b64 v[4:5], v0
	s_and_not1_b32 s79, s79, exec_lo
	s_mov_b32 s78, 0
	s_wait_loadcnt_dscnt 0x0
	flat_load_b32 v0, v[4:5] scope:SCOPE_SYS
	s_wait_loadcnt_dscnt 0x0
	global_inv scope:SCOPE_SYS
	v_cmp_eq_u32_e32 vcc_lo, 0, v0
	s_and_b32 s88, vcc_lo, exec_lo
	s_delay_alu instid0(SALU_CYCLE_1)
	s_or_b32 s79, s79, s88
	s_mov_b32 s89, -1
	s_or_b32 s77, s77, exec_lo
	s_and_saveexec_b32 s88, s79
	s_cbranch_execz .LBB6_11900
.LBB6_11904:                            ;   in Loop: Header=BB6_11901 Depth=4
	s_sleep 1
	s_trap 2
	ds_load_b64 v[4:5], v0
	s_wait_dscnt 0x0
	s_and_not1_b32 s77, s77, exec_lo
	v_cmp_ge_u64_e32 vcc_lo, v[4:5], v[80:81]
	s_or_not1_b32 s89, vcc_lo, exec_lo
	s_branch .LBB6_11900
.LBB6_11905:                            ;   in Loop: Header=BB6_11758 Depth=3
	s_or_b32 exec_lo, exec_lo, s75
	s_and_saveexec_b32 s75, s76
	s_delay_alu instid0(SALU_CYCLE_1)
	s_xor_b32 s75, exec_lo, s75
	s_cbranch_execz .LBB6_11907
; %bb.11906:                            ;   in Loop: Header=BB6_11758 Depth=3
	ds_store_b32 v0, v43
	s_trap 2
.LBB6_11907:                            ;   in Loop: Header=BB6_11758 Depth=3
	s_or_b32 exec_lo, exec_lo, s45
	;;#ASMSTART
	s_wakeup
	;;#ASMEND
.LBB6_11908:                            ;   in Loop: Header=BB6_11758 Depth=3
	s_or_b32 exec_lo, exec_lo, s44
.LBB6_11909:                            ;   in Loop: Header=BB6_11758 Depth=3
	s_and_not1_saveexec_b32 s15, s15
	s_cbranch_execz .LBB6_11911
; %bb.11910:                            ;   in Loop: Header=BB6_11758 Depth=3
	global_wb scope:SCOPE_DEV
	s_wait_storecnt 0x0
	s_wait_loadcnt_dscnt 0x0
	global_inv scope:SCOPE_DEV
	s_barrier_signal -1
	s_barrier_wait -1
.LBB6_11911:                            ;   in Loop: Header=BB6_11758 Depth=3
	s_or_b32 exec_lo, exec_lo, s15
	s_delay_alu instid0(SALU_CYCLE_1) | instskip(SKIP_1) | instid1(SALU_CYCLE_1)
	s_or_b32 exec_lo, exec_lo, s14
                                        ; implicit-def: $vgpr0
	s_and_saveexec_b32 s14, s10
	s_xor_b32 s14, exec_lo, s14
	s_cbranch_execnz .LBB6_11835
.LBB6_11912:                            ;   in Loop: Header=BB6_11758 Depth=3
	s_and_not1_saveexec_b32 s13, s14
	s_cbranch_execz .LBB6_11931
.LBB6_11913:                            ;   in Loop: Header=BB6_11758 Depth=3
	s_and_saveexec_b32 s14, s3
	s_delay_alu instid0(SALU_CYCLE_1)
	s_xor_b32 s14, exec_lo, s14
	s_cbranch_execz .LBB6_11928
; %bb.11914:                            ;   in Loop: Header=BB6_11758 Depth=3
	s_and_saveexec_b32 s15, s6
	s_cbranch_execz .LBB6_11927
; %bb.11915:                            ;   in Loop: Header=BB6_11758 Depth=3
	s_mov_b32 s45, exec_lo
	s_mov_b32 s44, exec_lo
	v_mbcnt_lo_u32_b32 v0, s45, 0
	;;#ASMSTART
	s_waitcnt lgkmcnt(0) vmcnt(0)
	;;#ASMEND
	s_delay_alu instid0(VALU_DEP_1)
	v_cmpx_eq_u32_e32 0, v0
	s_cbranch_execz .LBB6_11917
; %bb.11916:                            ;   in Loop: Header=BB6_11758 Depth=3
	s_bcnt1_i32_b32 s45, s45
	s_delay_alu instid0(SALU_CYCLE_1)
	v_mov_b32_e32 v2, s45
	s_wait_storecnt 0x0
	s_wait_loadcnt_dscnt 0x0
	ds_add_u64 v0, v[2:3]
	s_trap 2
.LBB6_11917:                            ;   in Loop: Header=BB6_11758 Depth=3
	s_or_b32 exec_lo, exec_lo, s44
	s_trap 2
	ds_load_b64 v[4:5], v0
	s_wait_dscnt 0x0
	v_add_nc_u64_e32 v[80:81], v[80:81], v[84:85]
	s_mov_b32 s44, exec_lo
	s_delay_alu instid0(VALU_DEP_1)
	v_cmpx_lt_u64_e64 v[4:5], v[80:81]
	s_cbranch_execz .LBB6_11926
; %bb.11918:                            ;   in Loop: Header=BB6_11758 Depth=3
	s_mov_b32 s45, 0
	s_mov_b32 s77, 0
                                        ; implicit-def: $sgpr75
                                        ; implicit-def: $sgpr76
	s_branch .LBB6_11920
.LBB6_11919:                            ;   in Loop: Header=BB6_11920 Depth=4
	s_or_b32 exec_lo, exec_lo, s79
	s_delay_alu instid0(SALU_CYCLE_1) | instskip(NEXT) | instid1(SALU_CYCLE_1)
	s_and_b32 s78, exec_lo, s88
	s_or_b32 s45, s78, s45
	s_and_not1_b32 s75, s75, exec_lo
	s_and_b32 s78, s76, exec_lo
	s_delay_alu instid0(SALU_CYCLE_1)
	s_or_b32 s75, s75, s78
	s_and_not1_b32 exec_lo, exec_lo, s45
	s_cbranch_execz .LBB6_11924
.LBB6_11920:                            ;   Parent Loop BB6_47 Depth=1
                                        ;     Parent Loop BB6_11755 Depth=2
                                        ;       Parent Loop BB6_11758 Depth=3
                                        ; =>      This Inner Loop Header: Depth=4
	s_add_co_i32 s77, s77, 1
	s_delay_alu instid0(SALU_CYCLE_1) | instskip(SKIP_1) | instid1(SALU_CYCLE_1)
	s_cmp_lg_u32 s77, 0x2710
	s_cselect_b32 s78, -1, 0
	s_and_b32 vcc_lo, exec_lo, s78
	s_cbranch_vccz .LBB6_11922
; %bb.11921:                            ;   in Loop: Header=BB6_11920 Depth=4
	s_mov_b32 s88, -1
	s_or_b32 s76, s76, exec_lo
	s_and_saveexec_b32 s79, s78
	s_cbranch_execz .LBB6_11919
	s_branch .LBB6_11923
.LBB6_11922:                            ;   in Loop: Header=BB6_11920 Depth=4
	s_trap 2
	ds_load_b64 v[4:5], v0
	s_and_not1_b32 s78, s78, exec_lo
	s_mov_b32 s77, 0
	s_wait_storecnt 0x0
	s_wait_loadcnt_dscnt 0x0
	flat_load_b32 v0, v[4:5] scope:SCOPE_SYS
	s_wait_loadcnt_dscnt 0x0
	global_inv scope:SCOPE_SYS
	v_cmp_eq_u32_e32 vcc_lo, 0, v0
	s_and_b32 s79, vcc_lo, exec_lo
	s_delay_alu instid0(SALU_CYCLE_1)
	s_or_b32 s78, s78, s79
	s_mov_b32 s88, -1
	s_or_b32 s76, s76, exec_lo
	s_and_saveexec_b32 s79, s78
	s_cbranch_execz .LBB6_11919
.LBB6_11923:                            ;   in Loop: Header=BB6_11920 Depth=4
	s_sleep 1
	s_trap 2
	ds_load_b64 v[4:5], v0
	s_wait_dscnt 0x0
	s_and_not1_b32 s76, s76, exec_lo
	v_cmp_ge_u64_e32 vcc_lo, v[4:5], v[80:81]
	s_or_not1_b32 s88, vcc_lo, exec_lo
	s_branch .LBB6_11919
.LBB6_11924:                            ;   in Loop: Header=BB6_11758 Depth=3
	s_or_b32 exec_lo, exec_lo, s45
	s_and_saveexec_b32 s45, s75
	s_delay_alu instid0(SALU_CYCLE_1)
	s_xor_b32 s45, exec_lo, s45
	s_cbranch_execz .LBB6_11926
; %bb.11925:                            ;   in Loop: Header=BB6_11758 Depth=3
	ds_store_b32 v0, v43
	s_trap 2
.LBB6_11926:                            ;   in Loop: Header=BB6_11758 Depth=3
	s_or_b32 exec_lo, exec_lo, s44
	;;#ASMSTART
	s_wakeup
	;;#ASMEND
.LBB6_11927:                            ;   in Loop: Header=BB6_11758 Depth=3
	s_or_b32 exec_lo, exec_lo, s15
.LBB6_11928:                            ;   in Loop: Header=BB6_11758 Depth=3
	s_and_not1_saveexec_b32 s14, s14
	s_cbranch_execz .LBB6_11930
; %bb.11929:                            ;   in Loop: Header=BB6_11758 Depth=3
	;;#ASMSTART
	s_waitcnt lgkmcnt(0) vmcnt(0)
	;;#ASMEND
	s_barrier_signal -1
	s_barrier_wait -1
.LBB6_11930:                            ;   in Loop: Header=BB6_11758 Depth=3
	s_or_b32 exec_lo, exec_lo, s14
	v_and_b32_e32 v0, 16, v30
.LBB6_11931:                            ;   in Loop: Header=BB6_11758 Depth=3
	s_or_b32 exec_lo, exec_lo, s13
	s_delay_alu instid0(VALU_DEP_1) | instskip(SKIP_1) | instid1(SALU_CYCLE_1)
	v_cmp_ne_u32_e32 vcc_lo, 0, v0
	s_xor_b32 s13, s4, -1
	s_and_b32 s14, vcc_lo, s13
	s_delay_alu instid0(SALU_CYCLE_1)
	s_and_saveexec_b32 s13, s14
	s_cbranch_execz .LBB6_11933
; %bb.11932:                            ;   in Loop: Header=BB6_11758 Depth=3
	global_wb scope:SCOPE_SYS
	s_wait_storecnt 0x0
	s_wait_loadcnt_dscnt 0x0
	flat_store_b32 v[70:71], v43 scope:SCOPE_SYS
.LBB6_11933:                            ;   in Loop: Header=BB6_11758 Depth=3
	s_wait_xcnt 0x0
	s_or_b32 exec_lo, exec_lo, s13
	v_and_b32_e32 v0, 48, v30
	s_mov_b32 s13, exec_lo
	s_delay_alu instid0(VALU_DEP_1)
	v_cmpx_ne_u32_e32 0, v0
	s_cbranch_execz .LBB6_11757
; %bb.11934:                            ;   in Loop: Header=BB6_11758 Depth=3
	v_add_nc_u64_e32 v[60:61], 2, v[60:61]
	global_wb scope:SCOPE_SYS
	s_wait_storecnt 0x0
	s_wait_loadcnt_dscnt 0x0
	flat_store_b64 v[64:65], v[60:61] scope:SCOPE_SYS
	s_branch .LBB6_11757
.LBB6_11935:                            ;   in Loop: Header=BB6_11755 Depth=2
	s_or_b32 exec_lo, exec_lo, s72
.LBB6_11936:                            ;   in Loop: Header=BB6_11755 Depth=2
	s_delay_alu instid0(SALU_CYCLE_1) | instskip(NEXT) | instid1(SALU_CYCLE_1)
	s_or_b32 exec_lo, exec_lo, s41
	s_mov_b32 s14, exec_lo
	v_cmpx_gt_i32_e32 2, v0
	s_cbranch_execz .LBB6_12012
; %bb.11937:                            ;   in Loop: Header=BB6_11755 Depth=2
	v_cmp_eq_u32_e64 s41, 0, v0
	s_mov_b32 s15, 0
	s_branch .LBB6_11939
.LBB6_11938:                            ;   in Loop: Header=BB6_11939 Depth=3
	s_wait_xcnt 0x0
	s_or_b32 exec_lo, exec_lo, s13
	v_add_nc_u32_e32 v14, v12, v14
	s_mov_b32 s41, 0
	s_and_not1_b32 exec_lo, exec_lo, s15
	s_cbranch_execz .LBB6_12011
.LBB6_11939:                            ;   Parent Loop BB6_47 Depth=1
                                        ;     Parent Loop BB6_11755 Depth=2
                                        ; =>    This Loop Header: Depth=3
                                        ;         Child Loop BB6_11945 Depth 4
                                        ;         Child Loop BB6_11973 Depth 4
	;; [unrolled: 1-line block ×3, first 2 shown]
	s_delay_alu instid0(VALU_DEP_1) | instskip(SKIP_2) | instid1(VALU_DEP_2)
	v_sub_nc_u32_e32 v0, v1, v14
	v_and_b32_e32 v2, 12, v30
	s_mov_b32 s44, exec_lo
	v_min_i32_e32 v12, v12, v0
	s_delay_alu instid0(VALU_DEP_2)
	v_cmpx_ne_u32_e32 0, v2
	s_cbranch_execz .LBB6_11965
; %bb.11940:                            ;   in Loop: Header=BB6_11939 Depth=3
	v_and_b32_e32 v2, 8, v30
	v_add_nc_u64_e32 v[8:9], 2, v[60:61]
	s_mov_b32 s45, exec_lo
	s_wait_loadcnt_dscnt 0x1
	s_delay_alu instid0(VALU_DEP_2) | instskip(NEXT) | instid1(VALU_DEP_1)
	v_add_nc_u64_e32 v[4:5], v[82:83], v[2:3]
	v_cmpx_lt_u64_e64 v[4:5], v[8:9]
	s_cbranch_execz .LBB6_11952
; %bb.11941:                            ;   in Loop: Header=BB6_11939 Depth=3
	v_and_b32_e32 v0, 64, v30
	s_mov_b32 s72, 0
	s_mov_b32 s76, 0
                                        ; implicit-def: $sgpr73
                                        ; implicit-def: $sgpr74
                                        ; implicit-def: $sgpr75
	s_delay_alu instid0(VALU_DEP_1)
	v_cmp_eq_u32_e32 vcc_lo, 0, v0
	s_branch .LBB6_11945
.LBB6_11942:                            ;   in Loop: Header=BB6_11945 Depth=4
	s_wait_loadcnt_dscnt 0x0
	v_add_nc_u64_e32 v[10:11], v[82:83], v[2:3]
	s_or_b32 s79, s79, exec_lo
	s_delay_alu instid0(VALU_DEP_1)
	v_cmp_ge_u64_e64 s13, v[10:11], v[8:9]
	s_or_not1_b32 s78, s13, exec_lo
.LBB6_11943:                            ;   in Loop: Header=BB6_11945 Depth=4
	s_or_b32 exec_lo, exec_lo, s89
	s_delay_alu instid0(SALU_CYCLE_1)
	s_and_not1_b32 s13, s75, exec_lo
	s_and_b32 s75, s79, exec_lo
	s_and_not1_b32 s74, s74, exec_lo
	s_and_b32 s78, s78, exec_lo
	s_or_b32 s75, s13, s75
	s_or_b32 s74, s74, s78
.LBB6_11944:                            ;   in Loop: Header=BB6_11945 Depth=4
	s_or_b32 exec_lo, exec_lo, s77
	s_delay_alu instid0(SALU_CYCLE_1) | instskip(NEXT) | instid1(SALU_CYCLE_1)
	s_and_b32 s13, exec_lo, s74
	s_or_b32 s72, s13, s72
	s_and_not1_b32 s13, s73, exec_lo
	s_and_b32 s73, s75, exec_lo
	s_delay_alu instid0(SALU_CYCLE_1)
	s_or_b32 s73, s13, s73
	s_and_not1_b32 exec_lo, exec_lo, s72
	s_cbranch_execz .LBB6_11949
.LBB6_11945:                            ;   Parent Loop BB6_47 Depth=1
                                        ;     Parent Loop BB6_11755 Depth=2
                                        ;       Parent Loop BB6_11939 Depth=3
                                        ; =>      This Inner Loop Header: Depth=4
	s_sleep 1
	s_wait_loadcnt_dscnt 0x0
	flat_load_b64 v[82:83], v[64:65] scope:SCOPE_SYS
	s_or_b32 s75, s75, exec_lo
	s_or_b32 s74, s74, exec_lo
                                        ; implicit-def: $vgpr4
	s_wait_xcnt 0x0
	s_and_saveexec_b32 s77, vcc_lo
	s_cbranch_execz .LBB6_11944
; %bb.11946:                            ;   in Loop: Header=BB6_11945 Depth=4
	s_cmp_lt_i32 s76, 0x270f
	s_mov_b32 s78, -1
	s_cselect_b32 s88, -1, 0
	s_cmp_gt_i32 s76, 0x270e
	s_cbranch_scc0 .LBB6_11948
; %bb.11947:                            ;   in Loop: Header=BB6_11945 Depth=4
	s_trap 2
	ds_load_b64 v[4:5], v0
	s_and_not1_b32 s76, s88, exec_lo
	s_mov_b32 s79, 0
	s_wait_storecnt 0x0
	s_wait_loadcnt_dscnt 0x0
	flat_load_b32 v4, v[4:5] scope:SCOPE_SYS
	s_wait_loadcnt_dscnt 0x0
	global_inv scope:SCOPE_SYS
	v_cmp_eq_u32_e64 s13, 0, v4
	s_and_b32 s13, s13, exec_lo
	s_delay_alu instid0(SALU_CYCLE_1)
	s_or_b32 s88, s76, s13
	s_mov_b32 s76, 0
	s_and_saveexec_b32 s89, s88
	s_cbranch_execz .LBB6_11943
	s_branch .LBB6_11942
.LBB6_11948:                            ;   in Loop: Header=BB6_11945 Depth=4
	s_add_co_i32 s76, s76, 1
	s_mov_b32 s79, -1
                                        ; implicit-def: $vgpr4
	s_and_saveexec_b32 s89, s88
	s_cbranch_execz .LBB6_11943
	s_branch .LBB6_11942
.LBB6_11949:                            ;   in Loop: Header=BB6_11939 Depth=3
	s_or_b32 exec_lo, exec_lo, s72
	s_xor_b32 s13, s73, -1
	s_delay_alu instid0(SALU_CYCLE_1) | instskip(NEXT) | instid1(SALU_CYCLE_1)
	s_and_saveexec_b32 s72, s13
	s_xor_b32 s13, exec_lo, s72
	s_cbranch_execz .LBB6_11951
; %bb.11950:                            ;   in Loop: Header=BB6_11939 Depth=3
	v_or_b32_e32 v30, 64, v30
	s_wait_storecnt 0x0
	s_wait_loadcnt_dscnt 0x0
	ds_store_b32 v0, v4
	s_trap 2
.LBB6_11951:                            ;   in Loop: Header=BB6_11939 Depth=3
	s_or_b32 exec_lo, exec_lo, s13
.LBB6_11952:                            ;   in Loop: Header=BB6_11939 Depth=3
	s_delay_alu instid0(SALU_CYCLE_1) | instskip(SKIP_3) | instid1(VALU_DEP_1)
	s_or_b32 exec_lo, exec_lo, s45
	v_and_b32_e32 v0, 0x108, v30
	s_mov_b32 s13, exec_lo
	;;#ASMSTART
	s_wakeup
	;;#ASMEND
                                        ; implicit-def: $vgpr10_vgpr11
	v_cmpx_ne_u32_e32 0x108, v0
	s_xor_b32 s13, exec_lo, s13
; %bb.11953:                            ;   in Loop: Header=BB6_11939 Depth=3
	v_dual_mov_b32 v11, v3 :: v_dual_bitop2_b32 v10, 7, v60 bitop3:0x40
                                        ; implicit-def: $vgpr60_vgpr61
; %bb.11954:                            ;   in Loop: Header=BB6_11939 Depth=3
	s_and_not1_saveexec_b32 s13, s13
	s_cbranch_execz .LBB6_11956
; %bb.11955:                            ;   in Loop: Header=BB6_11939 Depth=3
	v_dual_mov_b32 v11, v3 :: v_dual_bitop2_b32 v10, 7, v60 bitop3:0x40
	v_ashrrev_i32_e32 v13, 31, v12
	s_delay_alu instid0(VALU_DEP_2)
	v_mad_nc_u64_u32 v[4:5], v10, 24, v[6:7]
	flat_store_b64 v[4:5], v[12:13] offset:8
.LBB6_11956:                            ;   in Loop: Header=BB6_11939 Depth=3
	s_wait_xcnt 0x0
	s_or_b32 exec_lo, exec_lo, s13
	v_and_b32_e32 v0, 0x100, v30
	s_mov_b32 s13, -1
	s_mov_b32 s45, exec_lo
                                        ; implicit-def: $vgpr16_vgpr17
	s_delay_alu instid0(VALU_DEP_1)
	v_cmpx_ne_u32_e32 0, v0
	s_cbranch_execz .LBB6_11960
; %bb.11957:                            ;   in Loop: Header=BB6_11939 Depth=3
	v_mad_nc_u64_u32 v[18:19], v10, 24, v[6:7]
	s_mov_b32 s72, exec_lo
                                        ; implicit-def: $vgpr16_vgpr17
	s_delay_alu instid0(VALU_DEP_1)
	v_mad_u32 v19, v11, 24, v19
	flat_load_b32 v0, v[18:19]
	s_wait_loadcnt_dscnt 0x0
	v_cmp_ne_u32_e32 vcc_lo, 1, v0
	s_wait_xcnt 0x0
	v_cmpx_eq_u32_e32 1, v0
	s_cbranch_execz .LBB6_11959
; %bb.11958:                            ;   in Loop: Header=BB6_11939 Depth=3
	flat_load_b32 v16, v[18:19] offset:4 scope:SCOPE_SYS
	s_wait_loadcnt_dscnt 0x0
	v_ashrrev_i32_e32 v17, 31, v16
.LBB6_11959:                            ;   in Loop: Header=BB6_11939 Depth=3
	s_wait_xcnt 0x0
	s_or_b32 exec_lo, exec_lo, s72
	s_delay_alu instid0(SALU_CYCLE_1)
	s_or_not1_b32 s13, vcc_lo, exec_lo
.LBB6_11960:                            ;   in Loop: Header=BB6_11939 Depth=3
	s_or_b32 exec_lo, exec_lo, s45
	s_and_saveexec_b32 s45, s13
; %bb.11961:                            ;   in Loop: Header=BB6_11939 Depth=3
	v_mul_u64_e32 v[16:17], v[10:11], v[62:63]
; %bb.11962:                            ;   in Loop: Header=BB6_11939 Depth=3
	s_or_b32 exec_lo, exec_lo, s45
	v_cmp_eq_u32_e32 vcc_lo, 0, v2
	s_delay_alu instid0(VALU_DEP_2) | instskip(SKIP_3) | instid1(VALU_DEP_1)
	v_add_nc_u64_e32 v[4:5], v[68:69], v[16:17]
	v_and_b32_e32 v2, 0x2000, v30
	s_mov_b32 s13, exec_lo
	v_cndmask_b32_e32 v0, 0xd0, v72, vcc_lo
	v_add_nc_u32_e32 v0, v0, v0
	ds_store_b64 v0, v[4:5] offset:584
	v_cmpx_ne_u32_e32 0, v2
	s_cbranch_execz .LBB6_11964
; %bb.11963:                            ;   in Loop: Header=BB6_11939 Depth=3
	ds_load_b64 v[4:5], v0 offset:872
	s_wait_dscnt 0x0
	v_add_nc_u64_e32 v[4:5], 1, v[4:5]
	ds_store_b64 v0, v[4:5] offset:872
.LBB6_11964:                            ;   in Loop: Header=BB6_11939 Depth=3
	s_or_b32 exec_lo, exec_lo, s13
	v_mov_b64_e32 v[60:61], v[8:9]
.LBB6_11965:                            ;   in Loop: Header=BB6_11939 Depth=3
	s_or_b32 exec_lo, exec_lo, s44
	s_xor_b32 s13, s41, -1
	s_delay_alu instid0(SALU_CYCLE_1) | instskip(NEXT) | instid1(SALU_CYCLE_1)
	s_and_b32 s13, exec_lo, s13
	s_or_b32 s15, s13, s15
	s_and_saveexec_b32 s13, s2
	s_cbranch_execz .LBB6_11984
; %bb.11966:                            ;   in Loop: Header=BB6_11939 Depth=3
	s_and_saveexec_b32 s41, s3
	s_delay_alu instid0(SALU_CYCLE_1)
	s_xor_b32 s41, exec_lo, s41
	s_cbranch_execz .LBB6_11981
; %bb.11967:                            ;   in Loop: Header=BB6_11939 Depth=3
	s_and_saveexec_b32 s44, s6
	s_cbranch_execz .LBB6_11980
; %bb.11968:                            ;   in Loop: Header=BB6_11939 Depth=3
	s_mov_b32 s72, exec_lo
	s_mov_b32 s45, exec_lo
	v_mbcnt_lo_u32_b32 v0, s72, 0
	global_wb scope:SCOPE_DEV
	s_wait_storecnt 0x0
	s_wait_loadcnt_dscnt 0x0
	global_inv scope:SCOPE_DEV
	v_cmpx_eq_u32_e32 0, v0
	s_cbranch_execz .LBB6_11970
; %bb.11969:                            ;   in Loop: Header=BB6_11939 Depth=3
	s_bcnt1_i32_b32 s72, s72
	s_delay_alu instid0(SALU_CYCLE_1)
	v_mov_b32_e32 v2, s72
	s_wait_loadcnt 0x0
	ds_add_u64 v0, v[2:3]
	s_trap 2
.LBB6_11970:                            ;   in Loop: Header=BB6_11939 Depth=3
	s_or_b32 exec_lo, exec_lo, s45
	s_trap 2
	ds_load_b64 v[4:5], v0
	s_wait_dscnt 0x0
	v_add_nc_u64_e32 v[80:81], v[80:81], v[84:85]
	s_mov_b32 s45, exec_lo
	s_delay_alu instid0(VALU_DEP_1)
	v_cmpx_lt_u64_e64 v[4:5], v[80:81]
	s_cbranch_execz .LBB6_11979
; %bb.11971:                            ;   in Loop: Header=BB6_11939 Depth=3
	s_mov_b32 s72, 0
	s_mov_b32 s75, 0
                                        ; implicit-def: $sgpr73
                                        ; implicit-def: $sgpr74
	s_branch .LBB6_11973
.LBB6_11972:                            ;   in Loop: Header=BB6_11973 Depth=4
	s_or_b32 exec_lo, exec_lo, s77
	s_delay_alu instid0(SALU_CYCLE_1) | instskip(NEXT) | instid1(SALU_CYCLE_1)
	s_and_b32 s76, exec_lo, s78
	s_or_b32 s72, s76, s72
	s_and_not1_b32 s73, s73, exec_lo
	s_and_b32 s76, s74, exec_lo
	s_delay_alu instid0(SALU_CYCLE_1)
	s_or_b32 s73, s73, s76
	s_and_not1_b32 exec_lo, exec_lo, s72
	s_cbranch_execz .LBB6_11977
.LBB6_11973:                            ;   Parent Loop BB6_47 Depth=1
                                        ;     Parent Loop BB6_11755 Depth=2
                                        ;       Parent Loop BB6_11939 Depth=3
                                        ; =>      This Inner Loop Header: Depth=4
	s_add_co_i32 s75, s75, 1
	s_delay_alu instid0(SALU_CYCLE_1) | instskip(SKIP_1) | instid1(SALU_CYCLE_1)
	s_cmp_lg_u32 s75, 0x2710
	s_cselect_b32 s76, -1, 0
	s_and_b32 vcc_lo, exec_lo, s76
	s_cbranch_vccz .LBB6_11975
; %bb.11974:                            ;   in Loop: Header=BB6_11973 Depth=4
	s_mov_b32 s78, -1
	s_or_b32 s74, s74, exec_lo
	s_and_saveexec_b32 s77, s76
	s_cbranch_execz .LBB6_11972
	s_branch .LBB6_11976
.LBB6_11975:                            ;   in Loop: Header=BB6_11973 Depth=4
	s_trap 2
	ds_load_b64 v[4:5], v0
	s_and_not1_b32 s76, s76, exec_lo
	s_mov_b32 s75, 0
	s_wait_loadcnt_dscnt 0x0
	flat_load_b32 v0, v[4:5] scope:SCOPE_SYS
	s_wait_loadcnt_dscnt 0x0
	global_inv scope:SCOPE_SYS
	v_cmp_eq_u32_e32 vcc_lo, 0, v0
	s_and_b32 s77, vcc_lo, exec_lo
	s_delay_alu instid0(SALU_CYCLE_1)
	s_or_b32 s76, s76, s77
	s_mov_b32 s78, -1
	s_or_b32 s74, s74, exec_lo
	s_and_saveexec_b32 s77, s76
	s_cbranch_execz .LBB6_11972
.LBB6_11976:                            ;   in Loop: Header=BB6_11973 Depth=4
	s_sleep 1
	s_trap 2
	ds_load_b64 v[4:5], v0
	s_wait_dscnt 0x0
	s_and_not1_b32 s74, s74, exec_lo
	v_cmp_ge_u64_e32 vcc_lo, v[4:5], v[80:81]
	s_or_not1_b32 s78, vcc_lo, exec_lo
	s_branch .LBB6_11972
.LBB6_11977:                            ;   in Loop: Header=BB6_11939 Depth=3
	s_or_b32 exec_lo, exec_lo, s72
	s_and_saveexec_b32 s72, s73
	s_delay_alu instid0(SALU_CYCLE_1)
	s_xor_b32 s72, exec_lo, s72
	s_cbranch_execz .LBB6_11979
; %bb.11978:                            ;   in Loop: Header=BB6_11939 Depth=3
	ds_store_b32 v0, v43
	s_trap 2
.LBB6_11979:                            ;   in Loop: Header=BB6_11939 Depth=3
	s_or_b32 exec_lo, exec_lo, s45
	;;#ASMSTART
	s_wakeup
	;;#ASMEND
.LBB6_11980:                            ;   in Loop: Header=BB6_11939 Depth=3
	s_or_b32 exec_lo, exec_lo, s44
.LBB6_11981:                            ;   in Loop: Header=BB6_11939 Depth=3
	s_and_not1_saveexec_b32 s41, s41
	s_cbranch_execz .LBB6_11983
; %bb.11982:                            ;   in Loop: Header=BB6_11939 Depth=3
	global_wb scope:SCOPE_DEV
	s_wait_storecnt 0x0
	s_wait_loadcnt_dscnt 0x0
	global_inv scope:SCOPE_DEV
	s_barrier_signal -1
	s_barrier_wait -1
.LBB6_11983:                            ;   in Loop: Header=BB6_11939 Depth=3
	s_or_b32 exec_lo, exec_lo, s41
.LBB6_11984:                            ;   in Loop: Header=BB6_11939 Depth=3
	s_delay_alu instid0(SALU_CYCLE_1) | instskip(SKIP_1) | instid1(SALU_CYCLE_1)
	s_or_b32 exec_lo, exec_lo, s13
                                        ; implicit-def: $vgpr0
	s_and_saveexec_b32 s13, s10
	s_xor_b32 s41, exec_lo, s13
	s_cbranch_execz .LBB6_11988
; %bb.11985:                            ;   in Loop: Header=BB6_11939 Depth=3
	s_trap 2
	ds_load_b32 v0, v0
	v_cmp_lt_i32_e32 vcc_lo, 0, v12
	s_wait_dscnt 0x0
	v_readfirstlane_b32 s13, v0
	v_and_b32_e32 v0, 16, v30
	s_cmp_eq_u32 s13, 0
	s_delay_alu instid0(VALU_DEP_1) | instskip(SKIP_3) | instid1(SALU_CYCLE_1)
	v_cmp_ne_u32_e64 s13, 0, v0
	s_cselect_b32 s44, -1, 0
	v_and_b32_e32 v0, 16, v30
	s_and_b32 s44, vcc_lo, s44
	s_and_b32 s44, s13, s44
	s_delay_alu instid0(SALU_CYCLE_1)
	s_and_saveexec_b32 s13, s44
	s_cbranch_execz .LBB6_11987
; %bb.11986:                            ;   in Loop: Header=BB6_11939 Depth=3
	v_mov_b32_e32 v0, 1
	global_wb scope:SCOPE_SYS
	s_wait_loadcnt 0x0
	s_wait_storecnt 0x0
	global_inv scope:SCOPE_SYS
.LBB6_11987:                            ;   in Loop: Header=BB6_11939 Depth=3
	s_or_b32 exec_lo, exec_lo, s13
	s_and_not1_saveexec_b32 s13, s41
	s_cbranch_execz .LBB6_12007
	s_branch .LBB6_11989
.LBB6_11988:                            ;   in Loop: Header=BB6_11939 Depth=3
	s_and_not1_saveexec_b32 s13, s41
	s_cbranch_execz .LBB6_12007
.LBB6_11989:                            ;   in Loop: Header=BB6_11939 Depth=3
	s_and_saveexec_b32 s41, s3
	s_delay_alu instid0(SALU_CYCLE_1)
	s_xor_b32 s41, exec_lo, s41
	s_cbranch_execz .LBB6_12004
; %bb.11990:                            ;   in Loop: Header=BB6_11939 Depth=3
	s_and_saveexec_b32 s44, s6
	s_cbranch_execz .LBB6_12003
; %bb.11991:                            ;   in Loop: Header=BB6_11939 Depth=3
	s_mov_b32 s72, exec_lo
	s_mov_b32 s45, exec_lo
	v_mbcnt_lo_u32_b32 v0, s72, 0
	;;#ASMSTART
	s_waitcnt lgkmcnt(0) vmcnt(0)
	;;#ASMEND
	s_delay_alu instid0(VALU_DEP_1)
	v_cmpx_eq_u32_e32 0, v0
	s_cbranch_execz .LBB6_11993
; %bb.11992:                            ;   in Loop: Header=BB6_11939 Depth=3
	s_bcnt1_i32_b32 s72, s72
	s_delay_alu instid0(SALU_CYCLE_1)
	v_mov_b32_e32 v2, s72
	s_wait_storecnt 0x0
	s_wait_loadcnt_dscnt 0x0
	ds_add_u64 v0, v[2:3]
	s_trap 2
.LBB6_11993:                            ;   in Loop: Header=BB6_11939 Depth=3
	s_or_b32 exec_lo, exec_lo, s45
	s_trap 2
	ds_load_b64 v[4:5], v0
	s_wait_dscnt 0x0
	v_add_nc_u64_e32 v[80:81], v[80:81], v[84:85]
	s_mov_b32 s45, exec_lo
	s_delay_alu instid0(VALU_DEP_1)
	v_cmpx_lt_u64_e64 v[4:5], v[80:81]
	s_cbranch_execz .LBB6_12002
; %bb.11994:                            ;   in Loop: Header=BB6_11939 Depth=3
	s_mov_b32 s72, 0
	s_mov_b32 s75, 0
                                        ; implicit-def: $sgpr73
                                        ; implicit-def: $sgpr74
	s_branch .LBB6_11996
.LBB6_11995:                            ;   in Loop: Header=BB6_11996 Depth=4
	s_or_b32 exec_lo, exec_lo, s77
	s_delay_alu instid0(SALU_CYCLE_1) | instskip(NEXT) | instid1(SALU_CYCLE_1)
	s_and_b32 s76, exec_lo, s78
	s_or_b32 s72, s76, s72
	s_and_not1_b32 s73, s73, exec_lo
	s_and_b32 s76, s74, exec_lo
	s_delay_alu instid0(SALU_CYCLE_1)
	s_or_b32 s73, s73, s76
	s_and_not1_b32 exec_lo, exec_lo, s72
	s_cbranch_execz .LBB6_12000
.LBB6_11996:                            ;   Parent Loop BB6_47 Depth=1
                                        ;     Parent Loop BB6_11755 Depth=2
                                        ;       Parent Loop BB6_11939 Depth=3
                                        ; =>      This Inner Loop Header: Depth=4
	s_add_co_i32 s75, s75, 1
	s_delay_alu instid0(SALU_CYCLE_1) | instskip(SKIP_1) | instid1(SALU_CYCLE_1)
	s_cmp_lg_u32 s75, 0x2710
	s_cselect_b32 s76, -1, 0
	s_and_b32 vcc_lo, exec_lo, s76
	s_cbranch_vccz .LBB6_11998
; %bb.11997:                            ;   in Loop: Header=BB6_11996 Depth=4
	s_mov_b32 s78, -1
	s_or_b32 s74, s74, exec_lo
	s_and_saveexec_b32 s77, s76
	s_cbranch_execz .LBB6_11995
	s_branch .LBB6_11999
.LBB6_11998:                            ;   in Loop: Header=BB6_11996 Depth=4
	s_trap 2
	ds_load_b64 v[4:5], v0
	s_and_not1_b32 s76, s76, exec_lo
	s_mov_b32 s75, 0
	s_wait_storecnt 0x0
	s_wait_loadcnt_dscnt 0x0
	flat_load_b32 v0, v[4:5] scope:SCOPE_SYS
	s_wait_loadcnt_dscnt 0x0
	global_inv scope:SCOPE_SYS
	v_cmp_eq_u32_e32 vcc_lo, 0, v0
	s_and_b32 s77, vcc_lo, exec_lo
	s_delay_alu instid0(SALU_CYCLE_1)
	s_or_b32 s76, s76, s77
	s_mov_b32 s78, -1
	s_or_b32 s74, s74, exec_lo
	s_and_saveexec_b32 s77, s76
	s_cbranch_execz .LBB6_11995
.LBB6_11999:                            ;   in Loop: Header=BB6_11996 Depth=4
	s_sleep 1
	s_trap 2
	ds_load_b64 v[4:5], v0
	s_wait_dscnt 0x0
	s_and_not1_b32 s74, s74, exec_lo
	v_cmp_ge_u64_e32 vcc_lo, v[4:5], v[80:81]
	s_or_not1_b32 s78, vcc_lo, exec_lo
	s_branch .LBB6_11995
.LBB6_12000:                            ;   in Loop: Header=BB6_11939 Depth=3
	s_or_b32 exec_lo, exec_lo, s72
	s_and_saveexec_b32 s72, s73
	s_delay_alu instid0(SALU_CYCLE_1)
	s_xor_b32 s72, exec_lo, s72
	s_cbranch_execz .LBB6_12002
; %bb.12001:                            ;   in Loop: Header=BB6_11939 Depth=3
	ds_store_b32 v0, v43
	s_trap 2
.LBB6_12002:                            ;   in Loop: Header=BB6_11939 Depth=3
	s_or_b32 exec_lo, exec_lo, s45
	;;#ASMSTART
	s_wakeup
	;;#ASMEND
.LBB6_12003:                            ;   in Loop: Header=BB6_11939 Depth=3
	s_or_b32 exec_lo, exec_lo, s44
.LBB6_12004:                            ;   in Loop: Header=BB6_11939 Depth=3
	s_and_not1_saveexec_b32 s41, s41
	s_cbranch_execz .LBB6_12006
; %bb.12005:                            ;   in Loop: Header=BB6_11939 Depth=3
	;;#ASMSTART
	s_waitcnt lgkmcnt(0) vmcnt(0)
	;;#ASMEND
	s_barrier_signal -1
	s_barrier_wait -1
.LBB6_12006:                            ;   in Loop: Header=BB6_11939 Depth=3
	s_or_b32 exec_lo, exec_lo, s41
	v_and_b32_e32 v0, 16, v30
.LBB6_12007:                            ;   in Loop: Header=BB6_11939 Depth=3
	s_or_b32 exec_lo, exec_lo, s13
	s_delay_alu instid0(VALU_DEP_1) | instskip(SKIP_1) | instid1(SALU_CYCLE_1)
	v_cmp_ne_u32_e32 vcc_lo, 0, v0
	s_xor_b32 s13, s4, -1
	s_and_b32 s41, vcc_lo, s13
	s_delay_alu instid0(SALU_CYCLE_1)
	s_and_saveexec_b32 s13, s41
	s_cbranch_execz .LBB6_12009
; %bb.12008:                            ;   in Loop: Header=BB6_11939 Depth=3
	global_wb scope:SCOPE_SYS
	s_wait_storecnt 0x0
	s_wait_loadcnt_dscnt 0x0
	flat_store_b32 v[70:71], v43 scope:SCOPE_SYS
.LBB6_12009:                            ;   in Loop: Header=BB6_11939 Depth=3
	s_wait_xcnt 0x0
	s_or_b32 exec_lo, exec_lo, s13
	v_and_b32_e32 v0, 48, v30
	s_mov_b32 s13, exec_lo
	s_delay_alu instid0(VALU_DEP_1)
	v_cmpx_ne_u32_e32 0, v0
	s_cbranch_execz .LBB6_11938
; %bb.12010:                            ;   in Loop: Header=BB6_11939 Depth=3
	v_add_nc_u64_e32 v[60:61], 2, v[60:61]
	global_wb scope:SCOPE_SYS
	s_wait_storecnt 0x0
	s_wait_loadcnt_dscnt 0x0
	flat_store_b64 v[64:65], v[60:61] scope:SCOPE_SYS
	s_branch .LBB6_11938
.LBB6_12011:                            ;   in Loop: Header=BB6_11755 Depth=2
	s_or_b32 exec_lo, exec_lo, s15
.LBB6_12012:                            ;   in Loop: Header=BB6_11755 Depth=2
	s_delay_alu instid0(SALU_CYCLE_1)
	s_or_b32 exec_lo, exec_lo, s14
	s_add_co_i32 s13, s18, 1
	s_cmp_eq_u32 s18, s60
	s_cbranch_scc1 .LBB6_12014
; %bb.12013:                            ;   in Loop: Header=BB6_11755 Depth=2
	s_mov_b32 s18, s13
	s_branch .LBB6_11755
.LBB6_12014:                            ;   in Loop: Header=BB6_47 Depth=1
	s_clause 0x1
	scratch_load_b64 v[4:5], off, s33 offset:232
	scratch_load_b64 v[0:1], off, s33 offset:224 th:TH_LOAD_LU
	v_mov_b32_e32 v8, 0
	s_wait_loadcnt 0x1
	v_mul_u64_e32 v[10:11], s[42:43], v[4:5]
	s_wait_loadcnt 0x0
	s_delay_alu instid0(VALU_DEP_1) | instskip(NEXT) | instid1(VALU_DEP_1)
	v_sub_nc_u64_e32 v[0:1], v[0:1], v[10:11]
	v_min_i64 v[4:5], v[4:5], v[0:1]
	s_delay_alu instid0(VALU_DEP_1) | instskip(SKIP_1) | instid1(VALU_DEP_2)
	v_max_i32_e32 v1, 0, v4
	v_cmp_lt_i32_e32 vcc_lo, 0, v4
	v_add_nc_u32_e32 v0, 31, v1
	s_and_b32 s13, s61, vcc_lo
	s_delay_alu instid0(VALU_DEP_1) | instskip(NEXT) | instid1(VALU_DEP_1)
	v_lshrrev_b32_e32 v0, 1, v0
	v_and_b32_e32 v2, 0x3ffffff0, v0
	s_delay_alu instid0(VALU_DEP_1)
	v_dual_mov_b32 v0, 0 :: v_dual_max_i32 v4, s57, v2
	s_wait_xcnt 0x0
	s_and_saveexec_b32 s14, s13
	s_cbranch_execz .LBB6_12154
; %bb.12015:                            ;   in Loop: Header=BB6_47 Depth=1
	scratch_load_b64 v[8:9], off, s33 offset:196 th:TH_LOAD_LU ; 8-byte Folded Reload
	s_mov_b32 s41, 1
	s_mov_b32 s18, -1
	s_mov_b32 s15, 0
	s_wait_loadcnt 0x0
	v_add_nc_u64_e32 v[10:11], v[10:11], v[8:9]
	v_mov_b32_e32 v8, 0
	s_branch .LBB6_12017
.LBB6_12016:                            ;   in Loop: Header=BB6_12017 Depth=2
	s_wait_xcnt 0x0
	s_or_b32 exec_lo, exec_lo, s13
	v_dual_add_nc_u32 v8, v4, v8 :: v_dual_mov_b32 v0, s41
	s_xor_b32 s13, s18, -1
	s_mov_b32 s18, 0
	s_mov_b32 s41, 2
	s_delay_alu instid0(VALU_DEP_1) | instskip(SKIP_1) | instid1(SALU_CYCLE_1)
	v_cmp_ge_i32_e32 vcc_lo, v8, v1
	s_or_b32 s13, s13, vcc_lo
	s_and_b32 s13, exec_lo, s13
	s_delay_alu instid0(SALU_CYCLE_1) | instskip(NEXT) | instid1(SALU_CYCLE_1)
	s_or_b32 s15, s13, s15
	s_and_not1_b32 exec_lo, exec_lo, s15
	s_cbranch_execz .LBB6_12153
.LBB6_12017:                            ;   Parent Loop BB6_47 Depth=1
                                        ; =>  This Loop Header: Depth=2
                                        ;       Child Loop BB6_12025 Depth 3
                                        ;       Child Loop BB6_12049 Depth 3
	;; [unrolled: 1-line block ×9, first 2 shown]
	s_wait_xcnt 0x0
	s_and_saveexec_b32 s13, s0
	s_cbranch_execz .LBB6_12019
; %bb.12018:                            ;   in Loop: Header=BB6_12017 Depth=2
	s_trap 2
	ds_load_b128 v[12:15], v0
	s_wait_dscnt 0x0
	v_add_nc_u64_e32 v[16:17], v[14:15], v[10:11]
	v_cmp_ne_u64_e32 vcc_lo, 0, v[14:15]
	v_ashrrev_i32_e32 v9, 31, v8
	v_add_nc_u64_e32 v[12:13], v[12:13], v[10:11]
	s_delay_alu instid0(VALU_DEP_2) | instskip(NEXT) | instid1(VALU_DEP_1)
	v_add_nc_u64_e32 v[16:17], v[16:17], v[8:9]
	v_cndmask_b32_e32 v15, 0, v17, vcc_lo
	s_delay_alu instid0(VALU_DEP_3) | instskip(NEXT) | instid1(VALU_DEP_3)
	v_add_nc_u64_e32 v[12:13], v[12:13], v[8:9]
	v_cndmask_b32_e32 v14, 0, v16, vcc_lo
	ds_store_b64 v0, v[12:13]
	ds_store_b64 v0, v[14:15]
.LBB6_12019:                            ;   in Loop: Header=BB6_12017 Depth=2
	s_or_b32 exec_lo, exec_lo, s13
	v_and_b32_e32 v0, 4, v30
	s_mov_b32 s44, exec_lo
	s_delay_alu instid0(VALU_DEP_1)
	v_cmpx_ne_u32_e32 0, v0
	s_cbranch_execz .LBB6_12041
; %bb.12020:                            ;   in Loop: Header=BB6_12017 Depth=2
	v_add_nc_u64_e32 v[12:13], 2, v[60:61]
	s_mov_b32 s45, exec_lo
	s_wait_loadcnt_dscnt 0x1
	s_delay_alu instid0(VALU_DEP_1)
	v_cmpx_lt_u64_e64 v[82:83], v[12:13]
	s_cbranch_execz .LBB6_12032
; %bb.12021:                            ;   in Loop: Header=BB6_12017 Depth=2
	v_and_b32_e32 v0, 64, v30
	s_mov_b32 s72, 0
	s_mov_b32 s76, 0
                                        ; implicit-def: $sgpr73
                                        ; implicit-def: $sgpr74
                                        ; implicit-def: $sgpr75
	s_delay_alu instid0(VALU_DEP_1)
	v_cmp_eq_u32_e32 vcc_lo, 0, v0
	s_branch .LBB6_12025
.LBB6_12022:                            ;   in Loop: Header=BB6_12025 Depth=3
	s_wait_loadcnt_dscnt 0x0
	v_cmp_ge_u64_e64 s13, v[82:83], v[12:13]
	s_or_b32 s79, s79, exec_lo
	s_or_not1_b32 s78, s13, exec_lo
.LBB6_12023:                            ;   in Loop: Header=BB6_12025 Depth=3
	s_or_b32 exec_lo, exec_lo, s89
	s_delay_alu instid0(SALU_CYCLE_1)
	s_and_not1_b32 s13, s75, exec_lo
	s_and_b32 s75, s79, exec_lo
	s_and_not1_b32 s74, s74, exec_lo
	s_and_b32 s78, s78, exec_lo
	s_or_b32 s75, s13, s75
	s_or_b32 s74, s74, s78
.LBB6_12024:                            ;   in Loop: Header=BB6_12025 Depth=3
	s_or_b32 exec_lo, exec_lo, s77
	s_delay_alu instid0(SALU_CYCLE_1) | instskip(NEXT) | instid1(SALU_CYCLE_1)
	s_and_b32 s13, exec_lo, s74
	s_or_b32 s72, s13, s72
	s_and_not1_b32 s13, s73, exec_lo
	s_and_b32 s73, s75, exec_lo
	s_delay_alu instid0(SALU_CYCLE_1)
	s_or_b32 s73, s13, s73
	s_and_not1_b32 exec_lo, exec_lo, s72
	s_cbranch_execz .LBB6_12029
.LBB6_12025:                            ;   Parent Loop BB6_47 Depth=1
                                        ;     Parent Loop BB6_12017 Depth=2
                                        ; =>    This Inner Loop Header: Depth=3
	s_sleep 1
	s_wait_loadcnt_dscnt 0x0
	flat_load_b64 v[82:83], v[64:65] scope:SCOPE_SYS
	s_or_b32 s75, s75, exec_lo
	s_or_b32 s74, s74, exec_lo
                                        ; implicit-def: $vgpr2
	s_wait_xcnt 0x0
	s_and_saveexec_b32 s77, vcc_lo
	s_cbranch_execz .LBB6_12024
; %bb.12026:                            ;   in Loop: Header=BB6_12025 Depth=3
	s_cmp_lt_i32 s76, 0x270f
	s_mov_b32 s78, -1
	s_cselect_b32 s88, -1, 0
	s_cmp_gt_i32 s76, 0x270e
	s_cbranch_scc0 .LBB6_12028
; %bb.12027:                            ;   in Loop: Header=BB6_12025 Depth=3
	s_trap 2
	ds_load_b64 v[14:15], v0
	s_and_not1_b32 s76, s88, exec_lo
	s_mov_b32 s79, 0
	s_wait_storecnt 0x0
	s_wait_loadcnt_dscnt 0x0
	flat_load_b32 v2, v[14:15] scope:SCOPE_SYS
	s_wait_loadcnt_dscnt 0x0
	global_inv scope:SCOPE_SYS
	v_cmp_eq_u32_e64 s13, 0, v2
	s_and_b32 s13, s13, exec_lo
	s_delay_alu instid0(SALU_CYCLE_1)
	s_or_b32 s88, s76, s13
	s_mov_b32 s76, 0
	s_and_saveexec_b32 s89, s88
	s_cbranch_execz .LBB6_12023
	s_branch .LBB6_12022
.LBB6_12028:                            ;   in Loop: Header=BB6_12025 Depth=3
	s_add_co_i32 s76, s76, 1
	s_mov_b32 s79, -1
                                        ; implicit-def: $vgpr2
	s_and_saveexec_b32 s89, s88
	s_cbranch_execz .LBB6_12023
	s_branch .LBB6_12022
.LBB6_12029:                            ;   in Loop: Header=BB6_12017 Depth=2
	s_or_b32 exec_lo, exec_lo, s72
	s_xor_b32 s13, s73, -1
	s_delay_alu instid0(SALU_CYCLE_1) | instskip(NEXT) | instid1(SALU_CYCLE_1)
	s_and_saveexec_b32 s72, s13
	s_xor_b32 s13, exec_lo, s72
	s_cbranch_execz .LBB6_12031
; %bb.12030:                            ;   in Loop: Header=BB6_12017 Depth=2
	v_or_b32_e32 v30, 64, v30
	s_wait_storecnt 0x0
	s_wait_loadcnt_dscnt 0x0
	ds_store_b32 v0, v2
	s_trap 2
.LBB6_12031:                            ;   in Loop: Header=BB6_12017 Depth=2
	s_or_b32 exec_lo, exec_lo, s13
.LBB6_12032:                            ;   in Loop: Header=BB6_12017 Depth=2
	s_delay_alu instid0(SALU_CYCLE_1)
	s_or_b32 exec_lo, exec_lo, s45
	v_and_b32_e32 v0, 0x100, v30
	v_and_b32_e32 v2, 7, v60
	s_mov_b32 s13, -1
	s_mov_b32 s45, exec_lo
	;;#ASMSTART
	s_wakeup
	;;#ASMEND
                                        ; implicit-def: $vgpr14_vgpr15
	v_cmpx_ne_u32_e32 0, v0
	s_cbranch_execz .LBB6_12036
; %bb.12033:                            ;   in Loop: Header=BB6_12017 Depth=2
	v_mad_nc_u64_u32 v[16:17], v2, 24, v[6:7]
	s_mov_b32 s72, exec_lo
                                        ; implicit-def: $vgpr14_vgpr15
	flat_load_b32 v0, v[16:17]
	s_wait_loadcnt_dscnt 0x0
	v_cmp_ne_u32_e32 vcc_lo, 1, v0
	s_wait_xcnt 0x0
	v_cmpx_eq_u32_e32 1, v0
	s_cbranch_execz .LBB6_12035
; %bb.12034:                            ;   in Loop: Header=BB6_12017 Depth=2
	flat_load_b32 v14, v[16:17] offset:4 scope:SCOPE_SYS
	s_wait_loadcnt_dscnt 0x0
	v_ashrrev_i32_e32 v15, 31, v14
.LBB6_12035:                            ;   in Loop: Header=BB6_12017 Depth=2
	s_wait_xcnt 0x0
	s_or_b32 exec_lo, exec_lo, s72
	s_delay_alu instid0(SALU_CYCLE_1)
	s_or_not1_b32 s13, vcc_lo, exec_lo
.LBB6_12036:                            ;   in Loop: Header=BB6_12017 Depth=2
	s_or_b32 exec_lo, exec_lo, s45
	s_and_saveexec_b32 s45, s13
; %bb.12037:                            ;   in Loop: Header=BB6_12017 Depth=2
	v_mul_u64_e32 v[14:15], v[2:3], v[62:63]
; %bb.12038:                            ;   in Loop: Header=BB6_12017 Depth=2
	s_or_b32 exec_lo, exec_lo, s45
	s_delay_alu instid0(VALU_DEP_1)
	v_add_nc_u64_e32 v[14:15], v[68:69], v[14:15]
	v_and_b32_e32 v0, 0x2000, v30
	s_mov_b32 s13, exec_lo
	ds_store_b64 v0, v[14:15] offset:720
	v_cmpx_ne_u32_e32 0, v0
	s_cbranch_execz .LBB6_12040
; %bb.12039:                            ;   in Loop: Header=BB6_12017 Depth=2
	ds_load_b64 v[14:15], v0 offset:872
	s_wait_dscnt 0x0
	v_add_nc_u64_e32 v[14:15], 1, v[14:15]
	ds_store_b64 v0, v[14:15] offset:872
.LBB6_12040:                            ;   in Loop: Header=BB6_12017 Depth=2
	s_or_b32 exec_lo, exec_lo, s13
	v_mov_b64_e32 v[60:61], v[12:13]
.LBB6_12041:                            ;   in Loop: Header=BB6_12017 Depth=2
	s_or_b32 exec_lo, exec_lo, s44
	s_and_saveexec_b32 s13, s2
	s_cbranch_execz .LBB6_12060
; %bb.12042:                            ;   in Loop: Header=BB6_12017 Depth=2
	s_and_saveexec_b32 s44, s3
	s_delay_alu instid0(SALU_CYCLE_1)
	s_xor_b32 s44, exec_lo, s44
	s_cbranch_execz .LBB6_12057
; %bb.12043:                            ;   in Loop: Header=BB6_12017 Depth=2
	s_and_saveexec_b32 s45, s6
	s_cbranch_execz .LBB6_12056
; %bb.12044:                            ;   in Loop: Header=BB6_12017 Depth=2
	s_mov_b32 s73, exec_lo
	s_mov_b32 s72, exec_lo
	v_mbcnt_lo_u32_b32 v0, s73, 0
	global_wb scope:SCOPE_DEV
	s_wait_storecnt 0x0
	s_wait_loadcnt_dscnt 0x0
	global_inv scope:SCOPE_DEV
	v_cmpx_eq_u32_e32 0, v0
	s_cbranch_execz .LBB6_12046
; %bb.12045:                            ;   in Loop: Header=BB6_12017 Depth=2
	s_bcnt1_i32_b32 s73, s73
	s_delay_alu instid0(SALU_CYCLE_1)
	v_mov_b32_e32 v2, s73
	s_wait_loadcnt 0x0
	ds_add_u64 v0, v[2:3]
	s_trap 2
.LBB6_12046:                            ;   in Loop: Header=BB6_12017 Depth=2
	s_or_b32 exec_lo, exec_lo, s72
	s_trap 2
	ds_load_b64 v[12:13], v0
	s_wait_dscnt 0x0
	v_add_nc_u64_e32 v[80:81], v[80:81], v[84:85]
	s_mov_b32 s72, exec_lo
	s_delay_alu instid0(VALU_DEP_1)
	v_cmpx_lt_u64_e64 v[12:13], v[80:81]
	s_cbranch_execz .LBB6_12055
; %bb.12047:                            ;   in Loop: Header=BB6_12017 Depth=2
	s_mov_b32 s73, 0
	s_mov_b32 s76, 0
                                        ; implicit-def: $sgpr74
                                        ; implicit-def: $sgpr75
	s_branch .LBB6_12049
.LBB6_12048:                            ;   in Loop: Header=BB6_12049 Depth=3
	s_or_b32 exec_lo, exec_lo, s78
	s_delay_alu instid0(SALU_CYCLE_1) | instskip(NEXT) | instid1(SALU_CYCLE_1)
	s_and_b32 s77, exec_lo, s79
	s_or_b32 s73, s77, s73
	s_and_not1_b32 s74, s74, exec_lo
	s_and_b32 s77, s75, exec_lo
	s_delay_alu instid0(SALU_CYCLE_1)
	s_or_b32 s74, s74, s77
	s_and_not1_b32 exec_lo, exec_lo, s73
	s_cbranch_execz .LBB6_12053
.LBB6_12049:                            ;   Parent Loop BB6_47 Depth=1
                                        ;     Parent Loop BB6_12017 Depth=2
                                        ; =>    This Inner Loop Header: Depth=3
	s_add_co_i32 s76, s76, 1
	s_delay_alu instid0(SALU_CYCLE_1) | instskip(SKIP_1) | instid1(SALU_CYCLE_1)
	s_cmp_lg_u32 s76, 0x2710
	s_cselect_b32 s77, -1, 0
	s_and_b32 vcc_lo, exec_lo, s77
	s_cbranch_vccz .LBB6_12051
; %bb.12050:                            ;   in Loop: Header=BB6_12049 Depth=3
	s_mov_b32 s79, -1
	s_or_b32 s75, s75, exec_lo
	s_and_saveexec_b32 s78, s77
	s_cbranch_execz .LBB6_12048
	s_branch .LBB6_12052
.LBB6_12051:                            ;   in Loop: Header=BB6_12049 Depth=3
	s_trap 2
	ds_load_b64 v[12:13], v0
	s_and_not1_b32 s77, s77, exec_lo
	s_mov_b32 s76, 0
	s_wait_loadcnt_dscnt 0x0
	flat_load_b32 v0, v[12:13] scope:SCOPE_SYS
	s_wait_loadcnt_dscnt 0x0
	global_inv scope:SCOPE_SYS
	v_cmp_eq_u32_e32 vcc_lo, 0, v0
	s_and_b32 s78, vcc_lo, exec_lo
	s_delay_alu instid0(SALU_CYCLE_1)
	s_or_b32 s77, s77, s78
	s_mov_b32 s79, -1
	s_or_b32 s75, s75, exec_lo
	s_and_saveexec_b32 s78, s77
	s_cbranch_execz .LBB6_12048
.LBB6_12052:                            ;   in Loop: Header=BB6_12049 Depth=3
	s_sleep 1
	s_trap 2
	ds_load_b64 v[12:13], v0
	s_wait_dscnt 0x0
	s_and_not1_b32 s75, s75, exec_lo
	v_cmp_ge_u64_e32 vcc_lo, v[12:13], v[80:81]
	s_or_not1_b32 s79, vcc_lo, exec_lo
	s_branch .LBB6_12048
.LBB6_12053:                            ;   in Loop: Header=BB6_12017 Depth=2
	s_or_b32 exec_lo, exec_lo, s73
	s_and_saveexec_b32 s73, s74
	s_delay_alu instid0(SALU_CYCLE_1)
	s_xor_b32 s73, exec_lo, s73
	s_cbranch_execz .LBB6_12055
; %bb.12054:                            ;   in Loop: Header=BB6_12017 Depth=2
	ds_store_b32 v0, v43
	s_trap 2
.LBB6_12055:                            ;   in Loop: Header=BB6_12017 Depth=2
	s_or_b32 exec_lo, exec_lo, s72
	;;#ASMSTART
	s_wakeup
	;;#ASMEND
.LBB6_12056:                            ;   in Loop: Header=BB6_12017 Depth=2
	s_or_b32 exec_lo, exec_lo, s45
.LBB6_12057:                            ;   in Loop: Header=BB6_12017 Depth=2
	s_and_not1_saveexec_b32 s44, s44
	s_cbranch_execz .LBB6_12059
; %bb.12058:                            ;   in Loop: Header=BB6_12017 Depth=2
	global_wb scope:SCOPE_DEV
	s_wait_storecnt 0x0
	s_wait_loadcnt_dscnt 0x0
	global_inv scope:SCOPE_DEV
	s_barrier_signal -1
	s_barrier_wait -1
.LBB6_12059:                            ;   in Loop: Header=BB6_12017 Depth=2
	s_or_b32 exec_lo, exec_lo, s44
.LBB6_12060:                            ;   in Loop: Header=BB6_12017 Depth=2
	s_delay_alu instid0(SALU_CYCLE_1) | instskip(SKIP_4) | instid1(VALU_DEP_1)
	s_or_b32 exec_lo, exec_lo, s13
	s_trap 2
	ds_load_b32 v5, v0
	v_and_b32_e32 v0, 0x4000, v30
	s_xor_b32 s13, s1, -1
	v_cmp_ne_u32_e32 vcc_lo, 0, v0
	s_and_b32 s44, s13, vcc_lo
	s_delay_alu instid0(SALU_CYCLE_1)
	s_and_saveexec_b32 s13, s44
	s_cbranch_execz .LBB6_12079
; %bb.12061:                            ;   in Loop: Header=BB6_12017 Depth=2
	s_and_saveexec_b32 s44, s3
	s_delay_alu instid0(SALU_CYCLE_1)
	s_xor_b32 s44, exec_lo, s44
	s_cbranch_execz .LBB6_12076
; %bb.12062:                            ;   in Loop: Header=BB6_12017 Depth=2
	s_and_saveexec_b32 s45, s6
	s_cbranch_execz .LBB6_12075
; %bb.12063:                            ;   in Loop: Header=BB6_12017 Depth=2
	s_mov_b32 s73, exec_lo
	s_mov_b32 s72, exec_lo
	v_mbcnt_lo_u32_b32 v0, s73, 0
	global_wb scope:SCOPE_DEV
	s_wait_storecnt 0x0
	s_wait_loadcnt_dscnt 0x0
	global_inv scope:SCOPE_DEV
	v_cmpx_eq_u32_e32 0, v0
	s_cbranch_execz .LBB6_12065
; %bb.12064:                            ;   in Loop: Header=BB6_12017 Depth=2
	s_bcnt1_i32_b32 s73, s73
	s_delay_alu instid0(SALU_CYCLE_1)
	v_mov_b32_e32 v2, s73
	s_wait_loadcnt 0x0
	ds_add_u64 v0, v[2:3]
	s_trap 2
.LBB6_12065:                            ;   in Loop: Header=BB6_12017 Depth=2
	s_or_b32 exec_lo, exec_lo, s72
	s_trap 2
	ds_load_b64 v[12:13], v0
	s_wait_dscnt 0x0
	v_add_nc_u64_e32 v[80:81], v[80:81], v[84:85]
	s_mov_b32 s72, exec_lo
	s_delay_alu instid0(VALU_DEP_1)
	v_cmpx_lt_u64_e64 v[12:13], v[80:81]
	s_cbranch_execz .LBB6_12074
; %bb.12066:                            ;   in Loop: Header=BB6_12017 Depth=2
	s_mov_b32 s73, 0
	s_mov_b32 s76, 0
                                        ; implicit-def: $sgpr74
                                        ; implicit-def: $sgpr75
	s_branch .LBB6_12068
.LBB6_12067:                            ;   in Loop: Header=BB6_12068 Depth=3
	s_or_b32 exec_lo, exec_lo, s78
	s_delay_alu instid0(SALU_CYCLE_1) | instskip(NEXT) | instid1(SALU_CYCLE_1)
	s_and_b32 s77, exec_lo, s79
	s_or_b32 s73, s77, s73
	s_and_not1_b32 s74, s74, exec_lo
	s_and_b32 s77, s75, exec_lo
	s_delay_alu instid0(SALU_CYCLE_1)
	s_or_b32 s74, s74, s77
	s_and_not1_b32 exec_lo, exec_lo, s73
	s_cbranch_execz .LBB6_12072
.LBB6_12068:                            ;   Parent Loop BB6_47 Depth=1
                                        ;     Parent Loop BB6_12017 Depth=2
                                        ; =>    This Inner Loop Header: Depth=3
	s_add_co_i32 s76, s76, 1
	s_delay_alu instid0(SALU_CYCLE_1) | instskip(SKIP_1) | instid1(SALU_CYCLE_1)
	s_cmp_lg_u32 s76, 0x2710
	s_cselect_b32 s77, -1, 0
	s_and_b32 vcc_lo, exec_lo, s77
	s_cbranch_vccz .LBB6_12070
; %bb.12069:                            ;   in Loop: Header=BB6_12068 Depth=3
	s_mov_b32 s79, -1
	s_or_b32 s75, s75, exec_lo
	s_and_saveexec_b32 s78, s77
	s_cbranch_execz .LBB6_12067
	s_branch .LBB6_12071
.LBB6_12070:                            ;   in Loop: Header=BB6_12068 Depth=3
	s_trap 2
	ds_load_b64 v[12:13], v0
	s_and_not1_b32 s77, s77, exec_lo
	s_mov_b32 s76, 0
	s_wait_loadcnt_dscnt 0x0
	flat_load_b32 v0, v[12:13] scope:SCOPE_SYS
	s_wait_loadcnt_dscnt 0x0
	global_inv scope:SCOPE_SYS
	v_cmp_eq_u32_e32 vcc_lo, 0, v0
	s_and_b32 s78, vcc_lo, exec_lo
	s_delay_alu instid0(SALU_CYCLE_1)
	s_or_b32 s77, s77, s78
	s_mov_b32 s79, -1
	s_or_b32 s75, s75, exec_lo
	s_and_saveexec_b32 s78, s77
	s_cbranch_execz .LBB6_12067
.LBB6_12071:                            ;   in Loop: Header=BB6_12068 Depth=3
	s_sleep 1
	s_trap 2
	ds_load_b64 v[12:13], v0
	s_wait_dscnt 0x0
	s_and_not1_b32 s75, s75, exec_lo
	v_cmp_ge_u64_e32 vcc_lo, v[12:13], v[80:81]
	s_or_not1_b32 s79, vcc_lo, exec_lo
	s_branch .LBB6_12067
.LBB6_12072:                            ;   in Loop: Header=BB6_12017 Depth=2
	s_or_b32 exec_lo, exec_lo, s73
	s_and_saveexec_b32 s73, s74
	s_delay_alu instid0(SALU_CYCLE_1)
	s_xor_b32 s73, exec_lo, s73
	s_cbranch_execz .LBB6_12074
; %bb.12073:                            ;   in Loop: Header=BB6_12017 Depth=2
	ds_store_b32 v0, v43
	s_trap 2
.LBB6_12074:                            ;   in Loop: Header=BB6_12017 Depth=2
	s_or_b32 exec_lo, exec_lo, s72
	;;#ASMSTART
	s_wakeup
	;;#ASMEND
.LBB6_12075:                            ;   in Loop: Header=BB6_12017 Depth=2
	s_or_b32 exec_lo, exec_lo, s45
.LBB6_12076:                            ;   in Loop: Header=BB6_12017 Depth=2
	s_and_not1_saveexec_b32 s44, s44
	s_cbranch_execz .LBB6_12078
; %bb.12077:                            ;   in Loop: Header=BB6_12017 Depth=2
	global_wb scope:SCOPE_DEV
	s_wait_storecnt 0x0
	s_wait_loadcnt_dscnt 0x0
	global_inv scope:SCOPE_DEV
	s_barrier_signal -1
	s_barrier_wait -1
.LBB6_12078:                            ;   in Loop: Header=BB6_12017 Depth=2
	s_or_b32 exec_lo, exec_lo, s44
.LBB6_12079:                            ;   in Loop: Header=BB6_12017 Depth=2
	s_delay_alu instid0(SALU_CYCLE_1) | instskip(SKIP_3) | instid1(VALU_DEP_1)
	s_or_b32 exec_lo, exec_lo, s13
	s_trap 2
	ds_load_b64 v[12:13], v0
	v_sub_nc_u32_e32 v0, v1, v8
	v_min_i32_e32 v4, v4, v0
	s_wait_dscnt 0x0
	v_cmp_eq_u64_e32 vcc_lo, 0, v[12:13]
	s_cbranch_vccnz .LBB6_12087
; %bb.12080:                            ;   in Loop: Header=BB6_12017 Depth=2
	s_trap 2
	ds_load_b64 v[14:15], v0
	s_wait_dscnt 0x0
	v_cmp_eq_u64_e32 vcc_lo, 0, v[14:15]
	s_cbranch_vccnz .LBB6_12087
; %bb.12081:                            ;   in Loop: Header=BB6_12017 Depth=2
	s_mov_b32 s13, -1
	s_and_saveexec_b32 s44, s11
	s_cbranch_execz .LBB6_12083
; %bb.12082:                            ;   in Loop: Header=BB6_12017 Depth=2
	ds_load_b32 v0, v0 offset:720
	s_wait_dscnt 0x0
	v_and_b32_e32 v0, 15, v0
	s_delay_alu instid0(VALU_DEP_1)
	v_cmp_eq_u32_e32 vcc_lo, 0, v0
	s_or_not1_b32 s13, vcc_lo, exec_lo
.LBB6_12083:                            ;   in Loop: Header=BB6_12017 Depth=2
	s_or_b32 exec_lo, exec_lo, s44
	s_and_saveexec_b32 s44, s7
	s_cbranch_execz .LBB6_12085
; %bb.12084:                            ;   in Loop: Header=BB6_12017 Depth=2
	ds_load_b32 v0, v0 offset:784
	s_wait_dscnt 0x0
	v_and_b32_e32 v0, 15, v0
	s_delay_alu instid0(VALU_DEP_1) | instskip(SKIP_3) | instid1(SALU_CYCLE_1)
	v_cmp_eq_u32_e32 vcc_lo, 0, v0
	s_and_b32 s45, s13, vcc_lo
	s_and_not1_b32 s13, s13, exec_lo
	s_and_b32 s45, s45, exec_lo
	s_or_b32 s13, s13, s45
.LBB6_12085:                            ;   in Loop: Header=BB6_12017 Depth=2
	s_or_b32 exec_lo, exec_lo, s44
	v_cmp_eq_u32_e32 vcc_lo, 0, v5
	s_xor_b32 s13, s13, -1
	v_mov_b32_e32 v16, v95
	v_cndmask_b32_e64 v0, 0, 1, s13
	s_mov_b32 s45, -1
	v_dual_cndmask_b32 v2, 0, v4 :: v_dual_mov_b32 v5, 0
	v_mov_b32_e32 v18, v42
	s_delay_alu instid0(VALU_DEP_3) | instskip(NEXT) | instid1(VALU_DEP_3)
	v_cmp_ne_u32_e32 vcc_lo, 0, v0
	v_mov_b32_e32 v9, v2
	s_cbranch_vccz .LBB6_12092
; %bb.12086:                            ;   in Loop: Header=BB6_12017 Depth=2
	s_and_saveexec_b32 s13, s45
	s_cbranch_execnz .LBB6_12105
	s_branch .LBB6_12113
.LBB6_12087:                            ;   in Loop: Header=BB6_12017 Depth=2
	s_mov_b32 s13, 0
	s_and_saveexec_b32 s44, s2
	s_cbranch_execnz .LBB6_12114
.LBB6_12088:                            ;   in Loop: Header=BB6_12017 Depth=2
	s_or_b32 exec_lo, exec_lo, s44
	s_and_saveexec_b32 s44, s10
	s_delay_alu instid0(SALU_CYCLE_1)
	s_xor_b32 s44, exec_lo, s44
	s_cbranch_execz .LBB6_12132
.LBB6_12089:                            ;   in Loop: Header=BB6_12017 Depth=2
	v_and_b32_e32 v0, 16, v30
	s_delay_alu instid0(VALU_DEP_1) | instskip(SKIP_1) | instid1(SALU_CYCLE_1)
	v_cmp_ne_u32_e32 vcc_lo, 0, v0
	s_and_b32 s45, vcc_lo, s13
	s_and_saveexec_b32 s13, s45
	s_cbranch_execz .LBB6_12091
; %bb.12090:                            ;   in Loop: Header=BB6_12017 Depth=2
	global_wb scope:SCOPE_SYS
	s_wait_storecnt 0x0
	s_wait_loadcnt_dscnt 0x0
	global_inv scope:SCOPE_SYS
.LBB6_12091:                            ;   in Loop: Header=BB6_12017 Depth=2
	s_or_b32 exec_lo, exec_lo, s13
	s_and_not1_saveexec_b32 s13, s44
	s_cbranch_execz .LBB6_12151
	s_branch .LBB6_12133
.LBB6_12092:                            ;   in Loop: Header=BB6_12017 Depth=2
	v_ashrrev_i32_e32 v0, 31, v2
	s_mov_b32 s13, exec_lo
	s_delay_alu instid0(VALU_DEP_1) | instskip(NEXT) | instid1(VALU_DEP_1)
	v_lshrrev_b32_e32 v0, 20, v0
	v_add_nc_u32_e32 v0, v2, v0
	s_delay_alu instid0(VALU_DEP_1) | instskip(NEXT) | instid1(VALU_DEP_1)
	v_ashrrev_i32_e32 v0, 12, v0
	v_sub_nc_u32_e32 v20, v0, v95
	s_delay_alu instid0(VALU_DEP_1)
	v_cmpx_lt_i32_e32 0, v20
	s_cbranch_execz .LBB6_12096
; %bb.12093:                            ;   in Loop: Header=BB6_12017 Depth=2
	v_mov_b64_e32 v[16:17], v[14:15]
	v_mov_b64_e32 v[18:19], v[12:13]
	s_mov_b32 s44, 0
.LBB6_12094:                            ;   Parent Loop BB6_47 Depth=1
                                        ;     Parent Loop BB6_12017 Depth=2
                                        ; =>    This Inner Loop Header: Depth=3
	s_delay_alu instid0(VALU_DEP_1)
	v_add_nc_u64_e32 v[66:67], v[44:45], v[18:19]
	v_sub_nc_u32_e32 v20, v20, v84
	v_add_nc_u64_e32 v[18:19], v[18:19], v[102:103]
	s_clause 0x7
	global_load_b128 v[22:25], v[66:67], off th:TH_LOAD_NT
	global_load_b128 v[26:29], v[66:67], off offset:512 th:TH_LOAD_NT
	global_load_b128 v[32:35], v[66:67], off offset:1024 th:TH_LOAD_NT
	;; [unrolled: 1-line block ×7, first 2 shown]
	s_wait_xcnt 0x0
	v_add_nc_u64_e32 v[66:67], v[44:45], v[16:17]
	v_add_nc_u64_e32 v[16:17], v[16:17], v[102:103]
	v_cmp_gt_i32_e32 vcc_lo, 1, v20
	s_wait_loadcnt 0x7
	global_store_b128 v[66:67], v[22:25], off th:TH_STORE_NT
	s_wait_loadcnt 0x6
	global_store_b128 v[66:67], v[26:29], off offset:512 th:TH_STORE_NT
	s_wait_loadcnt 0x5
	global_store_b128 v[66:67], v[32:35], off offset:1024 th:TH_STORE_NT
	s_wait_loadcnt 0x4
	global_store_b128 v[66:67], v[36:39], off offset:1536 th:TH_STORE_NT
	s_wait_loadcnt 0x3
	global_store_b128 v[66:67], v[48:51], off offset:2048 th:TH_STORE_NT
	s_wait_loadcnt 0x2
	global_store_b128 v[66:67], v[52:55], off offset:2560 th:TH_STORE_NT
	s_wait_loadcnt 0x1
	global_store_b128 v[66:67], v[96:99], off offset:3072 th:TH_STORE_NT
	s_wait_loadcnt 0x0
	global_store_b128 v[66:67], v[56:59], off offset:3584 th:TH_STORE_NT
	s_or_b32 s44, vcc_lo, s44
	s_wait_xcnt 0x0
	s_and_not1_b32 exec_lo, exec_lo, s44
	s_cbranch_execnz .LBB6_12094
; %bb.12095:                            ;   in Loop: Header=BB6_12017 Depth=2
	s_or_b32 exec_lo, exec_lo, s44
.LBB6_12096:                            ;   in Loop: Header=BB6_12017 Depth=2
	s_delay_alu instid0(SALU_CYCLE_1) | instskip(SKIP_3) | instid1(VALU_DEP_1)
	s_or_b32 exec_lo, exec_lo, s13
	v_dual_lshlrev_b32 v19, 12, v0 :: v_dual_mov_b32 v5, 0
	s_mov_b32 s45, 0
	s_mov_b32 s44, exec_lo
                                        ; implicit-def: $vgpr9
                                        ; implicit-def: $vgpr18
                                        ; implicit-def: $vgpr16
	v_cmpx_ne_u32_e64 v2, v19
	s_cbranch_execz .LBB6_12104
; %bb.12097:                            ;   in Loop: Header=BB6_12017 Depth=2
	scratch_load_b32 v5, off, s33 offset:220 ; 4-byte Folded Reload
	v_dual_lshlrev_b32 v0, 5, v20 :: v_dual_sub_nc_u32 v16, v2, v19
	s_mov_b32 s45, exec_lo
	s_wait_loadcnt 0x0
	s_delay_alu instid0(VALU_DEP_1) | instskip(NEXT) | instid1(VALU_DEP_2)
	v_sub_nc_u32_e32 v0, v5, v0
	v_ashrrev_i32_e32 v9, 31, v16
	s_delay_alu instid0(VALU_DEP_1) | instskip(NEXT) | instid1(VALU_DEP_1)
	v_dual_ashrrev_i32 v5, 31, v0 :: v_dual_lshrrev_b32 v9, 23, v9
	v_lshrrev_b32_e32 v5, 27, v5
	s_delay_alu instid0(VALU_DEP_2) | instskip(NEXT) | instid1(VALU_DEP_2)
	v_add_nc_u32_e32 v9, v16, v9
	v_add_nc_u32_e32 v5, v0, v5
	s_delay_alu instid0(VALU_DEP_2) | instskip(NEXT) | instid1(VALU_DEP_2)
	v_and_b32_e32 v20, 0xfffffe00, v9
	v_and_b32_e32 v17, 0xffffffe0, v5
	s_delay_alu instid0(VALU_DEP_2) | instskip(NEXT) | instid1(VALU_DEP_2)
	v_sub_nc_u32_e32 v22, v16, v20
	v_sub_nc_u32_e32 v21, v0, v17
	v_ashrrev_i32_e32 v0, 5, v5
	v_ashrrev_i32_e32 v17, 9, v9
	s_delay_alu instid0(VALU_DEP_4) | instskip(NEXT) | instid1(VALU_DEP_4)
	v_cmp_lt_i32_e32 vcc_lo, 15, v22
	v_lshlrev_b32_e32 v5, 4, v21
	s_delay_alu instid0(VALU_DEP_1) | instskip(NEXT) | instid1(VALU_DEP_1)
	v_lshl_add_u32 v9, v0, 9, v5
	v_sub_nc_u32_e32 v5, v16, v9
	v_add_co_ci_u32_e64 v17, null, 0, v17, vcc_lo
	s_delay_alu instid0(VALU_DEP_1) | instskip(SKIP_1) | instid1(VALU_DEP_3)
	v_sub_nc_u32_e32 v0, v17, v0
	s_wait_xcnt 0x0
	v_cmpx_lt_i32_e32 15, v5
	s_cbranch_execz .LBB6_12101
; %bb.12098:                            ;   in Loop: Header=BB6_12017 Depth=2
	v_add_nc_u32_e32 v16, v9, v19
	s_mov_b32 s72, 0
	s_delay_alu instid0(VALU_DEP_1)
	v_ashrrev_i32_e32 v17, 31, v16
.LBB6_12099:                            ;   Parent Loop BB6_47 Depth=1
                                        ;     Parent Loop BB6_12017 Depth=2
                                        ; =>    This Inner Loop Header: Depth=3
	s_delay_alu instid0(VALU_DEP_1) | instskip(SKIP_4) | instid1(VALU_DEP_4)
	v_add_nc_u64_e32 v[24:25], v[12:13], v[16:17]
	v_sub_nc_u32_e32 v5, v5, v112
	v_add_nc_u64_e32 v[28:29], v[14:15], v[16:17]
	v_add_nc_u64_e32 v[16:17], v[16:17], v[112:113]
	v_sub_nc_u32_e32 v0, v0, v84
	v_cmp_gt_i32_e64 s13, 16, v5
	global_load_b128 v[24:27], v[24:25], off th:TH_LOAD_NT
	s_or_b32 s72, s13, s72
	s_wait_loadcnt 0x0
	global_store_b128 v[28:29], v[24:27], off th:TH_STORE_NT
	s_wait_xcnt 0x0
	s_and_not1_b32 exec_lo, exec_lo, s72
	s_cbranch_execnz .LBB6_12099
; %bb.12100:                            ;   in Loop: Header=BB6_12017 Depth=2
	s_or_b32 exec_lo, exec_lo, s72
.LBB6_12101:                            ;   in Loop: Header=BB6_12017 Depth=2
	s_delay_alu instid0(SALU_CYCLE_1) | instskip(SKIP_3) | instid1(VALU_DEP_1)
	s_or_b32 exec_lo, exec_lo, s45
	v_dual_mov_b32 v5, 0 :: v_dual_bitop2_b32 v17, 15, v2 bitop3:0x40
	s_mov_b32 s45, 0
	s_mov_b32 s72, exec_lo
                                        ; implicit-def: $vgpr18
                                        ; implicit-def: $vgpr16
	v_cndmask_b32_e32 v9, v22, v17, vcc_lo
	s_delay_alu instid0(VALU_DEP_1)
	v_cmpx_ne_u32_e32 0, v9
	s_cbranch_execz .LBB6_12103
; %bb.12102:                            ;   in Loop: Header=BB6_12017 Depth=2
	v_cmp_lt_i32_e64 s13, 0, v0
	s_mov_b32 s45, exec_lo
	v_cndmask_b32_e64 v5, 0, v84, s13
	s_delay_alu instid0(VALU_DEP_1) | instskip(NEXT) | instid1(VALU_DEP_1)
	v_dual_sub_nc_u32 v0, v5, v0 :: v_dual_sub_nc_u32 v5, v22, v17
	v_lshl_add_u32 v18, v0, 5, v21
	s_delay_alu instid0(VALU_DEP_1) | instskip(NEXT) | instid1(VALU_DEP_1)
	v_dual_cndmask_b32 v5, 0, v5 :: v_dual_ashrrev_i32 v0, 31, v18
	v_add3_u32 v5, v20, v19, v5
	s_delay_alu instid0(VALU_DEP_2) | instskip(NEXT) | instid1(VALU_DEP_1)
	v_lshrrev_b32_e32 v0, 27, v0
	v_add_nc_u32_e32 v0, v18, v0
	s_delay_alu instid0(VALU_DEP_1)
	v_ashrrev_i32_e32 v16, 5, v0
.LBB6_12103:                            ;   in Loop: Header=BB6_12017 Depth=2
	s_or_b32 exec_lo, exec_lo, s72
	s_delay_alu instid0(SALU_CYCLE_1)
	s_and_b32 s45, s45, exec_lo
.LBB6_12104:                            ;   in Loop: Header=BB6_12017 Depth=2
	s_or_b32 exec_lo, exec_lo, s44
	s_and_saveexec_b32 s13, s45
	s_cbranch_execz .LBB6_12113
.LBB6_12105:                            ;   in Loop: Header=BB6_12017 Depth=2
	v_ashrrev_i32_e32 v0, 31, v9
	s_mov_b32 s44, exec_lo
	s_delay_alu instid0(VALU_DEP_1) | instskip(NEXT) | instid1(VALU_DEP_1)
	v_lshrrev_b32_e32 v0, 22, v0
	v_add_nc_u32_e32 v0, v9, v0
	s_delay_alu instid0(VALU_DEP_1) | instskip(NEXT) | instid1(VALU_DEP_1)
	v_dual_ashrrev_i32 v21, 10, v0 :: v_dual_ashrrev_i32 v0, 31, v18
	v_sub_nc_u32_e32 v19, v21, v16
	s_delay_alu instid0(VALU_DEP_2) | instskip(NEXT) | instid1(VALU_DEP_2)
	v_lshrrev_b32_e32 v20, 27, v0
	v_cmpx_lt_i32_e32 0, v19
	s_cbranch_execz .LBB6_12109
; %bb.12106:                            ;   in Loop: Header=BB6_12017 Depth=2
	s_delay_alu instid0(VALU_DEP_2) | instskip(SKIP_2) | instid1(VALU_DEP_2)
	v_add_nc_u32_e32 v0, v18, v20
	v_lshlrev_b32_e32 v16, 10, v16
	s_mov_b32 s45, 0
	v_and_b32_e32 v0, 0xffffffe0, v0
	s_delay_alu instid0(VALU_DEP_1) | instskip(NEXT) | instid1(VALU_DEP_1)
	v_sub_nc_u32_e32 v0, v18, v0
	v_add3_u32 v16, v5, v0, v16
	s_delay_alu instid0(VALU_DEP_1)
	v_ashrrev_i32_e32 v17, 31, v16
.LBB6_12107:                            ;   Parent Loop BB6_47 Depth=1
                                        ;     Parent Loop BB6_12017 Depth=2
                                        ; =>    This Inner Loop Header: Depth=3
	s_delay_alu instid0(VALU_DEP_1)
	v_add_nc_u64_e32 v[22:23], v[16:17], v[12:13]
	v_sub_nc_u32_e32 v19, v19, v84
	v_add_nc_u64_e32 v[12:13], v[12:13], v[114:115]
	s_clause 0x1f
	flat_load_u8 v0, v[22:23] th:TH_LOAD_NT
	flat_load_u8 v24, v[22:23] offset:32 th:TH_LOAD_NT
	flat_load_u8 v25, v[22:23] offset:64 th:TH_LOAD_NT
	;; [unrolled: 1-line block ×31, first 2 shown]
	s_wait_xcnt 0x0
	v_add_nc_u64_e32 v[22:23], v[16:17], v[14:15]
	v_add_nc_u64_e32 v[14:15], v[14:15], v[114:115]
	v_cmp_gt_i32_e32 vcc_lo, 1, v19
	s_wait_loadcnt_dscnt 0x1f1f
	flat_store_b8 v[22:23], v0 th:TH_STORE_NT
	s_wait_loadcnt_dscnt 0x1e1f
	flat_store_b8 v[22:23], v24 offset:32 th:TH_STORE_NT
	s_wait_loadcnt_dscnt 0x1d1f
	flat_store_b8 v[22:23], v25 offset:64 th:TH_STORE_NT
	s_wait_loadcnt_dscnt 0x1c1f
	flat_store_b8 v[22:23], v26 offset:96 th:TH_STORE_NT
	s_wait_loadcnt_dscnt 0x1b1f
	flat_store_b8 v[22:23], v27 offset:128 th:TH_STORE_NT
	s_wait_loadcnt_dscnt 0x1a1f
	flat_store_b8 v[22:23], v28 offset:160 th:TH_STORE_NT
	s_wait_loadcnt_dscnt 0x191f
	flat_store_b8 v[22:23], v29 offset:192 th:TH_STORE_NT
	s_wait_loadcnt_dscnt 0x181f
	flat_store_b8 v[22:23], v31 offset:224 th:TH_STORE_NT
	s_wait_loadcnt_dscnt 0x171f
	flat_store_b8 v[22:23], v32 offset:256 th:TH_STORE_NT
	s_wait_loadcnt_dscnt 0x161f
	flat_store_b8 v[22:23], v33 offset:288 th:TH_STORE_NT
	s_wait_loadcnt_dscnt 0x151f
	flat_store_b8 v[22:23], v34 offset:320 th:TH_STORE_NT
	s_wait_loadcnt_dscnt 0x141f
	flat_store_b8 v[22:23], v35 offset:352 th:TH_STORE_NT
	s_wait_loadcnt_dscnt 0x131f
	flat_store_b8 v[22:23], v36 offset:384 th:TH_STORE_NT
	s_wait_loadcnt_dscnt 0x121f
	flat_store_b8 v[22:23], v37 offset:416 th:TH_STORE_NT
	s_wait_loadcnt_dscnt 0x111f
	flat_store_b8 v[22:23], v38 offset:448 th:TH_STORE_NT
	s_wait_loadcnt_dscnt 0x101f
	flat_store_b8 v[22:23], v39 offset:480 th:TH_STORE_NT
	s_wait_loadcnt_dscnt 0xf1f
	flat_store_b8 v[22:23], v48 offset:512 th:TH_STORE_NT
	s_wait_loadcnt_dscnt 0xe1f
	flat_store_b8 v[22:23], v49 offset:544 th:TH_STORE_NT
	s_wait_loadcnt_dscnt 0xd1f
	flat_store_b8 v[22:23], v50 offset:576 th:TH_STORE_NT
	s_wait_loadcnt_dscnt 0xc1f
	flat_store_b8 v[22:23], v51 offset:608 th:TH_STORE_NT
	s_wait_loadcnt_dscnt 0xb1f
	flat_store_b8 v[22:23], v52 offset:640 th:TH_STORE_NT
	s_wait_loadcnt_dscnt 0xa1f
	flat_store_b8 v[22:23], v53 offset:672 th:TH_STORE_NT
	s_wait_loadcnt_dscnt 0x91f
	flat_store_b8 v[22:23], v54 offset:704 th:TH_STORE_NT
	s_wait_loadcnt_dscnt 0x81f
	flat_store_b8 v[22:23], v55 offset:736 th:TH_STORE_NT
	s_wait_loadcnt_dscnt 0x71f
	flat_store_b8 v[22:23], v66 offset:768 th:TH_STORE_NT
	s_wait_loadcnt_dscnt 0x61f
	flat_store_b8 v[22:23], v67 offset:800 th:TH_STORE_NT
	s_wait_loadcnt_dscnt 0x51f
	flat_store_b8 v[22:23], v96 offset:832 th:TH_STORE_NT
	s_wait_loadcnt_dscnt 0x41f
	flat_store_b8 v[22:23], v97 offset:864 th:TH_STORE_NT
	s_wait_loadcnt_dscnt 0x31f
	flat_store_b8 v[22:23], v98 offset:896 th:TH_STORE_NT
	s_wait_loadcnt_dscnt 0x21f
	flat_store_b8 v[22:23], v99 offset:928 th:TH_STORE_NT
	s_wait_loadcnt_dscnt 0x11f
	flat_store_b8 v[22:23], v100 offset:960 th:TH_STORE_NT
	s_wait_loadcnt_dscnt 0x1f
	flat_store_b8 v[22:23], v101 offset:992 th:TH_STORE_NT
	s_or_b32 s45, vcc_lo, s45
	s_wait_xcnt 0x0
	s_and_not1_b32 exec_lo, exec_lo, s45
	s_cbranch_execnz .LBB6_12107
; %bb.12108:                            ;   in Loop: Header=BB6_12017 Depth=2
	s_or_b32 exec_lo, exec_lo, s45
.LBB6_12109:                            ;   in Loop: Header=BB6_12017 Depth=2
	s_delay_alu instid0(SALU_CYCLE_1) | instskip(SKIP_1) | instid1(VALU_DEP_1)
	s_or_b32 exec_lo, exec_lo, s44
	v_lshlrev_b32_e32 v0, 10, v21
	v_cmp_ne_u32_e32 vcc_lo, v9, v0
	s_and_b32 exec_lo, exec_lo, vcc_lo
	s_cbranch_execz .LBB6_12113
; %bb.12110:                            ;   in Loop: Header=BB6_12017 Depth=2
	v_dual_add_nc_u32 v12, v18, v20 :: v_dual_lshlrev_b32 v13, 5, v19
	s_delay_alu instid0(VALU_DEP_1) | instskip(NEXT) | instid1(VALU_DEP_1)
	v_and_b32_e32 v12, 0xffffffe0, v12
	v_sub_nc_u32_e32 v12, v18, v12
	s_delay_alu instid0(VALU_DEP_1) | instskip(NEXT) | instid1(VALU_DEP_1)
	v_sub_nc_u32_e32 v12, v12, v13
	v_add_nc_u32_e32 v14, v0, v12
	s_delay_alu instid0(VALU_DEP_1) | instskip(NEXT) | instid1(VALU_DEP_1)
	v_sub_nc_u32_e32 v0, v9, v14
	v_cmp_lt_i32_e32 vcc_lo, 0, v0
	s_and_b32 exec_lo, exec_lo, vcc_lo
	s_cbranch_execz .LBB6_12113
; %bb.12111:                            ;   in Loop: Header=BB6_12017 Depth=2
	s_trap 2
	ds_load_b64 v[12:13], v0
	v_add_nc_u32_e32 v14, v14, v5
	s_mov_b32 s44, 0
	s_delay_alu instid0(VALU_DEP_1)
	v_ashrrev_i32_e32 v15, 31, v14
.LBB6_12112:                            ;   Parent Loop BB6_47 Depth=1
                                        ;     Parent Loop BB6_12017 Depth=2
                                        ; =>    This Inner Loop Header: Depth=3
	s_wait_dscnt 0x0
	s_delay_alu instid0(VALU_DEP_1) | instskip(SKIP_2) | instid1(VALU_DEP_2)
	v_add_nc_u64_e32 v[16:17], v[12:13], v[14:15]
	v_sub_nc_u32_e32 v0, v0, v86
	v_add_nc_u64_e32 v[14:15], v[14:15], v[86:87]
	v_cmp_gt_i32_e32 vcc_lo, 1, v0
	flat_load_u8 v5, v[16:17] th:TH_LOAD_NT
	s_or_b32 s44, vcc_lo, s44
	s_wait_loadcnt_dscnt 0x0
	flat_store_b8 v[16:17], v5 th:TH_STORE_NT
	s_wait_xcnt 0x0
	s_and_not1_b32 exec_lo, exec_lo, s44
	s_cbranch_execnz .LBB6_12112
.LBB6_12113:                            ;   in Loop: Header=BB6_12017 Depth=2
	s_or_b32 exec_lo, exec_lo, s13
	v_cmp_lt_i32_e64 s13, 0, v2
	s_and_saveexec_b32 s44, s2
	s_cbranch_execz .LBB6_12088
.LBB6_12114:                            ;   in Loop: Header=BB6_12017 Depth=2
	s_and_saveexec_b32 s45, s3
	s_delay_alu instid0(SALU_CYCLE_1)
	s_xor_b32 s45, exec_lo, s45
	s_cbranch_execz .LBB6_12129
; %bb.12115:                            ;   in Loop: Header=BB6_12017 Depth=2
	s_and_saveexec_b32 s72, s6
	s_cbranch_execz .LBB6_12128
; %bb.12116:                            ;   in Loop: Header=BB6_12017 Depth=2
	s_mov_b32 s74, exec_lo
	s_mov_b32 s73, exec_lo
	v_mbcnt_lo_u32_b32 v0, s74, 0
	global_wb scope:SCOPE_DEV
	s_wait_storecnt 0x0
	s_wait_loadcnt_dscnt 0x0
	global_inv scope:SCOPE_DEV
	v_cmpx_eq_u32_e32 0, v0
	s_cbranch_execz .LBB6_12118
; %bb.12117:                            ;   in Loop: Header=BB6_12017 Depth=2
	s_bcnt1_i32_b32 s74, s74
	s_delay_alu instid0(SALU_CYCLE_1)
	v_mov_b32_e32 v2, s74
	s_wait_loadcnt 0x0
	ds_add_u64 v0, v[2:3]
	s_trap 2
.LBB6_12118:                            ;   in Loop: Header=BB6_12017 Depth=2
	s_or_b32 exec_lo, exec_lo, s73
	s_trap 2
	ds_load_b64 v[12:13], v0
	s_wait_dscnt 0x0
	v_add_nc_u64_e32 v[80:81], v[80:81], v[84:85]
	s_mov_b32 s73, exec_lo
	s_delay_alu instid0(VALU_DEP_1)
	v_cmpx_lt_u64_e64 v[12:13], v[80:81]
	s_cbranch_execz .LBB6_12127
; %bb.12119:                            ;   in Loop: Header=BB6_12017 Depth=2
	s_mov_b32 s74, 0
	s_mov_b32 s77, 0
                                        ; implicit-def: $sgpr75
                                        ; implicit-def: $sgpr76
	s_branch .LBB6_12121
.LBB6_12120:                            ;   in Loop: Header=BB6_12121 Depth=3
	s_or_b32 exec_lo, exec_lo, s79
	s_delay_alu instid0(SALU_CYCLE_1) | instskip(NEXT) | instid1(SALU_CYCLE_1)
	s_and_b32 s78, exec_lo, s88
	s_or_b32 s74, s78, s74
	s_and_not1_b32 s75, s75, exec_lo
	s_and_b32 s78, s76, exec_lo
	s_delay_alu instid0(SALU_CYCLE_1)
	s_or_b32 s75, s75, s78
	s_and_not1_b32 exec_lo, exec_lo, s74
	s_cbranch_execz .LBB6_12125
.LBB6_12121:                            ;   Parent Loop BB6_47 Depth=1
                                        ;     Parent Loop BB6_12017 Depth=2
                                        ; =>    This Inner Loop Header: Depth=3
	s_add_co_i32 s77, s77, 1
	s_delay_alu instid0(SALU_CYCLE_1) | instskip(SKIP_1) | instid1(SALU_CYCLE_1)
	s_cmp_lg_u32 s77, 0x2710
	s_cselect_b32 s78, -1, 0
	s_and_b32 vcc_lo, exec_lo, s78
	s_cbranch_vccz .LBB6_12123
; %bb.12122:                            ;   in Loop: Header=BB6_12121 Depth=3
	s_mov_b32 s88, -1
	s_or_b32 s76, s76, exec_lo
	s_and_saveexec_b32 s79, s78
	s_cbranch_execz .LBB6_12120
	s_branch .LBB6_12124
.LBB6_12123:                            ;   in Loop: Header=BB6_12121 Depth=3
	s_trap 2
	ds_load_b64 v[12:13], v0
	s_and_not1_b32 s78, s78, exec_lo
	s_mov_b32 s77, 0
	s_wait_loadcnt_dscnt 0x0
	flat_load_b32 v0, v[12:13] scope:SCOPE_SYS
	s_wait_loadcnt_dscnt 0x0
	global_inv scope:SCOPE_SYS
	v_cmp_eq_u32_e32 vcc_lo, 0, v0
	s_and_b32 s79, vcc_lo, exec_lo
	s_delay_alu instid0(SALU_CYCLE_1)
	s_or_b32 s78, s78, s79
	s_mov_b32 s88, -1
	s_or_b32 s76, s76, exec_lo
	s_and_saveexec_b32 s79, s78
	s_cbranch_execz .LBB6_12120
.LBB6_12124:                            ;   in Loop: Header=BB6_12121 Depth=3
	s_sleep 1
	s_trap 2
	ds_load_b64 v[12:13], v0
	s_wait_dscnt 0x0
	s_and_not1_b32 s76, s76, exec_lo
	v_cmp_ge_u64_e32 vcc_lo, v[12:13], v[80:81]
	s_or_not1_b32 s88, vcc_lo, exec_lo
	s_branch .LBB6_12120
.LBB6_12125:                            ;   in Loop: Header=BB6_12017 Depth=2
	s_or_b32 exec_lo, exec_lo, s74
	s_and_saveexec_b32 s74, s75
	s_delay_alu instid0(SALU_CYCLE_1)
	s_xor_b32 s74, exec_lo, s74
	s_cbranch_execz .LBB6_12127
; %bb.12126:                            ;   in Loop: Header=BB6_12017 Depth=2
	ds_store_b32 v0, v43
	s_trap 2
.LBB6_12127:                            ;   in Loop: Header=BB6_12017 Depth=2
	s_or_b32 exec_lo, exec_lo, s73
	;;#ASMSTART
	s_wakeup
	;;#ASMEND
.LBB6_12128:                            ;   in Loop: Header=BB6_12017 Depth=2
	s_or_b32 exec_lo, exec_lo, s72
.LBB6_12129:                            ;   in Loop: Header=BB6_12017 Depth=2
	s_and_not1_saveexec_b32 s45, s45
	s_cbranch_execz .LBB6_12131
; %bb.12130:                            ;   in Loop: Header=BB6_12017 Depth=2
	global_wb scope:SCOPE_DEV
	s_wait_storecnt 0x0
	s_wait_loadcnt_dscnt 0x0
	global_inv scope:SCOPE_DEV
	s_barrier_signal -1
	s_barrier_wait -1
.LBB6_12131:                            ;   in Loop: Header=BB6_12017 Depth=2
	s_or_b32 exec_lo, exec_lo, s45
	s_delay_alu instid0(SALU_CYCLE_1) | instskip(SKIP_1) | instid1(SALU_CYCLE_1)
	s_or_b32 exec_lo, exec_lo, s44
	s_and_saveexec_b32 s44, s10
	s_xor_b32 s44, exec_lo, s44
	s_cbranch_execnz .LBB6_12089
.LBB6_12132:                            ;   in Loop: Header=BB6_12017 Depth=2
	s_and_not1_saveexec_b32 s13, s44
	s_cbranch_execz .LBB6_12151
.LBB6_12133:                            ;   in Loop: Header=BB6_12017 Depth=2
	s_and_saveexec_b32 s44, s3
	s_delay_alu instid0(SALU_CYCLE_1)
	s_xor_b32 s44, exec_lo, s44
	s_cbranch_execz .LBB6_12148
; %bb.12134:                            ;   in Loop: Header=BB6_12017 Depth=2
	s_and_saveexec_b32 s45, s6
	s_cbranch_execz .LBB6_12147
; %bb.12135:                            ;   in Loop: Header=BB6_12017 Depth=2
	s_mov_b32 s73, exec_lo
	s_mov_b32 s72, exec_lo
	v_mbcnt_lo_u32_b32 v0, s73, 0
	;;#ASMSTART
	s_waitcnt lgkmcnt(0) vmcnt(0)
	;;#ASMEND
	s_delay_alu instid0(VALU_DEP_1)
	v_cmpx_eq_u32_e32 0, v0
	s_cbranch_execz .LBB6_12137
; %bb.12136:                            ;   in Loop: Header=BB6_12017 Depth=2
	s_bcnt1_i32_b32 s73, s73
	s_delay_alu instid0(SALU_CYCLE_1)
	v_mov_b32_e32 v2, s73
	s_wait_storecnt 0x0
	s_wait_loadcnt_dscnt 0x0
	ds_add_u64 v0, v[2:3]
	s_trap 2
.LBB6_12137:                            ;   in Loop: Header=BB6_12017 Depth=2
	s_or_b32 exec_lo, exec_lo, s72
	s_trap 2
	ds_load_b64 v[12:13], v0
	s_wait_dscnt 0x0
	v_add_nc_u64_e32 v[80:81], v[80:81], v[84:85]
	s_mov_b32 s72, exec_lo
	s_delay_alu instid0(VALU_DEP_1)
	v_cmpx_lt_u64_e64 v[12:13], v[80:81]
	s_cbranch_execz .LBB6_12146
; %bb.12138:                            ;   in Loop: Header=BB6_12017 Depth=2
	s_mov_b32 s73, 0
	s_mov_b32 s76, 0
                                        ; implicit-def: $sgpr74
                                        ; implicit-def: $sgpr75
	s_branch .LBB6_12140
.LBB6_12139:                            ;   in Loop: Header=BB6_12140 Depth=3
	s_or_b32 exec_lo, exec_lo, s78
	s_delay_alu instid0(SALU_CYCLE_1) | instskip(NEXT) | instid1(SALU_CYCLE_1)
	s_and_b32 s77, exec_lo, s79
	s_or_b32 s73, s77, s73
	s_and_not1_b32 s74, s74, exec_lo
	s_and_b32 s77, s75, exec_lo
	s_delay_alu instid0(SALU_CYCLE_1)
	s_or_b32 s74, s74, s77
	s_and_not1_b32 exec_lo, exec_lo, s73
	s_cbranch_execz .LBB6_12144
.LBB6_12140:                            ;   Parent Loop BB6_47 Depth=1
                                        ;     Parent Loop BB6_12017 Depth=2
                                        ; =>    This Inner Loop Header: Depth=3
	s_add_co_i32 s76, s76, 1
	s_delay_alu instid0(SALU_CYCLE_1) | instskip(SKIP_1) | instid1(SALU_CYCLE_1)
	s_cmp_lg_u32 s76, 0x2710
	s_cselect_b32 s77, -1, 0
	s_and_b32 vcc_lo, exec_lo, s77
	s_cbranch_vccz .LBB6_12142
; %bb.12141:                            ;   in Loop: Header=BB6_12140 Depth=3
	s_mov_b32 s79, -1
	s_or_b32 s75, s75, exec_lo
	s_and_saveexec_b32 s78, s77
	s_cbranch_execz .LBB6_12139
	s_branch .LBB6_12143
.LBB6_12142:                            ;   in Loop: Header=BB6_12140 Depth=3
	s_trap 2
	ds_load_b64 v[12:13], v0
	s_and_not1_b32 s77, s77, exec_lo
	s_mov_b32 s76, 0
	s_wait_storecnt 0x0
	s_wait_loadcnt_dscnt 0x0
	flat_load_b32 v0, v[12:13] scope:SCOPE_SYS
	s_wait_loadcnt_dscnt 0x0
	global_inv scope:SCOPE_SYS
	v_cmp_eq_u32_e32 vcc_lo, 0, v0
	s_and_b32 s78, vcc_lo, exec_lo
	s_delay_alu instid0(SALU_CYCLE_1)
	s_or_b32 s77, s77, s78
	s_mov_b32 s79, -1
	s_or_b32 s75, s75, exec_lo
	s_and_saveexec_b32 s78, s77
	s_cbranch_execz .LBB6_12139
.LBB6_12143:                            ;   in Loop: Header=BB6_12140 Depth=3
	s_sleep 1
	s_trap 2
	ds_load_b64 v[12:13], v0
	s_wait_dscnt 0x0
	s_and_not1_b32 s75, s75, exec_lo
	v_cmp_ge_u64_e32 vcc_lo, v[12:13], v[80:81]
	s_or_not1_b32 s79, vcc_lo, exec_lo
	s_branch .LBB6_12139
.LBB6_12144:                            ;   in Loop: Header=BB6_12017 Depth=2
	s_or_b32 exec_lo, exec_lo, s73
	s_and_saveexec_b32 s73, s74
	s_delay_alu instid0(SALU_CYCLE_1)
	s_xor_b32 s73, exec_lo, s73
	s_cbranch_execz .LBB6_12146
; %bb.12145:                            ;   in Loop: Header=BB6_12017 Depth=2
	ds_store_b32 v0, v43
	s_trap 2
.LBB6_12146:                            ;   in Loop: Header=BB6_12017 Depth=2
	s_or_b32 exec_lo, exec_lo, s72
	;;#ASMSTART
	s_wakeup
	;;#ASMEND
.LBB6_12147:                            ;   in Loop: Header=BB6_12017 Depth=2
	s_or_b32 exec_lo, exec_lo, s45
.LBB6_12148:                            ;   in Loop: Header=BB6_12017 Depth=2
	s_and_not1_saveexec_b32 s44, s44
	s_cbranch_execz .LBB6_12150
; %bb.12149:                            ;   in Loop: Header=BB6_12017 Depth=2
	;;#ASMSTART
	s_waitcnt lgkmcnt(0) vmcnt(0)
	;;#ASMEND
	s_barrier_signal -1
	s_barrier_wait -1
.LBB6_12150:                            ;   in Loop: Header=BB6_12017 Depth=2
	s_or_b32 exec_lo, exec_lo, s44
.LBB6_12151:                            ;   in Loop: Header=BB6_12017 Depth=2
	s_delay_alu instid0(SALU_CYCLE_1) | instskip(SKIP_2) | instid1(VALU_DEP_1)
	s_or_b32 exec_lo, exec_lo, s13
	v_and_b32_e32 v0, 32, v30
	s_mov_b32 s13, exec_lo
	v_cmpx_ne_u32_e32 0, v0
	s_cbranch_execz .LBB6_12016
; %bb.12152:                            ;   in Loop: Header=BB6_12017 Depth=2
	v_add_nc_u64_e32 v[60:61], 2, v[60:61]
	global_wb scope:SCOPE_SYS
	s_wait_storecnt 0x0
	s_wait_loadcnt_dscnt 0x0
	flat_store_b64 v[64:65], v[60:61] scope:SCOPE_SYS
	s_branch .LBB6_12016
.LBB6_12153:                            ;   in Loop: Header=BB6_47 Depth=1
	s_or_b32 exec_lo, exec_lo, s15
.LBB6_12154:                            ;   in Loop: Header=BB6_47 Depth=1
	s_delay_alu instid0(SALU_CYCLE_1) | instskip(NEXT) | instid1(SALU_CYCLE_1)
	s_or_b32 exec_lo, exec_lo, s14
	s_mov_b32 s14, exec_lo
	v_cmpx_gt_i32_e32 2, v0
	s_cbranch_execnz .LBB6_12155
; %bb.12287:                            ;   in Loop: Header=BB6_47 Depth=1
	s_add_pc_i64 .LBB6_46-.Lpost_addpc33
.Lpost_addpc33:
.LBB6_12155:                            ;   in Loop: Header=BB6_47 Depth=1
	v_cmp_eq_u32_e64 s18, 0, v0
	s_mov_b32 s15, 0
	s_branch .LBB6_12157
.LBB6_12156:                            ;   in Loop: Header=BB6_12157 Depth=2
	s_wait_xcnt 0x0
	s_or_b32 exec_lo, exec_lo, s13
	v_add_nc_u32_e32 v8, v4, v8
	s_mov_b32 s18, 0
	s_and_not1_b32 exec_lo, exec_lo, s15
	s_cbranch_execnz .LBB6_12157
; %bb.12289:                            ;   in Loop: Header=BB6_47 Depth=1
	s_add_pc_i64 .LBB6_45-.Lpost_addpc34
.Lpost_addpc34:
.LBB6_12157:                            ;   Parent Loop BB6_47 Depth=1
                                        ; =>  This Loop Header: Depth=2
                                        ;       Child Loop BB6_12163 Depth 3
                                        ;       Child Loop BB6_12187 Depth 3
	;; [unrolled: 1-line block ×3, first 2 shown]
	v_and_b32_e32 v0, 4, v30
	s_mov_b32 s41, exec_lo
	s_delay_alu instid0(VALU_DEP_1)
	v_cmpx_ne_u32_e32 0, v0
	s_cbranch_execz .LBB6_12179
; %bb.12158:                            ;   in Loop: Header=BB6_12157 Depth=2
	v_add_nc_u64_e32 v[10:11], 2, v[60:61]
	s_mov_b32 s44, exec_lo
	s_wait_loadcnt_dscnt 0x1
	s_delay_alu instid0(VALU_DEP_1)
	v_cmpx_lt_u64_e64 v[82:83], v[10:11]
	s_cbranch_execz .LBB6_12170
; %bb.12159:                            ;   in Loop: Header=BB6_12157 Depth=2
	v_and_b32_e32 v0, 64, v30
	s_mov_b32 s45, 0
	s_mov_b32 s75, 0
                                        ; implicit-def: $sgpr72
                                        ; implicit-def: $sgpr73
                                        ; implicit-def: $sgpr74
	s_delay_alu instid0(VALU_DEP_1)
	v_cmp_eq_u32_e32 vcc_lo, 0, v0
	s_branch .LBB6_12163
.LBB6_12160:                            ;   in Loop: Header=BB6_12163 Depth=3
	s_wait_loadcnt_dscnt 0x0
	v_cmp_ge_u64_e64 s13, v[82:83], v[10:11]
	s_or_b32 s78, s78, exec_lo
	s_or_not1_b32 s77, s13, exec_lo
.LBB6_12161:                            ;   in Loop: Header=BB6_12163 Depth=3
	s_or_b32 exec_lo, exec_lo, s88
	s_delay_alu instid0(SALU_CYCLE_1)
	s_and_not1_b32 s13, s74, exec_lo
	s_and_b32 s74, s78, exec_lo
	s_and_not1_b32 s73, s73, exec_lo
	s_and_b32 s77, s77, exec_lo
	s_or_b32 s74, s13, s74
	s_or_b32 s73, s73, s77
.LBB6_12162:                            ;   in Loop: Header=BB6_12163 Depth=3
	s_or_b32 exec_lo, exec_lo, s76
	s_delay_alu instid0(SALU_CYCLE_1) | instskip(NEXT) | instid1(SALU_CYCLE_1)
	s_and_b32 s13, exec_lo, s73
	s_or_b32 s45, s13, s45
	s_and_not1_b32 s13, s72, exec_lo
	s_and_b32 s72, s74, exec_lo
	s_delay_alu instid0(SALU_CYCLE_1)
	s_or_b32 s72, s13, s72
	s_and_not1_b32 exec_lo, exec_lo, s45
	s_cbranch_execz .LBB6_12167
.LBB6_12163:                            ;   Parent Loop BB6_47 Depth=1
                                        ;     Parent Loop BB6_12157 Depth=2
                                        ; =>    This Inner Loop Header: Depth=3
	s_sleep 1
	s_wait_loadcnt_dscnt 0x0
	flat_load_b64 v[82:83], v[64:65] scope:SCOPE_SYS
	s_or_b32 s74, s74, exec_lo
	s_or_b32 s73, s73, exec_lo
                                        ; implicit-def: $vgpr2
	s_wait_xcnt 0x0
	s_and_saveexec_b32 s76, vcc_lo
	s_cbranch_execz .LBB6_12162
; %bb.12164:                            ;   in Loop: Header=BB6_12163 Depth=3
	s_cmp_lt_i32 s75, 0x270f
	s_mov_b32 s77, -1
	s_cselect_b32 s79, -1, 0
	s_cmp_gt_i32 s75, 0x270e
	s_cbranch_scc0 .LBB6_12166
; %bb.12165:                            ;   in Loop: Header=BB6_12163 Depth=3
	s_trap 2
	ds_load_b64 v[12:13], v0
	s_and_not1_b32 s75, s79, exec_lo
	s_mov_b32 s78, 0
	s_wait_storecnt 0x0
	s_wait_loadcnt_dscnt 0x0
	flat_load_b32 v2, v[12:13] scope:SCOPE_SYS
	s_wait_loadcnt_dscnt 0x0
	global_inv scope:SCOPE_SYS
	v_cmp_eq_u32_e64 s13, 0, v2
	s_and_b32 s13, s13, exec_lo
	s_delay_alu instid0(SALU_CYCLE_1)
	s_or_b32 s79, s75, s13
	s_mov_b32 s75, 0
	s_and_saveexec_b32 s88, s79
	s_cbranch_execz .LBB6_12161
	s_branch .LBB6_12160
.LBB6_12166:                            ;   in Loop: Header=BB6_12163 Depth=3
	s_add_co_i32 s75, s75, 1
	s_mov_b32 s78, -1
                                        ; implicit-def: $vgpr2
	s_and_saveexec_b32 s88, s79
	s_cbranch_execz .LBB6_12161
	s_branch .LBB6_12160
.LBB6_12167:                            ;   in Loop: Header=BB6_12157 Depth=2
	s_or_b32 exec_lo, exec_lo, s45
	s_xor_b32 s13, s72, -1
	s_delay_alu instid0(SALU_CYCLE_1) | instskip(NEXT) | instid1(SALU_CYCLE_1)
	s_and_saveexec_b32 s45, s13
	s_xor_b32 s13, exec_lo, s45
	s_cbranch_execz .LBB6_12169
; %bb.12168:                            ;   in Loop: Header=BB6_12157 Depth=2
	v_or_b32_e32 v30, 64, v30
	s_wait_storecnt 0x0
	s_wait_loadcnt_dscnt 0x0
	ds_store_b32 v0, v2
	s_trap 2
.LBB6_12169:                            ;   in Loop: Header=BB6_12157 Depth=2
	s_or_b32 exec_lo, exec_lo, s13
.LBB6_12170:                            ;   in Loop: Header=BB6_12157 Depth=2
	s_delay_alu instid0(SALU_CYCLE_1)
	s_or_b32 exec_lo, exec_lo, s44
	v_and_b32_e32 v0, 0x100, v30
	v_and_b32_e32 v2, 7, v60
	s_mov_b32 s13, -1
	s_mov_b32 s44, exec_lo
	;;#ASMSTART
	s_wakeup
	;;#ASMEND
                                        ; implicit-def: $vgpr12_vgpr13
	v_cmpx_ne_u32_e32 0, v0
	s_cbranch_execz .LBB6_12174
; %bb.12171:                            ;   in Loop: Header=BB6_12157 Depth=2
	v_mad_nc_u64_u32 v[14:15], v2, 24, v[6:7]
	s_mov_b32 s45, exec_lo
                                        ; implicit-def: $vgpr12_vgpr13
	flat_load_b32 v0, v[14:15]
	s_wait_loadcnt_dscnt 0x0
	v_cmp_ne_u32_e32 vcc_lo, 1, v0
	s_wait_xcnt 0x0
	v_cmpx_eq_u32_e32 1, v0
	s_cbranch_execz .LBB6_12173
; %bb.12172:                            ;   in Loop: Header=BB6_12157 Depth=2
	flat_load_b32 v12, v[14:15] offset:4 scope:SCOPE_SYS
	s_wait_loadcnt_dscnt 0x0
	v_ashrrev_i32_e32 v13, 31, v12
.LBB6_12173:                            ;   in Loop: Header=BB6_12157 Depth=2
	s_wait_xcnt 0x0
	s_or_b32 exec_lo, exec_lo, s45
	s_delay_alu instid0(SALU_CYCLE_1)
	s_or_not1_b32 s13, vcc_lo, exec_lo
.LBB6_12174:                            ;   in Loop: Header=BB6_12157 Depth=2
	s_or_b32 exec_lo, exec_lo, s44
	s_and_saveexec_b32 s44, s13
; %bb.12175:                            ;   in Loop: Header=BB6_12157 Depth=2
	v_mul_u64_e32 v[12:13], v[2:3], v[62:63]
; %bb.12176:                            ;   in Loop: Header=BB6_12157 Depth=2
	s_or_b32 exec_lo, exec_lo, s44
	s_delay_alu instid0(VALU_DEP_1)
	v_add_nc_u64_e32 v[12:13], v[68:69], v[12:13]
	v_and_b32_e32 v0, 0x2000, v30
	s_mov_b32 s13, exec_lo
	ds_store_b64 v0, v[12:13] offset:720
	v_cmpx_ne_u32_e32 0, v0
	s_cbranch_execz .LBB6_12178
; %bb.12177:                            ;   in Loop: Header=BB6_12157 Depth=2
	ds_load_b64 v[12:13], v0 offset:872
	s_wait_dscnt 0x0
	v_add_nc_u64_e32 v[12:13], 1, v[12:13]
	ds_store_b64 v0, v[12:13] offset:872
.LBB6_12178:                            ;   in Loop: Header=BB6_12157 Depth=2
	s_or_b32 exec_lo, exec_lo, s13
	v_mov_b64_e32 v[60:61], v[10:11]
.LBB6_12179:                            ;   in Loop: Header=BB6_12157 Depth=2
	s_or_b32 exec_lo, exec_lo, s41
	s_xor_b32 s13, s18, -1
	s_delay_alu instid0(SALU_CYCLE_1) | instskip(NEXT) | instid1(SALU_CYCLE_1)
	s_and_b32 s13, exec_lo, s13
	s_or_b32 s15, s13, s15
	s_and_saveexec_b32 s13, s2
	s_cbranch_execz .LBB6_12198
; %bb.12180:                            ;   in Loop: Header=BB6_12157 Depth=2
	s_and_saveexec_b32 s18, s3
	s_delay_alu instid0(SALU_CYCLE_1)
	s_xor_b32 s18, exec_lo, s18
	s_cbranch_execz .LBB6_12195
; %bb.12181:                            ;   in Loop: Header=BB6_12157 Depth=2
	s_and_saveexec_b32 s41, s6
	s_cbranch_execz .LBB6_12194
; %bb.12182:                            ;   in Loop: Header=BB6_12157 Depth=2
	s_mov_b32 s45, exec_lo
	s_mov_b32 s44, exec_lo
	v_mbcnt_lo_u32_b32 v0, s45, 0
	global_wb scope:SCOPE_DEV
	s_wait_storecnt 0x0
	s_wait_loadcnt_dscnt 0x0
	global_inv scope:SCOPE_DEV
	v_cmpx_eq_u32_e32 0, v0
	s_cbranch_execz .LBB6_12184
; %bb.12183:                            ;   in Loop: Header=BB6_12157 Depth=2
	s_bcnt1_i32_b32 s45, s45
	s_delay_alu instid0(SALU_CYCLE_1)
	v_mov_b32_e32 v2, s45
	s_wait_loadcnt 0x0
	ds_add_u64 v0, v[2:3]
	s_trap 2
.LBB6_12184:                            ;   in Loop: Header=BB6_12157 Depth=2
	s_or_b32 exec_lo, exec_lo, s44
	s_trap 2
	ds_load_b64 v[10:11], v0
	s_wait_dscnt 0x0
	v_add_nc_u64_e32 v[80:81], v[80:81], v[84:85]
	s_mov_b32 s44, exec_lo
	s_delay_alu instid0(VALU_DEP_1)
	v_cmpx_lt_u64_e64 v[10:11], v[80:81]
	s_cbranch_execz .LBB6_12193
; %bb.12185:                            ;   in Loop: Header=BB6_12157 Depth=2
	s_mov_b32 s45, 0
	s_mov_b32 s74, 0
                                        ; implicit-def: $sgpr72
                                        ; implicit-def: $sgpr73
	s_branch .LBB6_12187
.LBB6_12186:                            ;   in Loop: Header=BB6_12187 Depth=3
	s_or_b32 exec_lo, exec_lo, s76
	s_delay_alu instid0(SALU_CYCLE_1) | instskip(NEXT) | instid1(SALU_CYCLE_1)
	s_and_b32 s75, exec_lo, s77
	s_or_b32 s45, s75, s45
	s_and_not1_b32 s72, s72, exec_lo
	s_and_b32 s75, s73, exec_lo
	s_delay_alu instid0(SALU_CYCLE_1)
	s_or_b32 s72, s72, s75
	s_and_not1_b32 exec_lo, exec_lo, s45
	s_cbranch_execz .LBB6_12191
.LBB6_12187:                            ;   Parent Loop BB6_47 Depth=1
                                        ;     Parent Loop BB6_12157 Depth=2
                                        ; =>    This Inner Loop Header: Depth=3
	s_add_co_i32 s74, s74, 1
	s_delay_alu instid0(SALU_CYCLE_1) | instskip(SKIP_1) | instid1(SALU_CYCLE_1)
	s_cmp_lg_u32 s74, 0x2710
	s_cselect_b32 s75, -1, 0
	s_and_b32 vcc_lo, exec_lo, s75
	s_cbranch_vccz .LBB6_12189
; %bb.12188:                            ;   in Loop: Header=BB6_12187 Depth=3
	s_mov_b32 s77, -1
	s_or_b32 s73, s73, exec_lo
	s_and_saveexec_b32 s76, s75
	s_cbranch_execz .LBB6_12186
	s_branch .LBB6_12190
.LBB6_12189:                            ;   in Loop: Header=BB6_12187 Depth=3
	s_trap 2
	ds_load_b64 v[10:11], v0
	s_and_not1_b32 s75, s75, exec_lo
	s_mov_b32 s74, 0
	s_wait_loadcnt_dscnt 0x0
	flat_load_b32 v0, v[10:11] scope:SCOPE_SYS
	s_wait_loadcnt_dscnt 0x0
	global_inv scope:SCOPE_SYS
	v_cmp_eq_u32_e32 vcc_lo, 0, v0
	s_and_b32 s76, vcc_lo, exec_lo
	s_delay_alu instid0(SALU_CYCLE_1)
	s_or_b32 s75, s75, s76
	s_mov_b32 s77, -1
	s_or_b32 s73, s73, exec_lo
	s_and_saveexec_b32 s76, s75
	s_cbranch_execz .LBB6_12186
.LBB6_12190:                            ;   in Loop: Header=BB6_12187 Depth=3
	s_sleep 1
	s_trap 2
	ds_load_b64 v[10:11], v0
	s_wait_dscnt 0x0
	s_and_not1_b32 s73, s73, exec_lo
	v_cmp_ge_u64_e32 vcc_lo, v[10:11], v[80:81]
	s_or_not1_b32 s77, vcc_lo, exec_lo
	s_branch .LBB6_12186
.LBB6_12191:                            ;   in Loop: Header=BB6_12157 Depth=2
	s_or_b32 exec_lo, exec_lo, s45
	s_and_saveexec_b32 s45, s72
	s_delay_alu instid0(SALU_CYCLE_1)
	s_xor_b32 s45, exec_lo, s45
	s_cbranch_execz .LBB6_12193
; %bb.12192:                            ;   in Loop: Header=BB6_12157 Depth=2
	ds_store_b32 v0, v43
	s_trap 2
.LBB6_12193:                            ;   in Loop: Header=BB6_12157 Depth=2
	s_or_b32 exec_lo, exec_lo, s44
	;;#ASMSTART
	s_wakeup
	;;#ASMEND
.LBB6_12194:                            ;   in Loop: Header=BB6_12157 Depth=2
	s_or_b32 exec_lo, exec_lo, s41
.LBB6_12195:                            ;   in Loop: Header=BB6_12157 Depth=2
	s_and_not1_saveexec_b32 s18, s18
	s_cbranch_execz .LBB6_12197
; %bb.12196:                            ;   in Loop: Header=BB6_12157 Depth=2
	global_wb scope:SCOPE_DEV
	s_wait_storecnt 0x0
	s_wait_loadcnt_dscnt 0x0
	global_inv scope:SCOPE_DEV
	s_barrier_signal -1
	s_barrier_wait -1
.LBB6_12197:                            ;   in Loop: Header=BB6_12157 Depth=2
	s_or_b32 exec_lo, exec_lo, s18
.LBB6_12198:                            ;   in Loop: Header=BB6_12157 Depth=2
	s_delay_alu instid0(SALU_CYCLE_1) | instskip(SKIP_1) | instid1(VALU_DEP_1)
	s_or_b32 exec_lo, exec_lo, s13
	v_sub_nc_u32_e32 v0, v1, v8
	v_min_i32_e32 v4, v4, v0
	s_and_saveexec_b32 s13, s10
	s_delay_alu instid0(SALU_CYCLE_1)
	s_xor_b32 s18, exec_lo, s13
	s_cbranch_execz .LBB6_12202
; %bb.12199:                            ;   in Loop: Header=BB6_12157 Depth=2
	s_trap 2
	ds_load_b32 v0, v0
	v_cmp_lt_i32_e32 vcc_lo, 0, v4
	s_wait_dscnt 0x0
	v_readfirstlane_b32 s13, v0
	v_and_b32_e32 v0, 16, v30
	s_cmp_eq_u32 s13, 0
	s_delay_alu instid0(VALU_DEP_1) | instskip(SKIP_1) | instid1(SALU_CYCLE_1)
	v_cmp_ne_u32_e64 s13, 0, v0
	s_cselect_b32 s41, -1, 0
	s_and_b32 s41, vcc_lo, s41
	s_delay_alu instid0(SALU_CYCLE_1) | instskip(NEXT) | instid1(SALU_CYCLE_1)
	s_and_b32 s41, s13, s41
	s_and_saveexec_b32 s13, s41
	s_cbranch_execz .LBB6_12201
; %bb.12200:                            ;   in Loop: Header=BB6_12157 Depth=2
	global_wb scope:SCOPE_SYS
	s_wait_loadcnt 0x0
	s_wait_storecnt 0x0
	global_inv scope:SCOPE_SYS
.LBB6_12201:                            ;   in Loop: Header=BB6_12157 Depth=2
	s_or_b32 exec_lo, exec_lo, s13
.LBB6_12202:                            ;   in Loop: Header=BB6_12157 Depth=2
	s_and_not1_saveexec_b32 s13, s18
	s_cbranch_execz .LBB6_12221
; %bb.12203:                            ;   in Loop: Header=BB6_12157 Depth=2
	s_and_saveexec_b32 s18, s3
	s_delay_alu instid0(SALU_CYCLE_1)
	s_xor_b32 s18, exec_lo, s18
	s_cbranch_execz .LBB6_12218
; %bb.12204:                            ;   in Loop: Header=BB6_12157 Depth=2
	s_and_saveexec_b32 s41, s6
	s_cbranch_execz .LBB6_12217
; %bb.12205:                            ;   in Loop: Header=BB6_12157 Depth=2
	s_mov_b32 s45, exec_lo
	s_mov_b32 s44, exec_lo
	v_mbcnt_lo_u32_b32 v0, s45, 0
	;;#ASMSTART
	s_waitcnt lgkmcnt(0) vmcnt(0)
	;;#ASMEND
	s_delay_alu instid0(VALU_DEP_1)
	v_cmpx_eq_u32_e32 0, v0
	s_cbranch_execz .LBB6_12207
; %bb.12206:                            ;   in Loop: Header=BB6_12157 Depth=2
	s_bcnt1_i32_b32 s45, s45
	s_delay_alu instid0(SALU_CYCLE_1)
	v_mov_b32_e32 v2, s45
	s_wait_storecnt 0x0
	s_wait_loadcnt_dscnt 0x0
	ds_add_u64 v0, v[2:3]
	s_trap 2
.LBB6_12207:                            ;   in Loop: Header=BB6_12157 Depth=2
	s_or_b32 exec_lo, exec_lo, s44
	s_trap 2
	ds_load_b64 v[10:11], v0
	s_wait_dscnt 0x0
	v_add_nc_u64_e32 v[80:81], v[80:81], v[84:85]
	s_mov_b32 s44, exec_lo
	s_delay_alu instid0(VALU_DEP_1)
	v_cmpx_lt_u64_e64 v[10:11], v[80:81]
	s_cbranch_execz .LBB6_12216
; %bb.12208:                            ;   in Loop: Header=BB6_12157 Depth=2
	s_mov_b32 s45, 0
	s_mov_b32 s74, 0
                                        ; implicit-def: $sgpr72
                                        ; implicit-def: $sgpr73
	s_branch .LBB6_12210
.LBB6_12209:                            ;   in Loop: Header=BB6_12210 Depth=3
	s_or_b32 exec_lo, exec_lo, s76
	s_delay_alu instid0(SALU_CYCLE_1) | instskip(NEXT) | instid1(SALU_CYCLE_1)
	s_and_b32 s75, exec_lo, s77
	s_or_b32 s45, s75, s45
	s_and_not1_b32 s72, s72, exec_lo
	s_and_b32 s75, s73, exec_lo
	s_delay_alu instid0(SALU_CYCLE_1)
	s_or_b32 s72, s72, s75
	s_and_not1_b32 exec_lo, exec_lo, s45
	s_cbranch_execz .LBB6_12214
.LBB6_12210:                            ;   Parent Loop BB6_47 Depth=1
                                        ;     Parent Loop BB6_12157 Depth=2
                                        ; =>    This Inner Loop Header: Depth=3
	s_add_co_i32 s74, s74, 1
	s_delay_alu instid0(SALU_CYCLE_1) | instskip(SKIP_1) | instid1(SALU_CYCLE_1)
	s_cmp_lg_u32 s74, 0x2710
	s_cselect_b32 s75, -1, 0
	s_and_b32 vcc_lo, exec_lo, s75
	s_cbranch_vccz .LBB6_12212
; %bb.12211:                            ;   in Loop: Header=BB6_12210 Depth=3
	s_mov_b32 s77, -1
	s_or_b32 s73, s73, exec_lo
	s_and_saveexec_b32 s76, s75
	s_cbranch_execz .LBB6_12209
	s_branch .LBB6_12213
.LBB6_12212:                            ;   in Loop: Header=BB6_12210 Depth=3
	s_trap 2
	ds_load_b64 v[10:11], v0
	s_and_not1_b32 s75, s75, exec_lo
	s_mov_b32 s74, 0
	s_wait_storecnt 0x0
	s_wait_loadcnt_dscnt 0x0
	flat_load_b32 v0, v[10:11] scope:SCOPE_SYS
	s_wait_loadcnt_dscnt 0x0
	global_inv scope:SCOPE_SYS
	v_cmp_eq_u32_e32 vcc_lo, 0, v0
	s_and_b32 s76, vcc_lo, exec_lo
	s_delay_alu instid0(SALU_CYCLE_1)
	s_or_b32 s75, s75, s76
	s_mov_b32 s77, -1
	s_or_b32 s73, s73, exec_lo
	s_and_saveexec_b32 s76, s75
	s_cbranch_execz .LBB6_12209
.LBB6_12213:                            ;   in Loop: Header=BB6_12210 Depth=3
	s_sleep 1
	s_trap 2
	ds_load_b64 v[10:11], v0
	s_wait_dscnt 0x0
	s_and_not1_b32 s73, s73, exec_lo
	v_cmp_ge_u64_e32 vcc_lo, v[10:11], v[80:81]
	s_or_not1_b32 s77, vcc_lo, exec_lo
	s_branch .LBB6_12209
.LBB6_12214:                            ;   in Loop: Header=BB6_12157 Depth=2
	s_or_b32 exec_lo, exec_lo, s45
	s_and_saveexec_b32 s45, s72
	s_delay_alu instid0(SALU_CYCLE_1)
	s_xor_b32 s45, exec_lo, s45
	s_cbranch_execz .LBB6_12216
; %bb.12215:                            ;   in Loop: Header=BB6_12157 Depth=2
	ds_store_b32 v0, v43
	s_trap 2
.LBB6_12216:                            ;   in Loop: Header=BB6_12157 Depth=2
	s_or_b32 exec_lo, exec_lo, s44
	;;#ASMSTART
	s_wakeup
	;;#ASMEND
.LBB6_12217:                            ;   in Loop: Header=BB6_12157 Depth=2
	s_or_b32 exec_lo, exec_lo, s41
.LBB6_12218:                            ;   in Loop: Header=BB6_12157 Depth=2
	s_and_not1_saveexec_b32 s18, s18
	s_cbranch_execz .LBB6_12220
; %bb.12219:                            ;   in Loop: Header=BB6_12157 Depth=2
	;;#ASMSTART
	s_waitcnt lgkmcnt(0) vmcnt(0)
	;;#ASMEND
	s_barrier_signal -1
	s_barrier_wait -1
.LBB6_12220:                            ;   in Loop: Header=BB6_12157 Depth=2
	s_or_b32 exec_lo, exec_lo, s18
.LBB6_12221:                            ;   in Loop: Header=BB6_12157 Depth=2
	s_delay_alu instid0(SALU_CYCLE_1) | instskip(SKIP_2) | instid1(VALU_DEP_1)
	s_or_b32 exec_lo, exec_lo, s13
	v_and_b32_e32 v0, 32, v30
	s_mov_b32 s13, exec_lo
	v_cmpx_ne_u32_e32 0, v0
	s_cbranch_execz .LBB6_12156
; %bb.12222:                            ;   in Loop: Header=BB6_12157 Depth=2
	v_add_nc_u64_e32 v[60:61], 2, v[60:61]
	global_wb scope:SCOPE_SYS
	s_wait_storecnt 0x0
	s_wait_loadcnt_dscnt 0x0
	flat_store_b64 v[64:65], v[60:61] scope:SCOPE_SYS
	s_branch .LBB6_12156
.LBB6_12223:
	s_or_b32 exec_lo, exec_lo, s63
	s_clause 0x3
	scratch_load_b32 v1, off, s33 offset:316
	scratch_load_b32 v31, off, s33 offset:320
	scratch_load_b64 v[20:21], off, s33 offset:324
	scratch_load_b32 v8, off, s33 offset:332
.LBB6_12224:
	s_wait_xcnt 0x0
	s_or_b32 exec_lo, exec_lo, s47
	v_and_b32_e32 v0, 0x800, v30
	s_mov_b32 s1, exec_lo
	s_delay_alu instid0(VALU_DEP_1)
	v_cmpx_eq_u32_e32 0, v0
	s_cbranch_execz .LBB6_12257
; %bb.12225:
	v_and_b32_e32 v0, 48, v30
	s_mov_b32 s0, exec_lo
	s_delay_alu instid0(VALU_DEP_1)
	v_cmpx_ne_u32_e32 0, v0
	s_cbranch_execz .LBB6_12227
; %bb.12226:
	s_wait_loadcnt 0x1
	flat_store_b64 v[20:21], v[60:61] offset:104
.LBB6_12227:
	s_wait_xcnt 0x0
	s_or_b32 exec_lo, exec_lo, s0
	v_and_b32_e32 v0, 0x88, v30
	s_mov_b32 s2, exec_lo
	s_delay_alu instid0(VALU_DEP_1)
	v_cmpx_eq_u32_e32 0x88, v0
	s_cbranch_execz .LBB6_12237
; %bb.12228:
	v_dual_add_nc_u32 v0, 6, v60 :: v_dual_bitop2_b32 v4, 64, v30 bitop3:0x40
	s_mov_b32 s3, 0
	s_delay_alu instid0(VALU_DEP_1) | instskip(NEXT) | instid1(VALU_DEP_2)
	v_and_b32_e32 v0, 7, v0
	v_cmp_eq_u32_e64 s0, 0, v4
	s_delay_alu instid0(VALU_DEP_2)
	v_mad_nc_u64_u32 v[2:3], v0, 24, v[6:7]
	flat_load_b64 v[6:7], v[2:3] offset:8 scope:SCOPE_SYS
	s_wait_loadcnt_dscnt 0x0
	v_cmp_ne_u64_e32 vcc_lo, -1, v[6:7]
	s_and_b32 s0, vcc_lo, s0
	s_wait_xcnt 0x0
	s_and_b32 exec_lo, exec_lo, s0
	s_cbranch_execz .LBB6_12237
; %bb.12229:
	s_mov_b32 s5, 0
                                        ; implicit-def: $sgpr0
                                        ; implicit-def: $sgpr4
	s_branch .LBB6_12232
.LBB6_12230:                            ;   in Loop: Header=BB6_12232 Depth=1
	flat_load_b64 v[4:5], v[2:3] offset:8 scope:SCOPE_SYS
	s_wait_loadcnt 0x0
	s_and_not1_b32 s4, s4, exec_lo
	s_wait_dscnt 0x0
	v_cmp_eq_u64_e32 vcc_lo, -1, v[4:5]
	s_or_not1_b32 s7, vcc_lo, exec_lo
.LBB6_12231:                            ;   in Loop: Header=BB6_12232 Depth=1
	s_wait_xcnt 0x0
	s_or_b32 exec_lo, exec_lo, s10
	s_delay_alu instid0(SALU_CYCLE_1) | instskip(NEXT) | instid1(SALU_CYCLE_1)
	s_and_b32 s6, exec_lo, s7
	s_or_b32 s3, s6, s3
	s_and_not1_b32 s0, s0, exec_lo
	s_and_b32 s6, s4, exec_lo
	s_delay_alu instid0(SALU_CYCLE_1)
	s_or_b32 s0, s0, s6
	s_and_not1_b32 exec_lo, exec_lo, s3
	s_cbranch_execz .LBB6_12235
.LBB6_12232:                            ; =>This Inner Loop Header: Depth=1
	s_cmp_lt_i32 s5, 0x270f
	s_cselect_b32 s6, -1, 0
	s_delay_alu instid0(SALU_CYCLE_1)
	s_and_b32 vcc_lo, exec_lo, s6
	s_cbranch_vccnz .LBB6_12234
; %bb.12233:                            ;   in Loop: Header=BB6_12232 Depth=1
	s_trap 2
	ds_load_b64 v[4:5], v0
	s_and_not1_b32 s6, s6, exec_lo
	s_mov_b32 s5, 0
	s_wait_storecnt_dscnt 0x0
	flat_load_b32 v0, v[4:5] scope:SCOPE_SYS
	s_wait_loadcnt_dscnt 0x0
	global_inv scope:SCOPE_SYS
	v_cmp_eq_u32_e32 vcc_lo, 0, v0
	s_and_b32 s7, vcc_lo, exec_lo
	s_delay_alu instid0(SALU_CYCLE_1)
	s_or_b32 s6, s6, s7
	s_mov_b32 s7, -1
	s_or_b32 s4, s4, exec_lo
	s_wait_xcnt 0x0
	s_and_saveexec_b32 s10, s6
	s_cbranch_execz .LBB6_12231
	s_branch .LBB6_12230
.LBB6_12234:                            ;   in Loop: Header=BB6_12232 Depth=1
	s_add_co_i32 s5, s5, 1
                                        ; implicit-def: $vgpr0
	s_mov_b32 s7, -1
	s_or_b32 s4, s4, exec_lo
	s_and_saveexec_b32 s10, s6
	s_cbranch_execz .LBB6_12231
	s_branch .LBB6_12230
.LBB6_12235:
	s_or_b32 exec_lo, exec_lo, s3
	s_and_saveexec_b32 s3, s0
	s_delay_alu instid0(SALU_CYCLE_1)
	s_xor_b32 s3, exec_lo, s3
	s_cbranch_execz .LBB6_12237
; %bb.12236:
	s_wait_loadcnt 0x0
	s_wait_storecnt 0x0
	ds_store_b32 v0, v0
	s_trap 2
.LBB6_12237:
	s_or_b32 exec_lo, exec_lo, s2
	v_and_b32_e32 v0, 0x2000, v30
	s_mov_b32 s0, exec_lo
	s_delay_alu instid0(VALU_DEP_1)
	v_cmpx_ne_u32_e32 0, v0
	s_cbranch_execz .LBB6_12239
; %bb.12238:
	s_trap 2
	s_wait_dscnt 0x0
	scratch_load_b64 v[4:5], off, s33 offset:336 th:TH_LOAD_LU ; 8-byte Folded Reload
	ds_load_b64 v[2:3], v0
	s_wait_loadcnt_dscnt 0x0
	flat_store_b64 v[4:5], v[2:3] offset:16
.LBB6_12239:
	s_wait_xcnt 0x0
	s_or_b32 exec_lo, exec_lo, s0
	s_wait_loadcnt 0x3
	v_cmp_ne_u32_e32 vcc_lo, 32, v1
	s_and_b32 exec_lo, exec_lo, vcc_lo
	s_cbranch_execz .LBB6_12257
; %bb.12240:
	s_mov_b32 s0, exec_lo
	s_wait_loadcnt 0x0
	v_cmpx_ne_u32_e64 v1, v8
	s_xor_b32 s0, exec_lo, s0
	s_cbranch_execz .LBB6_12255
; %bb.12241:
	v_and_b32_e32 v0, 31, v31
	s_mov_b32 s2, exec_lo
	s_delay_alu instid0(VALU_DEP_1)
	v_cmpx_eq_u32_e32 0, v0
	s_cbranch_execz .LBB6_12254
; %bb.12242:
	s_mov_b32 s4, exec_lo
	s_mov_b32 s3, exec_lo
	v_mbcnt_lo_u32_b32 v0, s4, 0
	global_wb scope:SCOPE_DEV
	s_wait_storecnt_dscnt 0x0
	global_inv scope:SCOPE_DEV
	v_cmpx_eq_u32_e32 0, v0
	s_cbranch_execz .LBB6_12244
; %bb.12243:
	s_bcnt1_i32_b32 s4, s4
	s_delay_alu instid0(SALU_CYCLE_1)
	v_dual_mov_b32 v3, 0 :: v_dual_mov_b32 v2, s4
	s_wait_loadcnt 0x0
	ds_add_u64 v0, v[2:3]
	s_trap 2
.LBB6_12244:
	s_or_b32 exec_lo, exec_lo, s3
	s_trap 2
	ds_load_b64 v[2:3], v0
	s_wait_dscnt 0x0
	v_dual_mov_b32 v1, 0 :: v_dual_lshrrev_b32 v0, 5, v1
	s_mov_b32 s3, exec_lo
	s_delay_alu instid0(VALU_DEP_1) | instskip(NEXT) | instid1(VALU_DEP_1)
	v_add_nc_u64_e32 v[0:1], v[80:81], v[0:1]
	v_cmpx_lt_u64_e64 v[2:3], v[0:1]
	s_cbranch_execz .LBB6_12253
; %bb.12245:
	s_mov_b32 s4, 0
	s_mov_b32 s7, 0
                                        ; implicit-def: $sgpr5
                                        ; implicit-def: $sgpr6
	s_branch .LBB6_12247
.LBB6_12246:                            ;   in Loop: Header=BB6_12247 Depth=1
	s_or_b32 exec_lo, exec_lo, s11
	s_delay_alu instid0(SALU_CYCLE_1) | instskip(NEXT) | instid1(SALU_CYCLE_1)
	s_and_b32 s10, exec_lo, s12
	s_or_b32 s4, s10, s4
	s_and_not1_b32 s5, s5, exec_lo
	s_and_b32 s10, s6, exec_lo
	s_delay_alu instid0(SALU_CYCLE_1)
	s_or_b32 s5, s5, s10
	s_and_not1_b32 exec_lo, exec_lo, s4
	s_cbranch_execz .LBB6_12251
.LBB6_12247:                            ; =>This Inner Loop Header: Depth=1
	s_add_co_i32 s7, s7, 1
	s_delay_alu instid0(SALU_CYCLE_1) | instskip(SKIP_1) | instid1(SALU_CYCLE_1)
	s_cmp_lg_u32 s7, 0x2710
	s_cselect_b32 s10, -1, 0
	s_and_b32 vcc_lo, exec_lo, s10
	s_cbranch_vccz .LBB6_12249
; %bb.12248:                            ;   in Loop: Header=BB6_12247 Depth=1
	s_mov_b32 s12, -1
	s_or_b32 s6, s6, exec_lo
	s_and_saveexec_b32 s11, s10
	s_cbranch_execz .LBB6_12246
	s_branch .LBB6_12250
.LBB6_12249:                            ;   in Loop: Header=BB6_12247 Depth=1
	s_trap 2
	ds_load_b64 v[2:3], v0
	s_and_not1_b32 s10, s10, exec_lo
	s_mov_b32 s7, 0
	s_wait_loadcnt_dscnt 0x0
	flat_load_b32 v2, v[2:3] scope:SCOPE_SYS
	s_wait_loadcnt_dscnt 0x0
	global_inv scope:SCOPE_SYS
	v_cmp_eq_u32_e32 vcc_lo, 0, v2
	s_and_b32 s11, vcc_lo, exec_lo
	s_delay_alu instid0(SALU_CYCLE_1)
	s_or_b32 s10, s10, s11
	s_mov_b32 s12, -1
	s_or_b32 s6, s6, exec_lo
	s_and_saveexec_b32 s11, s10
	s_cbranch_execz .LBB6_12246
.LBB6_12250:                            ;   in Loop: Header=BB6_12247 Depth=1
	s_sleep 1
	s_trap 2
	ds_load_b64 v[2:3], v0
	s_wait_dscnt 0x0
	s_and_not1_b32 s6, s6, exec_lo
	v_cmp_ge_u64_e32 vcc_lo, v[2:3], v[0:1]
	s_or_not1_b32 s12, vcc_lo, exec_lo
	s_branch .LBB6_12246
.LBB6_12251:
	s_or_b32 exec_lo, exec_lo, s4
	s_and_saveexec_b32 s4, s5
	s_delay_alu instid0(SALU_CYCLE_1)
	s_xor_b32 s4, exec_lo, s4
	s_cbranch_execz .LBB6_12253
; %bb.12252:
	v_mov_b32_e32 v0, 1
	ds_store_b32 v0, v0
	s_trap 2
.LBB6_12253:
	s_or_b32 exec_lo, exec_lo, s3
	;;#ASMSTART
	s_wakeup
	;;#ASMEND
.LBB6_12254:
	s_or_b32 exec_lo, exec_lo, s2
.LBB6_12255:
	s_and_not1_saveexec_b32 s0, s0
	s_cbranch_execz .LBB6_12257
; %bb.12256:
	global_wb scope:SCOPE_DEV
	s_wait_storecnt 0x0
	s_wait_loadcnt_dscnt 0x0
	global_inv scope:SCOPE_DEV
	s_barrier_signal -1
	s_barrier_wait -1
.LBB6_12257:
	s_or_b32 exec_lo, exec_lo, s1
.LBB6_12258:
	s_and_not1_saveexec_b32 s21, s46
	s_cbranch_execz .LBB6_12260
; %bb.12259:
	s_get_pc_i64 s[0:1]
	s_add_nc_u64 s[0:1], s[0:1], __PRETTY_FUNCTION__._ZN10PrimitivesI14__hip_fp8_e4m37FuncSumIS0_E12FanSymmetricILi1EELi0E11ProtoSimpleILi2ELi2ELi0ELi4ELi0ELi0EELi0ELb0ELi0ELi0ELi0EEC2EiiPKiS9_PKvPvmhhhP15ncclDevWorkCollP14ncclDevWorkP2pii@rel64+4
	s_get_pc_i64 s[2:3]
	s_add_nc_u64 s[2:3], s[2:3], __assert_fail@rel64+4
	s_wait_loadcnt 0x3
	v_dual_mov_b32 v0, s0 :: v_dual_mov_b32 v1, s1
	s_swap_pc_i64 s[30:31], s[2:3]
	; divergent unreachable
.LBB6_12260:
	s_or_b32 exec_lo, exec_lo, s21
	s_clause 0x1f
	scratch_load_b32 v126, off, s33
	scratch_load_b32 v125, off, s33 offset:4
	scratch_load_b32 v124, off, s33 offset:8
	;; [unrolled: 1-line block ×31, first 2 shown]
	s_wait_dscnt 0x1
	s_clause 0x6
	scratch_load_b32 v62, off, s33 offset:128
	scratch_load_b32 v61, off, s33 offset:132
	;; [unrolled: 1-line block ×7, first 2 shown]
	s_wait_loadcnt 0x27
	s_clause 0x7
	scratch_load_b32 v47, off, s33 offset:156
	scratch_load_b32 v46, off, s33 offset:160
	scratch_load_b32 v45, off, s33 offset:164
	scratch_load_b32 v44, off, s33 offset:168
	scratch_load_b32 v43, off, s33 offset:172
	scratch_load_b32 v42, off, s33 offset:176
	scratch_load_b32 v41, off, s33 offset:180
	scratch_load_b32 v40, off, s33 offset:184
	v_readlane_b32 s30, v127, 0
	v_readlane_b32 s31, v127, 1
	s_mov_b32 s32, s33
	s_wait_xcnt 0x0
	s_or_saveexec_b32 s0, -1
	scratch_load_b32 v127, off, s33 offset:344 ; 4-byte Folded Reload
	s_wait_xcnt 0x0
	s_mov_b32 exec_lo, s0
	s_mov_b32 s33, s91
	s_wait_loadcnt_dscnt 0x0
	s_set_pc_i64 s[30:31]
.Lfunc_end6:
	.size	_ZN12_GLOBAL__N_17runRingI14__hip_fp8_e4m37FuncSumIS1_E11ProtoSimpleILi2ELi2ELi0ELi4ELi0ELi0EELi0ELi0ELi4ELi0EEEviiP15ncclDevWorkColl, .Lfunc_end6-_ZN12_GLOBAL__N_17runRingI14__hip_fp8_e4m37FuncSumIS1_E11ProtoSimpleILi2ELi2ELi0ELi4ELi0ELi0EELi0ELi0ELi4ELi0EEEviiP15ncclDevWorkColl
                                        ; -- End function
	.set .L_ZN12_GLOBAL__N_17runRingI14__hip_fp8_e4m37FuncSumIS1_E11ProtoSimpleILi2ELi2ELi0ELi4ELi0ELi0EELi0ELi0ELi4ELi0EEEviiP15ncclDevWorkColl.num_vgpr, max(128, .L__assert_fail.num_vgpr)
	.set .L_ZN12_GLOBAL__N_17runRingI14__hip_fp8_e4m37FuncSumIS1_E11ProtoSimpleILi2ELi2ELi0ELi4ELi0ELi0EELi0ELi0ELi4ELi0EEEviiP15ncclDevWorkColl.num_agpr, max(0, .L__assert_fail.num_agpr)
	.set .L_ZN12_GLOBAL__N_17runRingI14__hip_fp8_e4m37FuncSumIS1_E11ProtoSimpleILi2ELi2ELi0ELi4ELi0ELi0EELi0ELi0ELi4ELi0EEEviiP15ncclDevWorkColl.numbered_sgpr, max(92, .L__assert_fail.numbered_sgpr)
	.set .L_ZN12_GLOBAL__N_17runRingI14__hip_fp8_e4m37FuncSumIS1_E11ProtoSimpleILi2ELi2ELi0ELi4ELi0ELi0EELi0ELi0ELi4ELi0EEEviiP15ncclDevWorkColl.num_named_barrier, max(0, .L__assert_fail.num_named_barrier)
	.set .L_ZN12_GLOBAL__N_17runRingI14__hip_fp8_e4m37FuncSumIS1_E11ProtoSimpleILi2ELi2ELi0ELi4ELi0ELi0EELi0ELi0ELi4ELi0EEEviiP15ncclDevWorkColl.private_seg_size, 352+max(.L__assert_fail.private_seg_size)
	.set .L_ZN12_GLOBAL__N_17runRingI14__hip_fp8_e4m37FuncSumIS1_E11ProtoSimpleILi2ELi2ELi0ELi4ELi0ELi0EELi0ELi0ELi4ELi0EEEviiP15ncclDevWorkColl.uses_vcc, or(1, .L__assert_fail.uses_vcc)
	.set .L_ZN12_GLOBAL__N_17runRingI14__hip_fp8_e4m37FuncSumIS1_E11ProtoSimpleILi2ELi2ELi0ELi4ELi0ELi0EELi0ELi0ELi4ELi0EEEviiP15ncclDevWorkColl.uses_flat_scratch, or(1, .L__assert_fail.uses_flat_scratch)
	.set .L_ZN12_GLOBAL__N_17runRingI14__hip_fp8_e4m37FuncSumIS1_E11ProtoSimpleILi2ELi2ELi0ELi4ELi0ELi0EELi0ELi0ELi4ELi0EEEviiP15ncclDevWorkColl.has_dyn_sized_stack, or(0, .L__assert_fail.has_dyn_sized_stack)
	.set .L_ZN12_GLOBAL__N_17runRingI14__hip_fp8_e4m37FuncSumIS1_E11ProtoSimpleILi2ELi2ELi0ELi4ELi0ELi0EELi0ELi0ELi4ELi0EEEviiP15ncclDevWorkColl.has_recursion, or(1, .L__assert_fail.has_recursion)
	.set .L_ZN12_GLOBAL__N_17runRingI14__hip_fp8_e4m37FuncSumIS1_E11ProtoSimpleILi2ELi2ELi0ELi4ELi0ELi0EELi0ELi0ELi4ELi0EEEviiP15ncclDevWorkColl.has_indirect_call, or(0, .L__assert_fail.has_indirect_call)
	.section	.AMDGPU.csdata,"",@progbits
; Function info:
; codeLenInByte = 389776
; TotalNumSgprs: 94
; NumVgprs: 128
; ScratchSize: 416
; MemoryBound: 1
	.text
	.p2align	2                               ; -- Begin function _Z50ncclDevFunc_AllReduce_RING_SIMPLE_Sum_f8e4m3_0_0_4v
	.type	_Z50ncclDevFunc_AllReduce_RING_SIMPLE_Sum_f8e4m3_0_0_4v,@function
_Z50ncclDevFunc_AllReduce_RING_SIMPLE_Sum_f8e4m3_0_0_4v: ; @_Z50ncclDevFunc_AllReduce_RING_SIMPLE_Sum_f8e4m3_0_0_4v
; %bb.0:
	s_wait_loadcnt_dscnt 0x0
	s_wait_kmcnt 0x0
	s_mov_b32 s0, s33
	s_mov_b32 s33, s32
	s_or_saveexec_b32 s1, -1
	scratch_store_b32 off, v42, s33 offset:12 ; 4-byte Folded Spill
	s_wait_xcnt 0x0
	s_mov_b32 exec_lo, s1
	v_writelane_b32 v42, s0, 4
	s_add_co_i32 s32, s32, 32
	s_clause 0x2
	scratch_store_b32 off, v40, s33 offset:8
	; meta instruction
	scratch_store_b32 off, v41, s33 offset:4
	; meta instruction
	scratch_store_b32 off, v127, s33
	v_writelane_b32 v42, s34, 0
	v_writelane_b32 v42, s35, 1
	;; [unrolled: 1-line block ×4, first 2 shown]
	s_trap 2
	ds_load_b32 v0, v0
	s_wait_xcnt 0x2
	v_mov_b32_e32 v40, v31
	s_wait_dscnt 0x0
	v_cmp_gt_i32_e32 vcc_lo, 1, v0
	s_cbranch_vccnz .LBB7_8
; %bb.1:
	s_wait_xcnt 0x1
	v_and_b32_e32 v41, 0x3ff, v40
	s_mov_b32 s94, s12
	s_mov_b64 s[92:93], s[8:9]
	s_mov_b32 s95, 0
	s_get_pc_i64 s[34:35]
	s_add_nc_u64 s[34:35], s[34:35], _ZN12_GLOBAL__N_17runRingI14__hip_fp8_e4m37FuncSumIS1_E11ProtoSimpleILi2ELi2ELi0ELi4ELi0ELi0EELi0ELi0ELi4ELi0EEEviiP15ncclDevWorkColl@rel64+4
	s_branch .LBB7_3
.LBB7_2:                                ;   in Loop: Header=BB7_3 Depth=1
	s_or_b32 exec_lo, exec_lo, vcc_hi
	s_trap 2
	ds_load_b32 v0, v0
	s_add_co_i32 s95, s95, 1
	s_wait_dscnt 0x0
	v_cmp_lt_i32_e32 vcc_lo, s95, v0
	s_cbranch_vccz .LBB7_8
.LBB7_3:                                ; =>This Inner Loop Header: Depth=1
	s_trap 2
	ds_load_b32 v0, v0
	s_cmp_eq_u32 s95, 0
	s_cbranch_scc1 .LBB7_6
; %bb.4:                                ;   in Loop: Header=BB7_3 Depth=1
	s_trap 2
	s_wait_dscnt 0x0
	ds_load_b32 v1, v0
	s_wait_dscnt 0x0
	v_xor_b32_e32 v1, v1, v0
	s_delay_alu instid0(VALU_DEP_1) | instskip(NEXT) | instid1(VALU_DEP_1)
	v_and_b32_e32 v1, 0xff0000, v1
	v_cmp_eq_u32_e32 vcc_lo, 0, v1
	s_cbranch_vccnz .LBB7_6
; %bb.5:                                ;   in Loop: Header=BB7_3 Depth=1
	s_wait_storecnt 0x0
	s_barrier_signal -1
	s_barrier_wait -1
	ds_load_b32 v0, v0
.LBB7_6:                                ;   in Loop: Header=BB7_3 Depth=1
	s_wait_dscnt 0x0
	v_lshrrev_b32_e32 v0, 11, v0
	s_mov_b32 vcc_hi, exec_lo
	s_delay_alu instid0(VALU_DEP_1) | instskip(SKIP_1) | instid1(VALU_DEP_1)
	v_and_b32_e32 v1, 0x1fe0, v0
	s_wait_xcnt 0x0
	v_cmpx_lt_u32_e64 v41, v1
	s_cbranch_execz .LBB7_2
; %bb.7:                                ;   in Loop: Header=BB7_3 Depth=1
	s_mov_b64 s[0:1], src_shared_base
	v_dual_mov_b32 v31, v40 :: v_dual_mov_b32 v0, v41
	v_mov_b32_e32 v3, s1
	s_mov_b64 s[8:9], s[92:93]
	s_mov_b32 s12, s94
	s_swap_pc_i64 s[30:31], s[34:35]
	s_branch .LBB7_2
.LBB7_8:
	s_clause 0x2
	scratch_load_b32 v127, off, s33
	scratch_load_b32 v41, off, s33 offset:4
	scratch_load_b32 v40, off, s33 offset:8
	v_readlane_b32 s30, v42, 2
	v_readlane_b32 s31, v42, 3
	;; [unrolled: 1-line block ×4, first 2 shown]
	s_mov_b32 s32, s33
	v_readlane_b32 s0, v42, 4
	s_wait_xcnt 0x0
	s_or_saveexec_b32 s1, -1
	scratch_load_b32 v42, off, s33 offset:12 ; 4-byte Folded Reload
	s_wait_xcnt 0x0
	s_mov_b32 exec_lo, s1
	s_mov_b32 s33, s0
	s_wait_loadcnt 0x0
	s_set_pc_i64 s[30:31]
.Lfunc_end7:
	.size	_Z50ncclDevFunc_AllReduce_RING_SIMPLE_Sum_f8e4m3_0_0_4v, .Lfunc_end7-_Z50ncclDevFunc_AllReduce_RING_SIMPLE_Sum_f8e4m3_0_0_4v
                                        ; -- End function
	.set .L_Z50ncclDevFunc_AllReduce_RING_SIMPLE_Sum_f8e4m3_0_0_4v.num_vgpr, max(128, .L_ZN12_GLOBAL__N_17runRingI14__hip_fp8_e4m37FuncSumIS1_E11ProtoSimpleILi2ELi2ELi0ELi4ELi0ELi0EELi0ELi0ELi4ELi0EEEviiP15ncclDevWorkColl.num_vgpr)
	.set .L_Z50ncclDevFunc_AllReduce_RING_SIMPLE_Sum_f8e4m3_0_0_4v.num_agpr, max(0, .L_ZN12_GLOBAL__N_17runRingI14__hip_fp8_e4m37FuncSumIS1_E11ProtoSimpleILi2ELi2ELi0ELi4ELi0ELi0EELi0ELi0ELi4ELi0EEEviiP15ncclDevWorkColl.num_agpr)
	.set .L_Z50ncclDevFunc_AllReduce_RING_SIMPLE_Sum_f8e4m3_0_0_4v.numbered_sgpr, max(96, .L_ZN12_GLOBAL__N_17runRingI14__hip_fp8_e4m37FuncSumIS1_E11ProtoSimpleILi2ELi2ELi0ELi4ELi0ELi0EELi0ELi0ELi4ELi0EEEviiP15ncclDevWorkColl.numbered_sgpr)
	.set .L_Z50ncclDevFunc_AllReduce_RING_SIMPLE_Sum_f8e4m3_0_0_4v.num_named_barrier, max(0, .L_ZN12_GLOBAL__N_17runRingI14__hip_fp8_e4m37FuncSumIS1_E11ProtoSimpleILi2ELi2ELi0ELi4ELi0ELi0EELi0ELi0ELi4ELi0EEEviiP15ncclDevWorkColl.num_named_barrier)
	.set .L_Z50ncclDevFunc_AllReduce_RING_SIMPLE_Sum_f8e4m3_0_0_4v.private_seg_size, 32+max(.L_ZN12_GLOBAL__N_17runRingI14__hip_fp8_e4m37FuncSumIS1_E11ProtoSimpleILi2ELi2ELi0ELi4ELi0ELi0EELi0ELi0ELi4ELi0EEEviiP15ncclDevWorkColl.private_seg_size)
	.set .L_Z50ncclDevFunc_AllReduce_RING_SIMPLE_Sum_f8e4m3_0_0_4v.uses_vcc, or(1, .L_ZN12_GLOBAL__N_17runRingI14__hip_fp8_e4m37FuncSumIS1_E11ProtoSimpleILi2ELi2ELi0ELi4ELi0ELi0EELi0ELi0ELi4ELi0EEEviiP15ncclDevWorkColl.uses_vcc)
	.set .L_Z50ncclDevFunc_AllReduce_RING_SIMPLE_Sum_f8e4m3_0_0_4v.uses_flat_scratch, or(1, .L_ZN12_GLOBAL__N_17runRingI14__hip_fp8_e4m37FuncSumIS1_E11ProtoSimpleILi2ELi2ELi0ELi4ELi0ELi0EELi0ELi0ELi4ELi0EEEviiP15ncclDevWorkColl.uses_flat_scratch)
	.set .L_Z50ncclDevFunc_AllReduce_RING_SIMPLE_Sum_f8e4m3_0_0_4v.has_dyn_sized_stack, or(0, .L_ZN12_GLOBAL__N_17runRingI14__hip_fp8_e4m37FuncSumIS1_E11ProtoSimpleILi2ELi2ELi0ELi4ELi0ELi0EELi0ELi0ELi4ELi0EEEviiP15ncclDevWorkColl.has_dyn_sized_stack)
	.set .L_Z50ncclDevFunc_AllReduce_RING_SIMPLE_Sum_f8e4m3_0_0_4v.has_recursion, or(1, .L_ZN12_GLOBAL__N_17runRingI14__hip_fp8_e4m37FuncSumIS1_E11ProtoSimpleILi2ELi2ELi0ELi4ELi0ELi0EELi0ELi0ELi4ELi0EEEviiP15ncclDevWorkColl.has_recursion)
	.set .L_Z50ncclDevFunc_AllReduce_RING_SIMPLE_Sum_f8e4m3_0_0_4v.has_indirect_call, or(0, .L_ZN12_GLOBAL__N_17runRingI14__hip_fp8_e4m37FuncSumIS1_E11ProtoSimpleILi2ELi2ELi0ELi4ELi0ELi0EELi0ELi0ELi4ELi0EEEviiP15ncclDevWorkColl.has_indirect_call)
	.section	.AMDGPU.csdata,"",@progbits
; Function info:
; codeLenInByte = 512
; TotalNumSgprs: 98
; NumVgprs: 128
; ScratchSize: 448
; MemoryBound: 0
	.text
	.p2alignl 7, 3214868480
	.fill 96, 4, 3214868480
	.section	.AMDGPU.gpr_maximums,"",@progbits
	.set amdgpu.max_num_vgpr, 128
	.set amdgpu.max_num_agpr, 0
	.set amdgpu.max_num_sgpr, 96
	.text
	.type	__const.__assert_fail.fmt,@object ; @__const.__assert_fail.fmt
	.section	.rodata.str1.16,"aMS",@progbits,1
	.p2align	4, 0x0
__const.__assert_fail.fmt:
	.asciz	"%s:%u: %s: Device-side assertion `%s' failed.\n"
	.size	__const.__assert_fail.fmt, 47

	.type	.str.3,@object                  ; @.str.3
	.section	.rodata.str1.1,"aMS",@progbits,1
.str.3:
	.asciz	"2*(nrecv+nsend) <= nthreads"
	.size	.str.3, 28

	.type	.str.4,@object                  ; @.str.4
.str.4:
	.asciz	"/root/src/amdgpu-assembly/repos/ROCm__rccl/hipify/src/device/prims_simple.h"
	.size	.str.4, 76

	.type	__PRETTY_FUNCTION__._ZN10PrimitivesI14__hip_fp8_e4m37FuncSumIS0_E12FanSymmetricILi1EELi0E11ProtoSimpleILi2ELi2ELi0ELi1ELi0ELi0EELi0ELb0ELi0ELi0ELi0EEC2EiiPKiS9_PKvPvmhhhP15ncclDevWorkCollP14ncclDevWorkP2pii,@object ; @__PRETTY_FUNCTION__._ZN10PrimitivesI14__hip_fp8_e4m37FuncSumIS0_E12FanSymmetricILi1EELi0E11ProtoSimpleILi2ELi2ELi0ELi1ELi0ELi0EELi0ELb0ELi0ELi0ELi0EEC2EiiPKiS9_PKvPvmhhhP15ncclDevWorkCollP14ncclDevWorkP2pii
__PRETTY_FUNCTION__._ZN10PrimitivesI14__hip_fp8_e4m37FuncSumIS0_E12FanSymmetricILi1EELi0E11ProtoSimpleILi2ELi2ELi0ELi1ELi0ELi0EELi0ELb0ELi0ELi0ELi0EEC2EiiPKiS9_PKvPvmhhhP15ncclDevWorkCollP14ncclDevWorkP2pii:
	.asciz	"Primitives<__hip_fp8_e4m3, FuncSum<__hip_fp8_e4m3>, FanSymmetric<1>, 0, ProtoSimple<2, 2, 0, 1>, 0>::Primitives(int, int, const int *, const int *, const void *, void *, uint64_t, uint8_t, uint8_t, uint8_t, struct ncclDevWorkColl *, struct ncclDevWorkP2p *, int, int) [T = __hip_fp8_e4m3, RedOp = FuncSum<__hip_fp8_e4m3>, Fan = FanSymmetric<1>, Direct = 0, Proto = ProtoSimple<2, 2, 0, 1>, P2p = 0, isNetOffload = false, Metadata = 0, Pipeline = 0, useAcc = 0]"
	.size	__PRETTY_FUNCTION__._ZN10PrimitivesI14__hip_fp8_e4m37FuncSumIS0_E12FanSymmetricILi1EELi0E11ProtoSimpleILi2ELi2ELi0ELi1ELi0ELi0EELi0ELb0ELi0ELi0ELi0EEC2EiiPKiS9_PKvPvmhhhP15ncclDevWorkCollP14ncclDevWorkP2pii, 461

	.type	__PRETTY_FUNCTION__._ZN10PrimitivesI14__hip_fp8_e4m37FuncSumIS0_E12FanSymmetricILi1EELi0E11ProtoSimpleILi2ELi2ELi0ELi2ELi0ELi0EELi0ELb0ELi0ELi0ELi0EEC2EiiPKiS9_PKvPvmhhhP15ncclDevWorkCollP14ncclDevWorkP2pii,@object ; @__PRETTY_FUNCTION__._ZN10PrimitivesI14__hip_fp8_e4m37FuncSumIS0_E12FanSymmetricILi1EELi0E11ProtoSimpleILi2ELi2ELi0ELi2ELi0ELi0EELi0ELb0ELi0ELi0ELi0EEC2EiiPKiS9_PKvPvmhhhP15ncclDevWorkCollP14ncclDevWorkP2pii
__PRETTY_FUNCTION__._ZN10PrimitivesI14__hip_fp8_e4m37FuncSumIS0_E12FanSymmetricILi1EELi0E11ProtoSimpleILi2ELi2ELi0ELi2ELi0ELi0EELi0ELb0ELi0ELi0ELi0EEC2EiiPKiS9_PKvPvmhhhP15ncclDevWorkCollP14ncclDevWorkP2pii:
	.asciz	"Primitives<__hip_fp8_e4m3, FuncSum<__hip_fp8_e4m3>, FanSymmetric<1>, 0, ProtoSimple<2, 2, 0, 2>, 0>::Primitives(int, int, const int *, const int *, const void *, void *, uint64_t, uint8_t, uint8_t, uint8_t, struct ncclDevWorkColl *, struct ncclDevWorkP2p *, int, int) [T = __hip_fp8_e4m3, RedOp = FuncSum<__hip_fp8_e4m3>, Fan = FanSymmetric<1>, Direct = 0, Proto = ProtoSimple<2, 2, 0, 2>, P2p = 0, isNetOffload = false, Metadata = 0, Pipeline = 0, useAcc = 0]"
	.size	__PRETTY_FUNCTION__._ZN10PrimitivesI14__hip_fp8_e4m37FuncSumIS0_E12FanSymmetricILi1EELi0E11ProtoSimpleILi2ELi2ELi0ELi2ELi0ELi0EELi0ELb0ELi0ELi0ELi0EEC2EiiPKiS9_PKvPvmhhhP15ncclDevWorkCollP14ncclDevWorkP2pii, 461

	.type	__PRETTY_FUNCTION__._ZN10PrimitivesI14__hip_fp8_e4m37FuncSumIS0_E12FanSymmetricILi1EELi0E11ProtoSimpleILi2ELi2ELi0ELi4ELi0ELi0EELi0ELb0ELi0ELi0ELi0EEC2EiiPKiS9_PKvPvmhhhP15ncclDevWorkCollP14ncclDevWorkP2pii,@object ; @__PRETTY_FUNCTION__._ZN10PrimitivesI14__hip_fp8_e4m37FuncSumIS0_E12FanSymmetricILi1EELi0E11ProtoSimpleILi2ELi2ELi0ELi4ELi0ELi0EELi0ELb0ELi0ELi0ELi0EEC2EiiPKiS9_PKvPvmhhhP15ncclDevWorkCollP14ncclDevWorkP2pii
__PRETTY_FUNCTION__._ZN10PrimitivesI14__hip_fp8_e4m37FuncSumIS0_E12FanSymmetricILi1EELi0E11ProtoSimpleILi2ELi2ELi0ELi4ELi0ELi0EELi0ELb0ELi0ELi0ELi0EEC2EiiPKiS9_PKvPvmhhhP15ncclDevWorkCollP14ncclDevWorkP2pii:
	.asciz	"Primitives<__hip_fp8_e4m3, FuncSum<__hip_fp8_e4m3>, FanSymmetric<1>, 0, ProtoSimple<2, 2, 0, 4>, 0>::Primitives(int, int, const int *, const int *, const void *, void *, uint64_t, uint8_t, uint8_t, uint8_t, struct ncclDevWorkColl *, struct ncclDevWorkP2p *, int, int) [T = __hip_fp8_e4m3, RedOp = FuncSum<__hip_fp8_e4m3>, Fan = FanSymmetric<1>, Direct = 0, Proto = ProtoSimple<2, 2, 0, 4>, P2p = 0, isNetOffload = false, Metadata = 0, Pipeline = 0, useAcc = 0]"
	.size	__PRETTY_FUNCTION__._ZN10PrimitivesI14__hip_fp8_e4m37FuncSumIS0_E12FanSymmetricILi1EELi0E11ProtoSimpleILi2ELi2ELi0ELi4ELi0ELi0EELi0ELb0ELi0ELi0ELi0EEC2EiiPKiS9_PKvPvmhhhP15ncclDevWorkCollP14ncclDevWorkP2pii, 461

	.type	__hip_cuid_1937a7470584ca44,@object ; @__hip_cuid_1937a7470584ca44
	.section	.bss,"aw",@nobits
	.globl	__hip_cuid_1937a7470584ca44
__hip_cuid_1937a7470584ca44:
	.byte	0                               ; 0x0
	.size	__hip_cuid_1937a7470584ca44, 1

	.ident	"AMD clang version 22.0.0git (https://github.com/RadeonOpenCompute/llvm-project roc-7.2.4 26084 f58b06dce1f9c15707c5f808fd002e18c2accf7e)"
	.section	".note.GNU-stack","",@progbits
	.addrsig
	.addrsig_sym _Z50ncclDevFunc_AllReduce_RING_SIMPLE_Sum_f8e4m3_0_0_1v
	.addrsig_sym _Z50ncclDevFunc_AllReduce_RING_SIMPLE_Sum_f8e4m3_0_0_2v
	.addrsig_sym _Z50ncclDevFunc_AllReduce_RING_SIMPLE_Sum_f8e4m3_0_0_4v
	.addrsig_sym ncclShmem
	.addrsig_sym __hip_cuid_1937a7470584ca44
	.amdgpu_metadata
---
amdhsa.kernels:  []
amdhsa.target:   amdgcn-amd-amdhsa--gfx1250
amdhsa.version:
  - 1
  - 2
...

	.end_amdgpu_metadata
